;; amdgpu-corpus repo=ggml-org/llama.cpp kind=compiled arch=gfx90a opt=O3
	.text
	.amdgcn_target "amdgcn-amd-amdhsa--gfx90a"
	.amdhsa_code_object_version 6
	.section	.text._ZL15flash_attn_tileILi256ELi256ELi4ELi8ELb0EEvPKcS1_S1_S1_S1_PKiPfP15HIP_vector_typeIfLj2EEffffjfiS5_IjLj3EEiiiiiiiiiiiliiliiiiil,"axG",@progbits,_ZL15flash_attn_tileILi256ELi256ELi4ELi8ELb0EEvPKcS1_S1_S1_S1_PKiPfP15HIP_vector_typeIfLj2EEffffjfiS5_IjLj3EEiiiiiiiiiiiliiliiiiil,comdat
	.globl	_ZL15flash_attn_tileILi256ELi256ELi4ELi8ELb0EEvPKcS1_S1_S1_S1_PKiPfP15HIP_vector_typeIfLj2EEffffjfiS5_IjLj3EEiiiiiiiiiiiliiliiiiil ; -- Begin function _ZL15flash_attn_tileILi256ELi256ELi4ELi8ELb0EEvPKcS1_S1_S1_S1_PKiPfP15HIP_vector_typeIfLj2EEffffjfiS5_IjLj3EEiiiiiiiiiiiliiliiiiil
	.p2align	8
	.type	_ZL15flash_attn_tileILi256ELi256ELi4ELi8ELb0EEvPKcS1_S1_S1_S1_PKiPfP15HIP_vector_typeIfLj2EEffffjfiS5_IjLj3EEiiiiiiiiiiiliiliiiiil,@function
_ZL15flash_attn_tileILi256ELi256ELi4ELi8ELb0EEvPKcS1_S1_S1_S1_PKiPfP15HIP_vector_typeIfLj2EEffffjfiS5_IjLj3EEiiiiiiiiiiiliiliiiiil: ; @_ZL15flash_attn_tileILi256ELi256ELi4ELi8ELb0EEvPKcS1_S1_S1_S1_PKiPfP15HIP_vector_typeIfLj2EEffffjfiS5_IjLj3EEiiiiiiiiiiiliiliiiiil
; %bb.0:
	s_load_dwordx4 s[28:31], s[4:5], 0x5c
	s_load_dwordx2 s[34:35], s[4:5], 0x80
	s_load_dwordx16 s[12:27], s[4:5], 0x0
	s_mov_b64 s[36:37], 0
	s_waitcnt lgkmcnt(0)
	s_ashr_i32 s0, s31, 31
	s_lshr_b32 s0, s0, 29
	s_add_i32 s0, s31, s0
	s_ashr_i32 s0, s0, 3
	v_cvt_f32_u32_e32 v1, s0
	s_sub_i32 s1, 0, s0
	v_rcp_iflag_f32_e32 v1, v1
	v_mul_f32_e32 v1, 0x4f7ffffe, v1
	v_cvt_u32_f32_e32 v1, v1
	v_readfirstlane_b32 s2, v1
	s_mul_i32 s1, s1, s2
	s_mul_hi_u32 s1, s2, s1
	s_add_i32 s2, s2, s1
	s_mul_hi_u32 s1, s8, s2
	s_mul_i32 s2, s1, s0
	s_sub_i32 s2, s8, s2
	s_add_i32 s3, s1, 1
	s_sub_i32 s9, s2, s0
	s_cmp_ge_u32 s2, s0
	s_cselect_b32 s1, s3, s1
	s_cselect_b32 s2, s9, s2
	s_add_i32 s3, s1, 1
	s_cmp_ge_u32 s2, s0
	s_cselect_b32 s33, s3, s1
	s_abs_i32 s0, s35
	v_cvt_f32_u32_e32 v1, s0
	s_lshl_b32 s1, s8, 3
	s_mul_i32 s8, s33, s31
	s_xor_b32 s2, s31, s35
	v_rcp_iflag_f32_e32 v1, v1
	s_sub_i32 s9, 0, s0
	s_sub_i32 s35, s1, s8
	s_abs_i32 s3, s31
	v_mul_f32_e32 v1, 0x4f7ffffe, v1
	v_cvt_u32_f32_e32 v1, v1
	s_ashr_i32 s2, s2, 31
	v_readfirstlane_b32 s1, v1
	s_mul_i32 s9, s9, s1
	s_mul_hi_u32 s8, s1, s9
	s_add_i32 s1, s1, s8
	s_mul_hi_u32 s1, s3, s1
	s_mul_i32 s8, s1, s0
	s_sub_i32 s3, s3, s8
	s_add_i32 s9, s1, 1
	s_sub_i32 s8, s3, s0
	s_cmp_ge_u32 s3, s0
	s_cselect_b32 s1, s9, s1
	s_cselect_b32 s3, s8, s3
	s_add_i32 s8, s1, 1
	s_cmp_ge_u32 s3, s0
	s_cselect_b32 s0, s8, s1
	s_xor_b32 s0, s0, s2
	s_sub_i32 s11, s0, s2
	s_abs_i32 s10, s11
	v_cvt_f32_u32_e32 v1, s10
	s_load_dwordx2 s[8:9], s[4:5], 0xb8
	s_cmp_eq_u64 s[18:19], 0
	v_rcp_iflag_f32_e32 v1, v1
	v_mul_f32_e32 v1, 0x4f7ffffe, v1
	v_cvt_u32_f32_e32 v1, v1
	v_readfirstlane_b32 s38, v1
	s_cbranch_scc1 .LBB0_2
; %bb.1:
	s_waitcnt lgkmcnt(0)
	s_abs_i32 s2, s8
	v_cvt_f32_u32_e32 v1, s2
	s_sub_i32 s36, 0, s2
	s_abs_i32 s8, s33
	s_ashr_i32 s3, s33, 31
	v_rcp_iflag_f32_e32 v1, v1
	s_load_dwordx2 s[0:1], s[4:5], 0xc8
	v_mul_f32_e32 v1, 0x4f7ffffe, v1
	v_cvt_u32_f32_e32 v1, v1
	v_readfirstlane_b32 s37, v1
	s_mul_i32 s36, s36, s37
	s_mul_hi_u32 s36, s37, s36
	s_add_i32 s37, s37, s36
	s_mul_hi_u32 s36, s8, s37
	s_mul_i32 s36, s36, s2
	s_sub_i32 s8, s8, s36
	s_sub_i32 s36, s8, s2
	s_cmp_ge_u32 s8, s2
	s_cselect_b32 s8, s36, s8
	s_sub_i32 s36, s8, s2
	s_cmp_ge_u32 s8, s2
	s_cselect_b32 s2, s36, s8
	s_xor_b32 s2, s2, s3
	s_sub_i32 s2, s2, s3
	s_ashr_i32 s3, s2, 31
	s_waitcnt lgkmcnt(0)
	s_mul_i32 s1, s2, s1
	s_mul_hi_u32 s8, s2, s0
	s_add_i32 s1, s8, s1
	s_mul_i32 s3, s3, s0
	s_add_i32 s1, s1, s3
	s_mul_i32 s2, s2, s0
	s_add_u32 s36, s18, s2
	s_addc_u32 s37, s19, s1
.LBB0_2:
	s_load_dwordx4 s[0:3], s[4:5], 0x70
	v_bfe_u32 v17, v0, 10, 10
	v_lshrrev_b32_e32 v1, 1, v17
	v_lshl_add_u32 v116, s6, 2, v1
	v_mul_hi_u32 v1, s28, v116
	s_waitcnt lgkmcnt(0)
	s_mul_i32 s2, s33, s2
	s_ashr_i32 s8, s2, 31
	s_mul_i32 s3, s35, s1
	s_add_u32 s2, s12, s2
	v_add_u32_e32 v1, v116, v1
	s_addc_u32 s8, s13, s8
	s_ashr_i32 s12, s3, 31
	v_lshrrev_b32_e32 v1, s29, v1
	s_add_u32 s13, s2, s3
	v_mul_lo_u32 v1, v1, s30
	s_addc_u32 s8, s8, s12
	v_sub_u32_e32 v18, v116, v1
	s_ashr_i32 s18, s0, 31
	v_mov_b32_e32 v1, s0
	v_alignbit_b32 v1, s18, v1, 2
	v_mad_u64_u32 v[2:3], s[2:3], v1, v18, 0
	v_mov_b32_e32 v4, v3
	s_lshr_b32 s0, s18, 2
	v_mad_u64_u32 v[4:5], s[2:3], s0, v18, v[4:5]
	v_mov_b32_e32 v3, v4
	v_and_b32_e32 v100, 0x3ff, v0
	v_lshlrev_b64 v[0:1], 2, v[2:3]
	v_mov_b32_e32 v2, s8
	v_add_co_u32_e32 v0, vcc, s13, v0
	v_addc_co_u32_e32 v1, vcc, v2, v1, vcc
	v_lshlrev_b32_e32 v2, 4, v100
	v_lshlrev_b32_e32 v19, 2, v17
	s_ashr_i32 s12, s1, 31
	v_add_co_u32_e32 v32, vcc, v0, v2
	v_mov_b32_e32 v0, s1
	v_and_b32_e32 v117, 4, v19
	s_lshr_b32 s2, s12, 2
	v_alignbit_b32 v30, s12, v0, 2
	v_addc_co_u32_e32 v33, vcc, 0, v1, vcc
	v_mul_lo_u32 v2, s2, v117
	v_mad_u64_u32 v[0:1], s[0:1], v30, v117, 0
	v_or_b32_e32 v1, v1, v2
	v_lshlrev_b64 v[0:1], 2, v[0:1]
	v_add_co_u32_e32 v8, vcc, v32, v0
	v_addc_co_u32_e32 v9, vcc, v33, v1, vcc
	v_or_b32_e32 v38, 1, v19
	global_load_dwordx4 v[0:3], v[8:9], off
	global_load_dwordx4 v[4:7], v[8:9], off offset:512
	v_and_b32_e32 v11, 5, v38
	v_mad_u64_u32 v[8:9], s[0:1], v30, v11, 0
	v_mov_b32_e32 v10, v9
	v_mad_u64_u32 v[10:11], s[0:1], s2, v11, v[10:11]
	v_mov_b32_e32 v9, v10
	v_lshlrev_b64 v[8:9], 2, v[8:9]
	v_add_co_u32_e32 v20, vcc, v32, v8
	v_addc_co_u32_e32 v21, vcc, v33, v9, vcc
	v_or_b32_e32 v39, 2, v19
	global_load_dwordx4 v[8:11], v[20:21], off
	global_load_dwordx4 v[12:15], v[20:21], off offset:512
	v_and_b32_e32 v22, 6, v39
	v_mad_u64_u32 v[20:21], s[0:1], v30, v22, 0
	v_mov_b32_e32 v16, v21
	v_mad_u64_u32 v[22:23], s[0:1], s2, v22, v[16:17]
	v_mov_b32_e32 v21, v22
	;; [unrolled: 11-line block ×3, first 2 shown]
	v_lshlrev_b64 v[28:29], 2, v[28:29]
	v_add_co_u32_e32 v36, vcc, v32, v28
	v_addc_co_u32_e32 v37, vcc, v33, v29, vcc
	global_load_dwordx4 v[28:31], v[36:37], off
	global_load_dwordx4 v[32:35], v[36:37], off offset:512
	s_load_dword s0, s[4:5], 0x40
	s_mov_b32 s1, 0
	v_lshlrev_b32_e32 v19, 3, v100
	v_lshl_or_b32 v43, v17, 11, v19
	v_lshlrev_b32_e32 v16, 1, v100
	s_cmp_eq_u64 s[22:23], 0
	s_waitcnt vmcnt(7) lgkmcnt(0)
	v_pk_mul_f32 v[0:1], v[0:1], s[0:1] op_sel_hi:[1,0]
	v_cvt_f16_f32_e32 v36, v1
	v_cvt_f16_f32_e32 v37, v0
	v_pk_mul_f32 v[0:1], v[2:3], s[0:1] op_sel_hi:[1,0]
	v_cvt_f16_f32_e32 v41, v1
	v_cvt_f16_f32_e32 v42, v0
	s_waitcnt vmcnt(6)
	v_pk_mul_f32 v[0:1], v[4:5], s[0:1] op_sel_hi:[1,0]
	v_pk_mul_f32 v[2:3], v[6:7], s[0:1] op_sel_hi:[1,0]
	v_cvt_f16_f32_e32 v4, v1
	v_cvt_f16_f32_e32 v3, v3
	v_cvt_f16_f32_e32 v2, v2
	v_cvt_f16_f32_e32 v5, v0
	v_pack_b32_f16 v1, v42, v41
	v_pack_b32_f16 v0, v37, v36
	v_pack_b32_f16 v3, v2, v3
	v_pack_b32_f16 v2, v5, v4
	ds_write2_b64 v43, v[0:1], v[2:3] offset1:32
	s_waitcnt vmcnt(5)
	v_pk_mul_f32 v[0:1], v[8:9], s[0:1] op_sel_hi:[1,0]
	v_lshlrev_b32_e32 v2, 7, v38
	v_cvt_f16_f32_e32 v4, v1
	v_cvt_f16_f32_e32 v5, v0
	v_pk_mul_f32 v[0:1], v[10:11], s[0:1] op_sel_hi:[1,0]
	v_cvt_f16_f32_e32 v6, v1
	v_cvt_f16_f32_e32 v7, v0
	v_add_lshl_u32 v8, v2, v16, 2
	s_waitcnt vmcnt(4)
	v_pk_mul_f32 v[0:1], v[12:13], s[0:1] op_sel_hi:[1,0]
	v_pk_mul_f32 v[2:3], v[14:15], s[0:1] op_sel_hi:[1,0]
	v_cvt_f16_f32_e32 v9, v1
	v_cvt_f16_f32_e32 v3, v3
	v_cvt_f16_f32_e32 v2, v2
	v_cvt_f16_f32_e32 v10, v0
	v_pack_b32_f16 v1, v7, v6
	v_pack_b32_f16 v0, v5, v4
	v_pack_b32_f16 v3, v2, v3
	v_pack_b32_f16 v2, v10, v9
	ds_write2_b64 v8, v[0:1], v[2:3] offset1:32
	s_waitcnt vmcnt(3)
	v_pk_mul_f32 v[0:1], v[20:21], s[0:1] op_sel_hi:[1,0]
	v_lshlrev_b32_e32 v2, 7, v39
	v_cvt_f16_f32_e32 v4, v1
	v_cvt_f16_f32_e32 v5, v0
	v_pk_mul_f32 v[0:1], v[22:23], s[0:1] op_sel_hi:[1,0]
	v_cvt_f16_f32_e32 v6, v1
	v_cvt_f16_f32_e32 v7, v0
	v_add_lshl_u32 v8, v2, v16, 2
	;; [unrolled: 21-line block ×3, first 2 shown]
	s_waitcnt vmcnt(0)
	v_pk_mul_f32 v[0:1], v[32:33], s[0:1] op_sel_hi:[1,0]
	v_pk_mul_f32 v[2:3], v[34:35], s[0:1] op_sel_hi:[1,0]
	v_cvt_f16_f32_e32 v9, v1
	v_cvt_f16_f32_e32 v3, v3
	;; [unrolled: 1-line block ×4, first 2 shown]
	v_pack_b32_f16 v1, v7, v6
	v_pack_b32_f16 v0, v5, v4
	;; [unrolled: 1-line block ×4, first 2 shown]
	ds_write2_b64 v8, v[0:1], v[2:3] offset1:32
	s_waitcnt lgkmcnt(0)
	s_barrier
	s_cbranch_scc1 .LBB0_4
; %bb.3:
	s_load_dword s0, s[4:5], 0xd0
	s_waitcnt lgkmcnt(0)
	s_mul_i32 s0, s0, s33
	s_add_i32 s0, s0, s6
	s_lshl_b64 s[0:1], s[0:1], 2
	s_add_u32 s0, s22, s0
	s_addc_u32 s1, s23, s1
	s_load_dword s34, s[0:1], 0x0
.LBB0_4:
	s_lshl_b32 s22, s7, 5
	v_lshlrev_b32_e32 v101, 2, v100
	s_waitcnt lgkmcnt(0)
	s_cmp_lt_i32 s22, s34
	v_mbcnt_lo_u32_b32 v20, -1, 0
	s_cbranch_scc1 .LBB0_6
; %bb.5:
	v_mbcnt_hi_u32_b32 v107, -1, v20
	v_and_b32_e32 v0, 0x60, v107
	s_mov_b32 s2, 0
	v_add_u32_e32 v118, 32, v0
	v_xor_b32_e32 v121, 16, v107
	v_xor_b32_e32 v122, 8, v107
	;; [unrolled: 1-line block ×5, first 2 shown]
	s_mov_b64 s[0:1], 0
	s_mov_b32 s3, 0xfeffffff
	s_branch .LBB0_7
.LBB0_6:
	s_mov_b64 s[0:1], -1
                                        ; implicit-def: $sgpr3
                                        ; implicit-def: $sgpr2
                                        ; implicit-def: $vgpr107
                                        ; implicit-def: $vgpr118
                                        ; implicit-def: $vgpr121
                                        ; implicit-def: $vgpr122
                                        ; implicit-def: $vgpr123
                                        ; implicit-def: $vgpr120
                                        ; implicit-def: $vgpr119
.LBB0_7:
	s_andn2_b64 vcc, exec, s[0:1]
	v_mov_b32_e32 v3, s3
	v_mov_b32_e32 v103, s2
	;; [unrolled: 1-line block ×24, first 2 shown]
	s_cbranch_vccnz .LBB0_10
; %bb.8:
	s_sub_i32 s0, 0, s10
	s_mul_i32 s0, s0, s38
	s_mul_hi_u32 s0, s38, s0
	s_add_i32 s38, s38, s0
	s_load_dwordx2 s[12:13], s[4:5], 0x8c
	s_load_dwordx4 s[0:3], s[4:5], 0x98
	s_abs_i32 s6, s35
	s_mul_hi_u32 s8, s6, s38
	s_ashr_i32 s29, s35, 31
	s_waitcnt lgkmcnt(0)
	s_ashr_i32 s28, s12, 2
	s_ashr_i32 s23, s2, 2
	s_ashr_i32 s2, s9, 1
	s_ashr_i32 s9, s33, 31
	s_mul_i32 s1, s33, s1
	s_mul_hi_u32 s12, s33, s0
	s_add_i32 s1, s12, s1
	s_mul_i32 s12, s9, s0
	s_ashr_i32 s11, s11, 31
	s_add_i32 s1, s1, s12
	s_mul_i32 s0, s33, s0
	s_add_u32 s0, s14, s0
	s_mul_i32 s12, s8, s10
	s_addc_u32 s1, s15, s1
	s_sub_i32 s6, s6, s12
	s_xor_b32 s11, s29, s11
	s_add_i32 s12, s8, 1
	s_sub_i32 s14, s6, s10
	s_cmp_ge_u32 s6, s10
	s_cselect_b32 s8, s12, s8
	s_cselect_b32 s6, s14, s6
	s_add_i32 s12, s8, 1
	s_cmp_ge_u32 s6, s10
	s_cselect_b32 s6, s12, s8
	s_load_dwordx2 s[18:19], s[4:5], 0xa8
	s_xor_b32 s6, s6, s11
	s_sub_i32 s6, s6, s11
	s_mul_i32 s8, s6, s13
	s_ashr_i32 s10, s8, 31
	s_add_u32 s29, s0, s8
	s_addc_u32 s38, s1, s10
	s_waitcnt lgkmcnt(0)
	s_mul_i32 s0, s33, s19
	s_mul_hi_u32 s1, s33, s18
	s_add_i32 s0, s1, s0
	s_mul_i32 s9, s9, s18
	s_add_i32 s0, s0, s9
	s_mul_i32 s1, s33, s18
	s_add_u32 s1, s16, s1
	s_mul_i32 s6, s6, s3
	s_addc_u32 s0, s17, s0
	s_ashr_i32 s3, s6, 31
	s_add_u32 s39, s1, s6
	v_lshrrev_b32_e32 v0, 4, v100
	v_and_b32_e32 v2, 60, v101
	s_addc_u32 s40, s0, s3
	v_lshl_add_u32 v0, v17, 1, v0
	v_lshlrev_b32_e32 v1, 2, v2
	s_movk_i32 s0, 0x110
	v_mad_u32_u24 v1, v0, s0, v1
	v_mul_lo_u32 v6, s28, v0
	v_mov_b32_e32 v0, 0x4000
	v_mad_u32_u24 v126, v100, s0, v0
	v_mad_u64_u32 v[106:107], s[0:1], v18, s2, v[100:101]
	v_mov_b32_e32 v0, 0x6200
	v_lshlrev_b32_e32 v129, 2, v101
	v_mul_lo_u32 v10, s23, v17
	v_lshl_add_u32 v8, s28, 4, v6
	v_lshl_add_u32 v128, v17, 8, v0
	;; [unrolled: 1-line block ×4, first 2 shown]
	v_mbcnt_hi_u32_b32 v107, -1, v20
	v_mov_b32_e32 v5, 0
	v_add_u32_e32 v124, 0x4000, v1
	v_ashrrev_i32_e32 v7, 31, v6
	v_add_u32_e32 v125, 0x5100, v1
	v_ashrrev_i32_e32 v9, 31, v8
	;; [unrolled: 2-line block ×4, first 2 shown]
	s_add_u32 s18, s4, 0xd0
	v_mov_b32_e32 v0, 0xfeffffff
	v_and_b32_e32 v1, 0x60, v107
	v_lshlrev_b32_e32 v127, 11, v17
	s_addc_u32 s19, s5, 0
	v_lshlrev_b64 v[108:109], 2, v[6:7]
	v_lshlrev_b32_e32 v132, 2, v2
	v_lshlrev_b64 v[110:111], 2, v[8:9]
	v_mov_b32_e32 v133, s37
	v_add_u32_e32 v118, 32, v1
	v_xor_b32_e32 v121, 16, v107
	v_xor_b32_e32 v122, 8, v107
	;; [unrolled: 1-line block ×5, first 2 shown]
	s_mov_b32 s6, 0x40051340
	s_mov_b32 s37, 0x3fb8aa3b
	s_mov_b32 s41, 0xc2ce8ed0
	s_mov_b32 s42, 0x42b17218
	v_mov_b32_e32 v134, 0x7f800000
	v_add_u32_e32 v135, v128, v19
	v_lshlrev_b64 v[112:113], 2, v[10:11]
	v_lshlrev_b64 v[114:115], 2, v[12:13]
	v_add_u32_e32 v136, 0x4000, v19
	v_add_u32_e32 v137, 0x4800, v19
	;; [unrolled: 1-line block ×4, first 2 shown]
	v_mov_b32_e32 v34, 0
	v_mov_b32_e32 v4, 0
	;; [unrolled: 1-line block ×22, first 2 shown]
.LBB0_9:                                ; =>This Inner Loop Header: Depth=1
	v_cmp_lt_i32_e32 vcc, v121, v118
	v_cndmask_b32_e32 v20, v107, v121, vcc
	v_cmp_lt_i32_e32 vcc, v122, v118
	v_add_u32_e32 v18, s22, v106
	v_cndmask_b32_e32 v21, v107, v122, vcc
	v_cmp_lt_i32_e32 vcc, v123, v118
	s_mul_hi_i32 s1, s22, s28
	s_mul_i32 s0, s22, s28
	v_cndmask_b32_e32 v22, v107, v123, vcc
	v_cmp_lt_i32_e32 vcc, v120, v118
	v_ashrrev_i32_e32 v19, 31, v18
	v_cndmask_b32_e32 v23, v107, v120, vcc
	v_cmp_lt_i32_e32 vcc, v119, v118
	s_lshl_b64 s[0:1], s[0:1], 2
	v_lshlrev_b64 v[18:19], 1, v[18:19]
	v_cndmask_b32_e32 v24, v107, v119, vcc
	s_add_u32 s0, s29, s0
	v_add_co_u32_e32 v18, vcc, s36, v18
	s_addc_u32 s1, s38, s1
	v_addc_co_u32_e32 v19, vcc, v133, v19, vcc
	v_lshlrev_b32_e32 v42, 2, v20
	v_lshlrev_b32_e32 v41, 2, v21
	;; [unrolled: 1-line block ×4, first 2 shown]
	v_mov_b32_e32 v20, s1
	v_mov_b32_e32 v21, s1
	v_add_co_u32_e32 v22, vcc, s0, v110
	v_add_co_u32_e64 v23, s[0:1], s0, v108
	v_addc_co_u32_e64 v20, s[0:1], v20, v109, s[0:1]
	v_addc_co_u32_e32 v21, vcc, v21, v111, vcc
	v_add_co_u32_e64 v30, s[0:1], v23, v132
	v_lshlrev_b32_e32 v38, 2, v24
	v_add_co_u32_e32 v24, vcc, v22, v132
	v_addc_co_u32_e64 v31, s[0:1], 0, v20, s[0:1]
	v_addc_co_u32_e32 v25, vcc, 0, v21, vcc
	global_load_dwordx4 v[48:51], v[30:31], off
	global_load_dwordx4 v[52:55], v[24:25], off
	v_mov_b32_e32 v36, v0
	v_mov_b32_e32 v0, 0
	;; [unrolled: 1-line block ×8, first 2 shown]
	s_mul_hi_i32 s3, s22, s23
	s_mul_i32 s2, s22, s23
	s_lshl_b64 s[2:3], s[2:3], 2
	s_add_u32 s2, s39, s2
	s_addc_u32 s3, s40, s3
	v_mov_b32_e32 v20, s3
	v_add_co_u32_e32 v21, vcc, s2, v112
	v_mov_b32_e32 v22, s3
	v_add_co_u32_e64 v23, s[0:1], s2, v114
	v_addc_co_u32_e32 v20, vcc, v20, v113, vcc
	v_addc_co_u32_e64 v22, vcc, v22, v115, s[0:1]
	v_add_co_u32_e64 v28, s[0:1], v21, v129
	v_add_co_u32_e32 v26, vcc, v23, v129
	v_addc_co_u32_e64 v29, s[0:1], 0, v20, s[0:1]
	v_addc_co_u32_e32 v27, vcc, 0, v22, vcc
	v_max_f32_e32 v43, v35, v35
	v_max_f32_e32 v44, v37, v37
	v_max_f32_e32 v45, v17, v17
	v_max_f32_e32 v46, v36, v36
	s_or_b32 s8, s22, 16
	s_mul_hi_i32 s3, s8, s23
	s_mul_i32 s2, s8, s23
	s_lshl_b64 s[2:3], s[2:3], 2
	s_add_u32 s0, s39, s2
	s_addc_u32 s1, s40, s3
	v_mov_b32_e32 v20, s1
	v_mov_b32_e32 v21, s1
	v_add_co_u32_e32 v22, vcc, s0, v114
	s_waitcnt vmcnt(1)
	ds_write_b128 v124, v[48:51]
	s_waitcnt vmcnt(0)
	ds_write_b128 v125, v[52:55]
	s_waitcnt lgkmcnt(0)
	s_barrier
	ds_read_b128 v[48:51], v126
	ds_read_b128 v[52:55], v127
	ds_read_b128 v[56:59], v127 offset:512
	ds_read_b128 v[60:63], v127 offset:1024
	ds_read_b128 v[64:67], v127 offset:1536
	s_waitcnt lgkmcnt(3)
	;;#ASMSTART
	v_dot2_f32_f16 v0, v48, v52, v0
	;;#ASMEND
	;;#ASMSTART
	v_dot2_f32_f16 v0, v49, v53, v0
	;;#ASMEND
	;;#ASMSTART
	v_dot2_f32_f16 v0, v50, v54, v0
	;;#ASMEND
	;;#ASMSTART
	v_dot2_f32_f16 v0, v51, v55, v0
	;;#ASMEND
	s_waitcnt lgkmcnt(2)
	;;#ASMSTART
	v_dot2_f32_f16 v1, v48, v56, v1
	;;#ASMEND
	;;#ASMSTART
	v_dot2_f32_f16 v1, v49, v57, v1
	;;#ASMEND
	;;#ASMSTART
	v_dot2_f32_f16 v1, v50, v58, v1
	;;#ASMEND
	;;#ASMSTART
	v_dot2_f32_f16 v1, v51, v59, v1
	;;#ASMEND
	s_waitcnt lgkmcnt(1)
	;;#ASMSTART
	v_dot2_f32_f16 v2, v48, v60, v2
	;;#ASMEND
	;;#ASMSTART
	v_dot2_f32_f16 v2, v49, v61, v2
	;;#ASMEND
	;;#ASMSTART
	v_dot2_f32_f16 v2, v50, v62, v2
	;;#ASMEND
	;;#ASMSTART
	v_dot2_f32_f16 v2, v51, v63, v2
	;;#ASMEND
	s_waitcnt lgkmcnt(0)
	;;#ASMSTART
	v_dot2_f32_f16 v3, v48, v64, v3
	;;#ASMEND
	;;#ASMSTART
	v_dot2_f32_f16 v3, v49, v65, v3
	;;#ASMEND
	;;#ASMSTART
	v_dot2_f32_f16 v3, v50, v66, v3
	;;#ASMEND
	;;#ASMSTART
	v_dot2_f32_f16 v3, v51, v67, v3
	;;#ASMEND
	ds_read_b128 v[48:51], v126 offset:16
	ds_read_b128 v[52:55], v127 offset:16
	ds_read_b128 v[56:59], v127 offset:528
	ds_read_b128 v[60:63], v127 offset:1040
	ds_read_b128 v[64:67], v127 offset:1552
	s_waitcnt lgkmcnt(3)
	;;#ASMSTART
	v_dot2_f32_f16 v0, v48, v52, v0
	;;#ASMEND
	;;#ASMSTART
	v_dot2_f32_f16 v0, v49, v53, v0
	;;#ASMEND
	;;#ASMSTART
	v_dot2_f32_f16 v0, v50, v54, v0
	;;#ASMEND
	;;#ASMSTART
	v_dot2_f32_f16 v0, v51, v55, v0
	;;#ASMEND
	s_waitcnt lgkmcnt(2)
	;;#ASMSTART
	v_dot2_f32_f16 v1, v48, v56, v1
	;;#ASMEND
	;;#ASMSTART
	v_dot2_f32_f16 v1, v49, v57, v1
	;;#ASMEND
	;;#ASMSTART
	v_dot2_f32_f16 v1, v50, v58, v1
	;;#ASMEND
	;;#ASMSTART
	v_dot2_f32_f16 v1, v51, v59, v1
	;;#ASMEND
	s_waitcnt lgkmcnt(1)
	;;#ASMSTART
	v_dot2_f32_f16 v2, v48, v60, v2
	;;#ASMEND
	;;#ASMSTART
	v_dot2_f32_f16 v2, v49, v61, v2
	;;#ASMEND
	;;#ASMSTART
	v_dot2_f32_f16 v2, v50, v62, v2
	;;#ASMEND
	;;#ASMSTART
	v_dot2_f32_f16 v2, v51, v63, v2
	;;#ASMEND
	s_waitcnt lgkmcnt(0)
	;;#ASMSTART
	v_dot2_f32_f16 v3, v48, v64, v3
	;;#ASMEND
	;;#ASMSTART
	v_dot2_f32_f16 v3, v49, v65, v3
	;;#ASMEND
	;;#ASMSTART
	v_dot2_f32_f16 v3, v50, v66, v3
	;;#ASMEND
	;;#ASMSTART
	v_dot2_f32_f16 v3, v51, v67, v3
	;;#ASMEND
	ds_read_b128 v[48:51], v126 offset:32
	ds_read_b128 v[52:55], v127 offset:32
	;; [unrolled: 57-line block ×15, first 2 shown]
	ds_read_b128 v[56:59], v127 offset:752
	ds_read_b128 v[60:63], v127 offset:1264
	;; [unrolled: 1-line block ×3, first 2 shown]
	s_waitcnt lgkmcnt(3)
	;;#ASMSTART
	v_dot2_f32_f16 v0, v48, v52, v0
	;;#ASMEND
	;;#ASMSTART
	v_dot2_f32_f16 v0, v49, v53, v0
	;;#ASMEND
	;;#ASMSTART
	v_dot2_f32_f16 v0, v50, v54, v0
	;;#ASMEND
	;;#ASMSTART
	v_dot2_f32_f16 v0, v51, v55, v0
	;;#ASMEND
	s_waitcnt lgkmcnt(2)
	;;#ASMSTART
	v_dot2_f32_f16 v1, v48, v56, v1
	;;#ASMEND
	;;#ASMSTART
	v_dot2_f32_f16 v1, v49, v57, v1
	;;#ASMEND
	;;#ASMSTART
	v_dot2_f32_f16 v1, v50, v58, v1
	;;#ASMEND
	;;#ASMSTART
	v_dot2_f32_f16 v1, v51, v59, v1
	;;#ASMEND
	;; [unrolled: 13-line block ×4, first 2 shown]
	s_barrier
	global_load_dwordx4 v[48:51], v[30:31], off offset:256
	global_load_dwordx4 v[52:55], v[24:25], off offset:256
	s_waitcnt vmcnt(1)
	ds_write_b128 v124, v[48:51]
	s_waitcnt vmcnt(0)
	ds_write_b128 v125, v[52:55]
	s_waitcnt lgkmcnt(0)
	s_barrier
	ds_read_b128 v[48:51], v126
	ds_read_b128 v[52:55], v127 offset:256
	ds_read_b128 v[56:59], v127 offset:768
	ds_read_b128 v[60:63], v127 offset:1280
	ds_read_b128 v[64:67], v127 offset:1792
	s_waitcnt lgkmcnt(3)
	;;#ASMSTART
	v_dot2_f32_f16 v0, v48, v52, v0
	;;#ASMEND
	;;#ASMSTART
	v_dot2_f32_f16 v0, v49, v53, v0
	;;#ASMEND
	;;#ASMSTART
	v_dot2_f32_f16 v0, v50, v54, v0
	;;#ASMEND
	;;#ASMSTART
	v_dot2_f32_f16 v0, v51, v55, v0
	;;#ASMEND
	s_waitcnt lgkmcnt(2)
	;;#ASMSTART
	v_dot2_f32_f16 v1, v48, v56, v1
	;;#ASMEND
	;;#ASMSTART
	v_dot2_f32_f16 v1, v49, v57, v1
	;;#ASMEND
	;;#ASMSTART
	v_dot2_f32_f16 v1, v50, v58, v1
	;;#ASMEND
	;;#ASMSTART
	v_dot2_f32_f16 v1, v51, v59, v1
	;;#ASMEND
	s_waitcnt lgkmcnt(1)
	;;#ASMSTART
	v_dot2_f32_f16 v2, v48, v60, v2
	;;#ASMEND
	;;#ASMSTART
	v_dot2_f32_f16 v2, v49, v61, v2
	;;#ASMEND
	;;#ASMSTART
	v_dot2_f32_f16 v2, v50, v62, v2
	;;#ASMEND
	;;#ASMSTART
	v_dot2_f32_f16 v2, v51, v63, v2
	;;#ASMEND
	s_waitcnt lgkmcnt(0)
	;;#ASMSTART
	v_dot2_f32_f16 v3, v48, v64, v3
	;;#ASMEND
	;;#ASMSTART
	v_dot2_f32_f16 v3, v49, v65, v3
	;;#ASMEND
	;;#ASMSTART
	v_dot2_f32_f16 v3, v50, v66, v3
	;;#ASMEND
	;;#ASMSTART
	v_dot2_f32_f16 v3, v51, v67, v3
	;;#ASMEND
	ds_read_b128 v[48:51], v126 offset:16
	ds_read_b128 v[52:55], v127 offset:272
	ds_read_b128 v[56:59], v127 offset:784
	ds_read_b128 v[60:63], v127 offset:1296
	ds_read_b128 v[64:67], v127 offset:1808
	s_waitcnt lgkmcnt(3)
	;;#ASMSTART
	v_dot2_f32_f16 v0, v48, v52, v0
	;;#ASMEND
	;;#ASMSTART
	v_dot2_f32_f16 v0, v49, v53, v0
	;;#ASMEND
	;;#ASMSTART
	v_dot2_f32_f16 v0, v50, v54, v0
	;;#ASMEND
	;;#ASMSTART
	v_dot2_f32_f16 v0, v51, v55, v0
	;;#ASMEND
	s_waitcnt lgkmcnt(2)
	;;#ASMSTART
	v_dot2_f32_f16 v1, v48, v56, v1
	;;#ASMEND
	;;#ASMSTART
	v_dot2_f32_f16 v1, v49, v57, v1
	;;#ASMEND
	;;#ASMSTART
	v_dot2_f32_f16 v1, v50, v58, v1
	;;#ASMEND
	;;#ASMSTART
	v_dot2_f32_f16 v1, v51, v59, v1
	;;#ASMEND
	s_waitcnt lgkmcnt(1)
	;;#ASMSTART
	v_dot2_f32_f16 v2, v48, v60, v2
	;;#ASMEND
	;;#ASMSTART
	v_dot2_f32_f16 v2, v49, v61, v2
	;;#ASMEND
	;;#ASMSTART
	v_dot2_f32_f16 v2, v50, v62, v2
	;;#ASMEND
	;;#ASMSTART
	v_dot2_f32_f16 v2, v51, v63, v2
	;;#ASMEND
	s_waitcnt lgkmcnt(0)
	;;#ASMSTART
	v_dot2_f32_f16 v3, v48, v64, v3
	;;#ASMEND
	;;#ASMSTART
	v_dot2_f32_f16 v3, v49, v65, v3
	;;#ASMEND
	;;#ASMSTART
	v_dot2_f32_f16 v3, v50, v66, v3
	;;#ASMEND
	;;#ASMSTART
	v_dot2_f32_f16 v3, v51, v67, v3
	;;#ASMEND
	ds_read_b128 v[48:51], v126 offset:32
	;; [unrolled: 57-line block ×15, first 2 shown]
	ds_read_b128 v[52:55], v127 offset:496
	ds_read_b128 v[56:59], v127 offset:1008
	;; [unrolled: 1-line block ×4, first 2 shown]
	s_waitcnt lgkmcnt(3)
	;;#ASMSTART
	v_dot2_f32_f16 v0, v48, v52, v0
	;;#ASMEND
	;;#ASMSTART
	v_dot2_f32_f16 v0, v49, v53, v0
	;;#ASMEND
	;;#ASMSTART
	v_dot2_f32_f16 v0, v50, v54, v0
	;;#ASMEND
	;;#ASMSTART
	v_dot2_f32_f16 v0, v51, v55, v0
	;;#ASMEND
	s_waitcnt lgkmcnt(2)
	;;#ASMSTART
	v_dot2_f32_f16 v1, v48, v56, v1
	;;#ASMEND
	;;#ASMSTART
	v_dot2_f32_f16 v1, v49, v57, v1
	;;#ASMEND
	;;#ASMSTART
	v_dot2_f32_f16 v1, v50, v58, v1
	;;#ASMEND
	;;#ASMSTART
	v_dot2_f32_f16 v1, v51, v59, v1
	;;#ASMEND
	;; [unrolled: 13-line block ×4, first 2 shown]
	flat_load_ushort v18, v[18:19]
	s_waitcnt lgkmcnt(0)
	s_barrier
	global_load_dwordx4 v[48:51], v[28:29], off
	global_load_dwordx4 v[52:55], v[26:27], off
	v_add_co_u32_e64 v23, s[0:1], s0, v112
	v_addc_co_u32_e64 v47, s[0:1], v20, v113, s[0:1]
	v_addc_co_u32_e32 v21, vcc, v21, v115, vcc
	v_add_co_u32_e32 v20, vcc, v22, v129
	v_add_co_u32_e64 v22, s[0:1], v23, v129
	v_addc_co_u32_e64 v23, s[0:1], 0, v47, s[0:1]
	v_addc_co_u32_e32 v21, vcc, 0, v21, vcc
	s_waitcnt vmcnt(0)
	v_cvt_f32_f16_e32 v18, v18
	v_pk_add_f32 v[24:25], v[2:3], v[18:19] op_sel_hi:[1,0]
	v_pk_add_f32 v[18:19], v[0:1], v[18:19] op_sel_hi:[1,0]
	;; [unrolled: 1-line block ×4, first 2 shown]
	v_max_f32_e32 v3, v43, v3
	v_max_f32_e32 v2, v44, v2
	v_max_f32_e32 v1, v45, v1
	v_max_f32_e32 v0, v46, v0
	ds_bpermute_b32 v26, v42, v3
	ds_bpermute_b32 v27, v42, v2
	ds_bpermute_b32 v28, v42, v1
	ds_bpermute_b32 v29, v42, v0
	s_waitcnt lgkmcnt(3)
	v_max_f32_e32 v26, v26, v26
	s_waitcnt lgkmcnt(2)
	v_max_f32_e32 v27, v27, v27
	s_waitcnt lgkmcnt(1)
	v_max_f32_e32 v28, v28, v28
	s_waitcnt lgkmcnt(0)
	v_max_f32_e32 v29, v29, v29
	v_max_f32_e32 v3, v3, v26
	v_max_f32_e32 v2, v2, v27
	v_max_f32_e32 v1, v1, v28
	v_max_f32_e32 v0, v0, v29
	ds_bpermute_b32 v26, v41, v3
	ds_bpermute_b32 v27, v41, v2
	ds_bpermute_b32 v28, v41, v1
	ds_bpermute_b32 v29, v41, v0
	s_waitcnt lgkmcnt(3)
	v_max_f32_e32 v26, v26, v26
	s_waitcnt lgkmcnt(2)
	v_max_f32_e32 v27, v27, v27
	s_waitcnt lgkmcnt(1)
	v_max_f32_e32 v28, v28, v28
	s_waitcnt lgkmcnt(0)
	v_max_f32_e32 v29, v29, v29
	v_max_f32_e32 v3, v3, v26
	v_max_f32_e32 v2, v2, v27
	v_max_f32_e32 v1, v1, v28
	v_max_f32_e32 v0, v0, v29
	ds_bpermute_b32 v26, v40, v3
	ds_bpermute_b32 v27, v40, v2
	ds_bpermute_b32 v28, v40, v1
	ds_bpermute_b32 v29, v40, v0
	s_waitcnt lgkmcnt(3)
	v_max_f32_e32 v26, v26, v26
	s_waitcnt lgkmcnt(2)
	v_max_f32_e32 v27, v27, v27
	s_waitcnt lgkmcnt(1)
	v_max_f32_e32 v28, v28, v28
	s_waitcnt lgkmcnt(0)
	v_max_f32_e32 v29, v29, v29
	v_max_f32_e32 v3, v3, v26
	v_max_f32_e32 v2, v2, v27
	v_max_f32_e32 v1, v1, v28
	v_max_f32_e32 v0, v0, v29
	ds_bpermute_b32 v26, v39, v3
	ds_bpermute_b32 v27, v39, v2
	ds_bpermute_b32 v28, v39, v1
	ds_bpermute_b32 v29, v39, v0
	s_waitcnt lgkmcnt(3)
	v_max_f32_e32 v26, v26, v26
	s_waitcnt lgkmcnt(2)
	v_max_f32_e32 v27, v27, v27
	s_waitcnt lgkmcnt(1)
	v_max_f32_e32 v28, v28, v28
	s_waitcnt lgkmcnt(0)
	v_max_f32_e32 v29, v29, v29
	v_max_f32_e32 v3, v3, v26
	v_max_f32_e32 v2, v2, v27
	v_max_f32_e32 v1, v1, v28
	v_max_f32_e32 v0, v0, v29
	ds_bpermute_b32 v26, v38, v0
	ds_bpermute_b32 v27, v38, v1
	ds_bpermute_b32 v28, v38, v2
	ds_bpermute_b32 v29, v38, v3
	s_waitcnt lgkmcnt(3)
	v_max_f32_e32 v26, v26, v26
	s_waitcnt lgkmcnt(2)
	v_max_f32_e32 v27, v27, v27
	s_waitcnt lgkmcnt(1)
	v_max_f32_e32 v28, v28, v28
	s_waitcnt lgkmcnt(0)
	v_max_f32_e32 v29, v29, v29
	v_max_f32_e32 v0, v0, v26
	v_max_f32_e32 v1, v1, v27
	;; [unrolled: 1-line block ×4, first 2 shown]
	v_sub_f32_e32 v25, v25, v3
	v_sub_f32_e32 v24, v24, v2
	;; [unrolled: 1-line block ×8, first 2 shown]
	v_mul_f32_e32 v29, 0x3fb8aa3b, v18
	v_mul_f32_e32 v30, 0x3fb8aa3b, v19
	;; [unrolled: 1-line block ×8, first 2 shown]
	v_fma_f32 v40, v18, s37, -v29
	v_rndne_f32_e32 v41, v29
	v_fma_f32 v42, v19, s37, -v30
	v_rndne_f32_e32 v43, v30
	;; [unrolled: 2-line block ×8, first 2 shown]
	v_fmac_f32_e32 v40, 0x32a5705f, v18
	v_sub_f32_e32 v29, v29, v41
	v_fmac_f32_e32 v42, 0x32a5705f, v19
	v_sub_f32_e32 v30, v30, v43
	v_fmac_f32_e32 v44, 0x32a5705f, v24
	v_sub_f32_e32 v31, v31, v45
	v_fmac_f32_e32 v46, 0x32a5705f, v25
	v_sub_f32_e32 v35, v35, v47
	v_fmac_f32_e32 v56, 0x32a5705f, v17
	v_sub_f32_e32 v36, v36, v57
	v_fmac_f32_e32 v58, 0x32a5705f, v28
	v_sub_f32_e32 v37, v37, v59
	v_fmac_f32_e32 v60, 0x32a5705f, v27
	v_sub_f32_e32 v38, v38, v61
	v_fmac_f32_e32 v62, 0x32a5705f, v26
	v_sub_f32_e32 v39, v39, v63
	v_add_f32_e32 v29, v29, v40
	v_add_f32_e32 v30, v30, v42
	;; [unrolled: 1-line block ×5, first 2 shown]
	v_cvt_i32_f32_e32 v41, v41
	v_cvt_i32_f32_e32 v43, v43
	;; [unrolled: 1-line block ×5, first 2 shown]
	v_add_f32_e32 v37, v37, v58
	v_add_f32_e32 v38, v38, v60
	;; [unrolled: 1-line block ×3, first 2 shown]
	v_exp_f32_e32 v29, v29
	v_exp_f32_e32 v30, v30
	;; [unrolled: 1-line block ×5, first 2 shown]
	v_cvt_i32_f32_e32 v59, v59
	v_cvt_i32_f32_e32 v61, v61
	;; [unrolled: 1-line block ×3, first 2 shown]
	v_exp_f32_e32 v37, v37
	v_exp_f32_e32 v38, v38
	;; [unrolled: 1-line block ×3, first 2 shown]
	v_ldexp_f32 v29, v29, v41
	v_ldexp_f32 v30, v30, v43
	v_cmp_ngt_f32_e32 vcc, s41, v19
	v_ldexp_f32 v31, v31, v45
	v_cmp_ngt_f32_e64 s[0:1], s41, v24
	v_ldexp_f32 v35, v35, v47
	v_cmp_ngt_f32_e64 s[2:3], s41, v25
	;; [unrolled: 2-line block ×3, first 2 shown]
	v_cmp_ngt_f32_e64 s[16:17], s41, v18
	v_ldexp_f32 v37, v37, v59
	v_cmp_ngt_f32_e64 s[10:11], s41, v28
	v_ldexp_f32 v38, v38, v61
	;; [unrolled: 2-line block ×3, first 2 shown]
	v_cmp_ngt_f32_e64 s[14:15], s41, v26
	v_cndmask_b32_e64 v29, 0, v29, s[16:17]
	v_cndmask_b32_e32 v30, 0, v30, vcc
	v_cmp_nlt_f32_e32 vcc, s42, v19
	v_cndmask_b32_e64 v31, 0, v31, s[0:1]
	v_cmp_nlt_f32_e64 s[0:1], s42, v24
	v_cndmask_b32_e64 v35, 0, v35, s[2:3]
	v_cmp_nlt_f32_e64 s[2:3], s42, v25
	;; [unrolled: 2-line block ×3, first 2 shown]
	v_cmp_nlt_f32_e64 s[16:17], s42, v18
	v_cndmask_b32_e64 v17, 0, v37, s[10:11]
	v_cmp_nlt_f32_e64 s[10:11], s42, v28
	v_cndmask_b32_e64 v28, 0, v38, s[12:13]
	;; [unrolled: 2-line block ×4, first 2 shown]
	v_cndmask_b32_e32 v19, v134, v30, vcc
	v_cndmask_b32_e64 v24, v134, v31, s[0:1]
	v_cndmask_b32_e64 v25, v134, v35, s[2:3]
	;; [unrolled: 1-line block ×6, first 2 shown]
	v_cvt_f16_f32_e32 v156, v27
	v_cvt_f16_f32_e32 v17, v25
	;; [unrolled: 1-line block ×7, first 2 shown]
	v_pk_fma_f32 v[104:105], v[104:105], v[26:27], v[18:19]
	v_cvt_f16_f32_e32 v18, v29
	v_pk_mul_f16 v161, v156, v12 op_sel_hi:[0,1]
	v_pk_mul_f16 v162, v156, v13 op_sel_hi:[0,1]
	v_pack_b32_f16 v13, v30, v17
	v_pack_b32_f16 v12, v36, v31
	v_pk_fma_f32 v[102:103], v[102:103], v[28:29], v[24:25]
	v_pk_mul_f16 v158, v35, v16 op_sel_hi:[0,1]
	v_pk_mul_f16 v159, v35, v15 op_sel_hi:[0,1]
	;; [unrolled: 1-line block ×11, first 2 shown]
	ds_write_b64 v135, v[12:13]
	ds_write_b128 v130, v[48:51]
	ds_write_b128 v131, v[52:55]
	s_waitcnt lgkmcnt(0)
	s_barrier
	ds_read2_b64 v[24:27], v136 offset1:32
	ds_read_b128 v[28:31], v128
	ds_read_b128 v[36:39], v128 offset:16
	ds_read_b128 v[40:43], v128 offset:32
	;; [unrolled: 1-line block ×3, first 2 shown]
	ds_read2_b64 v[48:51], v136 offset0:64 offset1:96
	ds_read2_b64 v[52:55], v136 offset0:128 offset1:160
	ds_read2_b64 v[56:59], v136 offset0:192 offset1:224
	ds_read2_b64 v[60:63], v137 offset1:32
	ds_read2_b64 v[64:67], v137 offset0:64 offset1:96
	ds_read2_b64 v[68:71], v137 offset0:128 offset1:160
	;; [unrolled: 1-line block ×3, first 2 shown]
	ds_read2_b64 v[76:79], v138 offset1:32
	ds_read2_b64 v[80:83], v138 offset0:64 offset1:96
	ds_read2_b64 v[84:87], v138 offset0:128 offset1:160
	ds_read_b128 v[88:91], v128 offset:64
	ds_read_b128 v[92:95], v128 offset:80
	ds_read2_b64 v[96:99], v138 offset0:192 offset1:224
	ds_read2_b64 v[140:143], v139 offset1:32
	ds_read2_b64 v[144:147], v139 offset0:64 offset1:96
	ds_read2_b64 v[148:151], v139 offset0:128 offset1:160
	ds_read_b128 v[152:155], v128 offset:96
	ds_read_b128 v[4:7], v128 offset:112
	ds_read2_b64 v[8:11], v139 offset0:192 offset1:224
	s_waitcnt lgkmcnt(0)
	s_barrier
	global_load_dwordx4 v[12:15], v[22:23], off
	global_load_dwordx4 v[16:19], v[20:21], off
	v_pk_mul_f16 v20, v24, v28 op_sel_hi:[1,0]
	v_pk_mul_f16 v21, v24, v28 op_sel:[0,1]
	v_pk_mul_f16 v22, v24, v29 op_sel_hi:[1,0]
	v_pk_fma_f16 v23, v24, v29, v167 op_sel:[0,1,0]
	v_pk_fma_f16 v24, v25, v28, v158 op_sel_hi:[1,0,1]
	v_pk_fma_f16 v158, v25, v28, v161 op_sel:[0,1,0]
	v_pk_fma_f16 v161, v25, v29, v164 op_sel_hi:[1,0,1]
	;; [unrolled: 2-line block ×7, first 2 shown]
	v_pk_fma_f16 v21, v156, v33, v21 op_sel_hi:[0,1,1]
	v_pk_fma_f16 v22, v157, v32, v22 op_sel_hi:[0,1,1]
	v_pk_fma_f16 v23, v48, v31, v23 op_sel:[0,1,0]
	v_pk_fma_f16 v24, v49, v30, v24 op_sel_hi:[1,0,1]
	v_pk_fma_f16 v29, v49, v30, v158 op_sel:[0,1,0]
	;; [unrolled: 2-line block ×120, first 2 shown]
	v_pk_fma_f16 v155, v8, v7, v5 op_sel_hi:[1,0,1]
	s_waitcnt vmcnt(1)
	ds_write_b128 v130, v[12:15]
	s_waitcnt vmcnt(0)
	ds_write_b128 v131, v[16:19]
	s_waitcnt lgkmcnt(0)
	s_barrier
	ds_read2_b64 v[20:23], v136 offset1:32
	ds_read_b128 v[16:19], v128 offset:128
	ds_read_b128 v[12:15], v128 offset:144
	;; [unrolled: 1-line block ×4, first 2 shown]
	ds_read2_b64 v[24:27], v136 offset0:64 offset1:96
	ds_read2_b64 v[28:31], v136 offset0:128 offset1:160
	ds_read2_b64 v[32:35], v136 offset0:192 offset1:224
	ds_read2_b64 v[36:39], v137 offset1:32
	ds_read2_b64 v[40:43], v137 offset0:64 offset1:96
	ds_read2_b64 v[44:47], v137 offset0:128 offset1:160
	;; [unrolled: 1-line block ×3, first 2 shown]
	ds_read2_b64 v[56:59], v138 offset1:32
	ds_read2_b64 v[60:63], v138 offset0:64 offset1:96
	ds_read2_b64 v[64:67], v138 offset0:128 offset1:160
	ds_read_b128 v[88:91], v128 offset:192
	ds_read_b128 v[48:51], v128 offset:208
	ds_read2_b64 v[72:75], v138 offset0:192 offset1:224
	ds_read2_b64 v[76:79], v139 offset1:32
	ds_read2_b64 v[80:83], v139 offset0:64 offset1:96
	ds_read2_b64 v[84:87], v139 offset0:128 offset1:160
	ds_read_b128 v[96:99], v128 offset:224
	ds_read_b128 v[68:71], v128 offset:240
	ds_read2_b64 v[92:95], v139 offset0:192 offset1:224
	s_waitcnt lgkmcnt(14)
	v_pk_fma_f16 v153, v20, v16, v153 op_sel_hi:[1,0,1]
	v_pk_fma_f16 v154, v20, v16, v154 op_sel:[0,1,0]
	v_pk_fma_f16 v155, v20, v17, v155 op_sel_hi:[1,0,1]
	v_pk_fma_f16 v20, v20, v17, v140 op_sel:[0,1,0]
	;; [unrolled: 2-line block ×48, first 2 shown]
	s_waitcnt lgkmcnt(13)
	v_pk_fma_f16 v11, v44, v4, v13 op_sel_hi:[1,0,1]
	v_pk_fma_f16 v12, v44, v4, v14 op_sel:[0,1,0]
	v_pk_fma_f16 v13, v44, v5, v15 op_sel_hi:[1,0,1]
	v_pk_fma_f16 v14, v44, v5, v16 op_sel:[0,1,0]
	;; [unrolled: 2-line block ×8, first 2 shown]
	s_waitcnt lgkmcnt(12)
	v_pk_fma_f16 v9, v52, v6, v11 op_sel_hi:[1,0,1]
	v_pk_fma_f16 v10, v52, v6, v12 op_sel:[0,1,0]
	v_pk_fma_f16 v11, v52, v7, v13 op_sel_hi:[1,0,1]
	v_pk_fma_f16 v12, v52, v7, v14 op_sel:[0,1,0]
	v_pk_fma_f16 v13, v53, v6, v15 op_sel_hi:[1,0,1]
	v_pk_fma_f16 v14, v53, v6, v16 op_sel:[0,1,0]
	v_pk_fma_f16 v15, v53, v7, v17 op_sel_hi:[1,0,1]
	v_pk_fma_f16 v16, v53, v7, v18 op_sel:[0,1,0]
	v_pk_fma_f16 v17, v54, v6, v19 op_sel_hi:[1,0,1]
	v_pk_fma_f16 v18, v54, v6, v20 op_sel:[0,1,0]
	v_pk_fma_f16 v19, v54, v7, v21 op_sel_hi:[1,0,1]
	v_pk_fma_f16 v20, v54, v7, v22 op_sel:[0,1,0]
	v_pk_fma_f16 v21, v55, v6, v23 op_sel_hi:[1,0,1]
	v_pk_fma_f16 v4, v55, v6, v4 op_sel:[0,1,0]
	v_pk_fma_f16 v6, v55, v7, v8 op_sel_hi:[1,0,1]
	v_pk_fma_f16 v5, v55, v7, v5 op_sel:[0,1,0]
	s_waitcnt lgkmcnt(0)
	s_barrier
	s_load_dword s0, s[18:19], 0x4
	v_pk_fma_f16 v7, v56, v88, v9 op_sel_hi:[1,0,1]
	v_pk_fma_f16 v8, v56, v88, v10 op_sel:[0,1,0]
	v_pk_fma_f16 v9, v56, v89, v11 op_sel_hi:[1,0,1]
	v_pk_fma_f16 v10, v56, v89, v12 op_sel:[0,1,0]
	;; [unrolled: 2-line block ×40, first 2 shown]
	s_waitcnt lgkmcnt(0)
	s_lshl_b32 s0, s0, 5
	v_pk_fma_f16 v7, v80, v98, v7 op_sel_hi:[1,0,1]
	v_pk_fma_f16 v8, v80, v98, v8 op_sel:[0,1,0]
	v_pk_fma_f16 v9, v80, v99, v9 op_sel_hi:[1,0,1]
	v_pk_fma_f16 v10, v80, v99, v10 op_sel:[0,1,0]
	;; [unrolled: 2-line block ×8, first 2 shown]
	s_add_i32 s22, s0, s22
	v_pk_fma_f16 v7, v84, v68, v7 op_sel_hi:[1,0,1]
	v_pk_fma_f16 v8, v84, v68, v8 op_sel:[0,1,0]
	v_pk_fma_f16 v9, v84, v69, v9 op_sel_hi:[1,0,1]
	v_pk_fma_f16 v10, v84, v69, v10 op_sel:[0,1,0]
	;; [unrolled: 2-line block ×8, first 2 shown]
	s_cmp_ge_i32 s22, s34
	v_pk_fma_f16 v34, v92, v70, v7 op_sel_hi:[1,0,1]
	v_pk_fma_f16 v33, v92, v70, v8 op_sel:[0,1,0]
	v_pk_fma_f16 v32, v92, v71, v9 op_sel_hi:[1,0,1]
	v_pk_fma_f16 v9, v92, v71, v10 op_sel:[0,1,0]
	v_pk_fma_f16 v16, v93, v70, v11 op_sel_hi:[1,0,1]
	v_pk_fma_f16 v12, v93, v70, v12 op_sel:[0,1,0]
	v_pk_fma_f16 v8, v93, v71, v13 op_sel_hi:[1,0,1]
	v_pk_fma_f16 v4, v93, v71, v14 op_sel:[0,1,0]
	v_pk_fma_f16 v15, v94, v70, v15 op_sel_hi:[1,0,1]
	v_pk_fma_f16 v13, v94, v70, v20 op_sel:[0,1,0]
	v_pk_fma_f16 v11, v94, v71, v17 op_sel_hi:[1,0,1]
	v_pk_fma_f16 v7, v94, v71, v18 op_sel:[0,1,0]
	v_pk_fma_f16 v14, v95, v70, v19 op_sel_hi:[1,0,1]
	v_pk_fma_f16 v10, v95, v70, v21 op_sel:[0,1,0]
	v_pk_fma_f16 v6, v95, v71, v6 op_sel_hi:[1,0,1]
	v_pk_fma_f16 v5, v95, v71, v5 op_sel:[0,1,0]
	s_cbranch_scc0 .LBB0_9
.LBB0_10:
	v_cmp_lt_i32_e32 vcc, v121, v118
	v_cndmask_b32_e32 v17, v107, v121, vcc
	v_cmp_lt_i32_e32 vcc, v122, v118
	v_cndmask_b32_e32 v18, v107, v122, vcc
	v_cmp_lt_i32_e32 vcc, v123, v118
	v_lshlrev_b32_e32 v17, 2, v17
	v_lshlrev_b32_e32 v25, 2, v18
	v_cndmask_b32_e32 v18, v107, v123, vcc
	v_lshlrev_b32_e32 v26, 2, v18
	ds_bpermute_b32 v18, v17, v104
	ds_bpermute_b32 v19, v17, v105
	;; [unrolled: 1-line block ×4, first 2 shown]
	v_cmp_lt_i32_e32 vcc, v120, v118
	v_cndmask_b32_e32 v17, v107, v120, vcc
	s_waitcnt lgkmcnt(2)
	v_pk_add_f32 v[18:19], v[104:105], v[18:19]
	ds_bpermute_b32 v22, v25, v18
	s_waitcnt lgkmcnt(1)
	v_pk_add_f32 v[20:21], v[102:103], v[20:21]
	ds_bpermute_b32 v23, v25, v19
	ds_bpermute_b32 v24, v25, v20
	;; [unrolled: 1-line block ×3, first 2 shown]
	v_lshlrev_b32_e32 v17, 2, v17
	v_cmp_lt_i32_e32 vcc, v119, v118
	s_waitcnt lgkmcnt(2)
	v_pk_add_f32 v[18:19], v[18:19], v[22:23]
	ds_bpermute_b32 v22, v26, v18
	s_waitcnt lgkmcnt(1)
	v_pk_add_f32 v[20:21], v[20:21], v[24:25]
	ds_bpermute_b32 v23, v26, v19
	ds_bpermute_b32 v24, v26, v20
	;; [unrolled: 1-line block ×3, first 2 shown]
	v_cndmask_b32_e32 v26, v107, v119, vcc
	s_cmp_lg_u64 s[20:21], 0
	s_waitcnt lgkmcnt(2)
	v_pk_add_f32 v[18:19], v[18:19], v[22:23]
	ds_bpermute_b32 v22, v17, v18
	s_waitcnt lgkmcnt(1)
	v_pk_add_f32 v[20:21], v[20:21], v[24:25]
	ds_bpermute_b32 v23, v17, v19
	ds_bpermute_b32 v24, v17, v20
	;; [unrolled: 1-line block ×3, first 2 shown]
	v_lshlrev_b32_e32 v17, 2, v26
	s_cselect_b64 s[0:1], -1, 0
	s_waitcnt lgkmcnt(2)
	v_pk_add_f32 v[18:19], v[18:19], v[22:23]
	ds_bpermute_b32 v22, v17, v18
	s_waitcnt lgkmcnt(1)
	v_pk_add_f32 v[24:25], v[20:21], v[24:25]
	ds_bpermute_b32 v23, v17, v19
	ds_bpermute_b32 v26, v17, v24
	;; [unrolled: 1-line block ×3, first 2 shown]
	s_cmp_eq_u32 s7, 0
	s_cselect_b64 s[2:3], -1, 0
	s_and_b64 s[0:1], s[2:3], s[0:1]
	s_waitcnt lgkmcnt(2)
	v_pk_add_f32 v[20:21], v[18:19], v[22:23]
	s_waitcnt lgkmcnt(0)
	v_pk_add_f32 v[18:19], v[24:25], v[26:27]
	s_and_b64 vcc, exec, s[0:1]
	s_cbranch_vccz .LBB0_12
; %bb.11:
	v_add_u32_e32 v22, s35, v117
	v_ashrrev_i32_e32 v23, 31, v22
	v_lshlrev_b64 v[22:23], 2, v[22:23]
	v_mov_b32_e32 v17, s21
	v_add_co_u32_e32 v22, vcc, s20, v22
	v_addc_co_u32_e32 v23, vcc, v17, v23, vcc
	global_load_dwordx4 v[22:25], v[22:23], off
	v_max_f32_e32 v17, v1, v1
	v_max_f32_e32 v26, v0, v0
	;; [unrolled: 1-line block ×4, first 2 shown]
	s_mov_b32 s2, 0x3fb8aa3b
	s_mov_b32 s0, 0xc2ce8ed0
	s_mov_b32 s1, 0x42b17218
	v_mov_b32_e32 v30, 0x7f800000
	s_waitcnt vmcnt(0)
	v_max_f32_e32 v27, v23, v23
	v_max_f32_e32 v29, v22, v22
	;; [unrolled: 1-line block ×6, first 2 shown]
	v_pk_add_f32 v[0:1], v[0:1], v[26:27] neg_lo:[0,1] neg_hi:[0,1]
	v_max_f32_e32 v29, v28, v35
	v_max_f32_e32 v28, v31, v36
	v_mul_f32_e32 v17, 0x3fb8aa3b, v1
	v_pk_add_f32 v[2:3], v[2:3], v[28:29] neg_lo:[0,1] neg_hi:[0,1]
	v_mul_f32_e32 v31, 0x3fb8aa3b, v0
	v_fma_f32 v38, v1, s2, -v17
	v_rndne_f32_e32 v39, v17
	v_mul_f32_e32 v35, 0x3fb8aa3b, v3
	v_fma_f32 v40, v0, s2, -v31
	v_rndne_f32_e32 v41, v31
	v_fmac_f32_e32 v38, 0x32a5705f, v1
	v_sub_f32_e32 v17, v17, v39
	v_mul_f32_e32 v36, 0x3fb8aa3b, v2
	v_fma_f32 v42, v3, s2, -v35
	v_rndne_f32_e32 v43, v35
	v_fmac_f32_e32 v40, 0x32a5705f, v0
	v_sub_f32_e32 v31, v31, v41
	v_add_f32_e32 v17, v17, v38
	v_fma_f32 v44, v2, s2, -v36
	v_rndne_f32_e32 v45, v36
	v_cvt_i32_f32_e32 v39, v39
	v_fmac_f32_e32 v42, 0x32a5705f, v3
	v_sub_f32_e32 v35, v35, v43
	v_add_f32_e32 v31, v31, v40
	v_exp_f32_e32 v17, v17
	v_cvt_i32_f32_e32 v41, v41
	v_fmac_f32_e32 v44, 0x32a5705f, v2
	v_sub_f32_e32 v36, v36, v45
	v_add_f32_e32 v35, v35, v42
	v_exp_f32_e32 v31, v31
	v_cvt_i32_f32_e32 v43, v43
	v_add_f32_e32 v36, v36, v44
	v_exp_f32_e32 v35, v35
	v_cvt_i32_f32_e32 v45, v45
	v_exp_f32_e32 v36, v36
	v_ldexp_f32 v17, v17, v39
	v_cmp_ngt_f32_e32 vcc, s0, v1
	v_ldexp_f32 v31, v31, v41
	v_cndmask_b32_e32 v17, 0, v17, vcc
	v_cmp_ngt_f32_e32 vcc, s0, v0
	v_ldexp_f32 v35, v35, v43
	v_cndmask_b32_e32 v31, 0, v31, vcc
	v_cmp_ngt_f32_e32 vcc, s0, v3
	v_ldexp_f32 v36, v36, v45
	v_cndmask_b32_e32 v35, 0, v35, vcc
	v_cmp_ngt_f32_e32 vcc, s0, v2
	v_cndmask_b32_e32 v36, 0, v36, vcc
	v_cmp_nlt_f32_e32 vcc, s1, v1
	v_cndmask_b32_e32 v1, v30, v17, vcc
	v_cmp_nlt_f32_e32 vcc, s1, v0
	v_cndmask_b32_e32 v0, v30, v31, vcc
	v_pk_add_f32 v[24:25], v[24:25], v[28:29] neg_lo:[0,1] neg_hi:[0,1]
	v_cvt_f16_f32_e32 v17, v0
	v_mul_f32_e32 v37, 0x3fb8aa3b, v25
	v_cvt_f16_f32_e32 v31, v1
	v_fma_f32 v46, v25, s2, -v37
	v_rndne_f32_e32 v47, v37
	v_fmac_f32_e32 v46, 0x32a5705f, v25
	v_sub_f32_e32 v37, v37, v47
	v_cmp_nlt_f32_e32 vcc, s1, v3
	v_cndmask_b32_e32 v3, v30, v35, vcc
	v_cmp_nlt_f32_e32 vcc, s1, v2
	v_pk_mul_f16 v34, v17, v34 op_sel_hi:[0,1]
	v_pk_mul_f16 v16, v17, v16 op_sel_hi:[0,1]
	;; [unrolled: 1-line block ×4, first 2 shown]
	v_add_f32_e32 v17, v37, v46
	v_cndmask_b32_e32 v2, v30, v36, vcc
	v_pk_mul_f16 v33, v31, v33 op_sel_hi:[0,1]
	v_pk_mul_f16 v12, v31, v12 op_sel_hi:[0,1]
	;; [unrolled: 1-line block ×4, first 2 shown]
	v_exp_f32_e32 v17, v17
	v_cvt_i32_f32_e32 v31, v47
	v_cvt_f16_f32_e32 v35, v2
	v_cvt_f16_f32_e32 v36, v3
	v_cmp_ngt_f32_e32 vcc, s0, v25
	v_ldexp_f32 v17, v17, v31
	v_mul_f32_e32 v31, 0x3fb8aa3b, v24
	v_pk_mul_f16 v32, v35, v32 op_sel_hi:[0,1]
	v_pk_mul_f16 v8, v35, v8 op_sel_hi:[0,1]
	;; [unrolled: 1-line block ×8, first 2 shown]
	v_fma_f32 v35, v24, s2, -v31
	v_rndne_f32_e32 v36, v31
	v_fmac_f32_e32 v35, 0x32a5705f, v24
	v_sub_f32_e32 v31, v31, v36
	v_add_f32_e32 v31, v31, v35
	v_exp_f32_e32 v31, v31
	v_cvt_i32_f32_e32 v35, v36
	v_pk_add_f32 v[22:23], v[22:23], v[26:27] neg_lo:[0,1] neg_hi:[0,1]
	v_cndmask_b32_e32 v17, 0, v17, vcc
	v_cmp_nlt_f32_e32 vcc, s1, v25
	v_cndmask_b32_e32 v25, v30, v17, vcc
	v_ldexp_f32 v17, v31, v35
	v_mul_f32_e32 v31, 0x3fb8aa3b, v23
	v_fma_f32 v35, v23, s2, -v31
	v_rndne_f32_e32 v36, v31
	v_fmac_f32_e32 v35, 0x32a5705f, v23
	v_sub_f32_e32 v31, v31, v36
	v_add_f32_e32 v31, v31, v35
	v_exp_f32_e32 v31, v31
	v_cvt_i32_f32_e32 v35, v36
	v_cmp_ngt_f32_e32 vcc, s0, v24
	v_cndmask_b32_e32 v17, 0, v17, vcc
	v_cmp_nlt_f32_e32 vcc, s1, v24
	v_cndmask_b32_e32 v24, v30, v17, vcc
	v_ldexp_f32 v17, v31, v35
	v_mul_f32_e32 v31, 0x3fb8aa3b, v22
	v_fma_f32 v35, v22, s2, -v31
	v_rndne_f32_e32 v36, v31
	v_fmac_f32_e32 v35, 0x32a5705f, v22
	v_sub_f32_e32 v31, v31, v36
	v_add_f32_e32 v31, v31, v35
	v_exp_f32_e32 v31, v31
	v_cvt_i32_f32_e32 v35, v36
	v_cmp_ngt_f32_e32 vcc, s0, v23
	v_cndmask_b32_e32 v17, 0, v17, vcc
	v_cmp_nlt_f32_e32 vcc, s1, v23
	v_cndmask_b32_e32 v23, v30, v17, vcc
	v_ldexp_f32 v17, v31, v35
	v_cmp_ngt_f32_e32 vcc, s0, v22
	v_cndmask_b32_e32 v17, 0, v17, vcc
	v_cmp_nlt_f32_e32 vcc, s1, v22
	v_cndmask_b32_e32 v22, v30, v17, vcc
	v_pk_fma_f32 v[18:19], v[18:19], v[2:3], v[24:25]
	v_pk_fma_f32 v[20:21], v[20:21], v[0:1], v[22:23]
	v_pk_mov_b32 v[0:1], v[26:27], v[26:27] op_sel:[0,1]
	v_pk_mov_b32 v[2:3], v[28:29], v[28:29] op_sel:[0,1]
.LBB0_12:
	v_cmp_gt_i32_e32 vcc, s30, v116
	s_and_saveexec_b64 s[0:1], vcc
	s_cbranch_execz .LBB0_29
; %bb.13:
	s_load_dword s6, s[4:5], 0xd4
	v_mov_b32_e32 v24, 1.0
	s_waitcnt lgkmcnt(0)
	s_cmp_lg_u32 s6, 1
	s_cselect_b64 s[0:1], -1, 0
	s_cmp_eq_u32 s6, 1
	s_cselect_b64 s[4:5], -1, 0
	s_and_b64 vcc, exec, s[0:1]
	s_cbranch_vccnz .LBB0_15
; %bb.14:
	v_div_scale_f32 v17, s[2:3], v20, v20, 1.0
	v_rcp_f32_e32 v22, v17
	v_div_scale_f32 v23, vcc, 1.0, v20, 1.0
	v_fma_f32 v24, -v17, v22, 1.0
	v_fmac_f32_e32 v22, v24, v22
	v_mul_f32_e32 v24, v23, v22
	v_fma_f32 v25, -v17, v24, v23
	v_fmac_f32_e32 v24, v25, v22
	v_fma_f32 v17, -v17, v24, v23
	v_div_fmas_f32 v17, v17, v22, v24
	v_div_fixup_f32 v24, v17, v20, 1.0
.LBB0_15:
	s_mul_i32 s33, s33, s30
	v_add_u32_e32 v17, s33, v116
	v_mul_lo_u32 v17, v17, s31
	v_add3_u32 v17, s35, v117, v17
	v_mul_lo_u32 v17, s6, v17
	v_add_u32_e32 v22, s7, v17
	v_cvt_f32_f16_sdwa v29, v34 dst_sel:DWORD dst_unused:UNUSED_PAD src0_sel:WORD_1
	v_cvt_f32_f16_e32 v28, v34
	v_cvt_f32_f16_sdwa v17, v16 dst_sel:DWORD dst_unused:UNUSED_PAD src0_sel:WORD_1
	v_cvt_f32_f16_e32 v16, v16
	v_lshl_add_u32 v30, v22, 8, v101
	v_mov_b32_e32 v31, 0
	v_cmp_eq_u32_e32 vcc, 0, v100
	v_lshlrev_b64 v[26:27], 2, v[30:31]
	s_and_b64 s[2:3], vcc, s[0:1]
	v_mov_b32_e32 v23, s25
	v_add_co_u32_e32 v34, vcc, s24, v26
	v_addc_co_u32_e32 v35, vcc, v23, v27, vcc
	v_pk_mul_f32 v[26:27], v[24:25], v[28:29] op_sel_hi:[0,1]
	v_pk_mul_f32 v[28:29], v[24:25], v[16:17] op_sel_hi:[0,1]
	global_store_dwordx4 v[34:35], v[26:29], off
	v_add_u32_e32 v30, 0x80, v30
	v_cvt_f32_f16_sdwa v27, v15 dst_sel:DWORD dst_unused:UNUSED_PAD src0_sel:WORD_1
	v_cvt_f32_f16_e32 v26, v15
	v_cvt_f32_f16_sdwa v29, v14 dst_sel:DWORD dst_unused:UNUSED_PAD src0_sel:WORD_1
	v_cvt_f32_f16_e32 v28, v14
	v_lshlrev_b64 v[16:17], 2, v[30:31]
	v_add_co_u32_e32 v30, vcc, s24, v16
	v_addc_co_u32_e32 v31, vcc, v23, v17, vcc
	v_pk_mul_f32 v[14:15], v[24:25], v[26:27] op_sel_hi:[0,1]
	v_pk_mul_f32 v[16:17], v[24:25], v[28:29] op_sel_hi:[0,1]
	global_store_dwordx4 v[30:31], v[14:17], off
	s_and_saveexec_b64 s[0:1], s[2:3]
	s_cbranch_execz .LBB0_17
; %bb.16:
	v_ashrrev_i32_e32 v23, 31, v22
	v_lshlrev_b64 v[14:15], 3, v[22:23]
	v_mov_b32_e32 v16, s27
	v_add_co_u32_e32 v14, vcc, s26, v14
	v_addc_co_u32_e32 v15, vcc, v16, v15, vcc
	v_mov_b32_e32 v16, v0
	v_mov_b32_e32 v17, v20
	global_store_dwordx2 v[14:15], v[16:17], off
.LBB0_17:
	s_or_b64 exec, exec, s[0:1]
	v_cndmask_b32_e64 v0, 0, 1, s[4:5]
	v_cmp_ne_u32_e64 s[0:1], 1, v0
	s_andn2_b64 vcc, exec, s[4:5]
	v_mov_b32_e32 v0, 1.0
	s_cbranch_vccnz .LBB0_19
; %bb.18:
	v_div_scale_f32 v0, s[4:5], v21, v21, 1.0
	v_rcp_f32_e32 v14, v0
	v_div_scale_f32 v15, vcc, 1.0, v21, 1.0
	v_fma_f32 v16, -v0, v14, 1.0
	v_fmac_f32_e32 v14, v16, v14
	v_mul_f32_e32 v16, v15, v14
	v_fma_f32 v17, -v0, v16, v15
	v_fmac_f32_e32 v16, v17, v14
	v_fma_f32 v0, -v0, v16, v15
	v_div_fmas_f32 v0, v0, v14, v16
	v_div_fixup_f32 v0, v0, v21, 1.0
.LBB0_19:
	v_add_u32_e32 v14, s6, v22
	v_cvt_f32_f16_sdwa v25, v33 dst_sel:DWORD dst_unused:UNUSED_PAD src0_sel:WORD_1
	v_cvt_f32_f16_e32 v24, v33
	v_cvt_f32_f16_sdwa v27, v12 dst_sel:DWORD dst_unused:UNUSED_PAD src0_sel:WORD_1
	v_cvt_f32_f16_e32 v26, v12
	v_lshl_add_u32 v16, v14, 8, v101
	v_mov_b32_e32 v17, 0
	v_lshlrev_b64 v[22:23], 2, v[16:17]
	v_mov_b32_e32 v15, s25
	v_add_co_u32_e32 v28, vcc, s24, v22
	v_addc_co_u32_e32 v29, vcc, v15, v23, vcc
	v_pk_mul_f32 v[22:23], v[0:1], v[24:25] op_sel_hi:[0,1]
	v_pk_mul_f32 v[24:25], v[0:1], v[26:27] op_sel_hi:[0,1]
	global_store_dwordx4 v[28:29], v[22:25], off
	v_cvt_f32_f16_e32 v12, v10
	v_cvt_f32_f16_sdwa v23, v13 dst_sel:DWORD dst_unused:UNUSED_PAD src0_sel:WORD_1
	v_cvt_f32_f16_e32 v22, v13
	v_cvt_f32_f16_sdwa v13, v10 dst_sel:DWORD dst_unused:UNUSED_PAD src0_sel:WORD_1
	v_add_u32_e32 v16, 0x80, v16
	v_lshlrev_b64 v[16:17], 2, v[16:17]
	v_add_co_u32_e32 v16, vcc, s24, v16
	v_addc_co_u32_e32 v17, vcc, v15, v17, vcc
	v_pk_mul_f32 v[22:23], v[0:1], v[22:23] op_sel_hi:[0,1]
	v_pk_mul_f32 v[24:25], v[0:1], v[12:13] op_sel_hi:[0,1]
	global_store_dwordx4 v[16:17], v[22:25], off
	s_and_saveexec_b64 s[4:5], s[2:3]
	s_cbranch_execz .LBB0_21
; %bb.20:
	v_ashrrev_i32_e32 v15, 31, v14
	v_lshlrev_b64 v[12:13], 3, v[14:15]
	v_mov_b32_e32 v0, s27
	v_add_co_u32_e32 v12, vcc, s26, v12
	v_addc_co_u32_e32 v13, vcc, v0, v13, vcc
	v_mov_b32_e32 v20, v1
	global_store_dwordx2 v[12:13], v[20:21], off
.LBB0_21:
	s_or_b64 exec, exec, s[4:5]
	s_and_b64 vcc, exec, s[0:1]
	v_mov_b32_e32 v10, 1.0
	s_cbranch_vccnz .LBB0_23
; %bb.22:
	v_div_scale_f32 v0, s[4:5], v18, v18, 1.0
	v_rcp_f32_e32 v1, v0
	v_div_scale_f32 v10, vcc, 1.0, v18, 1.0
	v_fma_f32 v12, -v0, v1, 1.0
	v_fmac_f32_e32 v1, v12, v1
	v_mul_f32_e32 v12, v10, v1
	v_fma_f32 v13, -v0, v12, v10
	v_fmac_f32_e32 v12, v13, v1
	v_fma_f32 v0, -v0, v12, v10
	v_div_fmas_f32 v0, v0, v1, v12
	v_div_fixup_f32 v10, v0, v18, 1.0
.LBB0_23:
	v_add_u32_e32 v0, s6, v14
	v_cvt_f32_f16_sdwa v15, v32 dst_sel:DWORD dst_unused:UNUSED_PAD src0_sel:WORD_1
	v_cvt_f32_f16_e32 v14, v32
	v_cvt_f32_f16_sdwa v21, v8 dst_sel:DWORD dst_unused:UNUSED_PAD src0_sel:WORD_1
	v_cvt_f32_f16_e32 v20, v8
	v_lshl_add_u32 v16, v0, 8, v101
	v_mov_b32_e32 v17, 0
	v_lshlrev_b64 v[12:13], 2, v[16:17]
	v_mov_b32_e32 v1, s25
	v_add_co_u32_e32 v22, vcc, s24, v12
	v_addc_co_u32_e32 v23, vcc, v1, v13, vcc
	v_pk_mul_f32 v[12:13], v[10:11], v[14:15] op_sel_hi:[0,1]
	v_pk_mul_f32 v[14:15], v[10:11], v[20:21] op_sel_hi:[0,1]
	v_add_u32_e32 v16, 0x80, v16
	global_store_dwordx4 v[22:23], v[12:15], off
	s_nop 0
	v_lshlrev_b64 v[12:13], 2, v[16:17]
	v_cvt_f32_f16_sdwa v15, v11 dst_sel:DWORD dst_unused:UNUSED_PAD src0_sel:WORD_1
	v_cvt_f32_f16_e32 v14, v11
	v_cvt_f32_f16_sdwa v17, v6 dst_sel:DWORD dst_unused:UNUSED_PAD src0_sel:WORD_1
	v_cvt_f32_f16_e32 v16, v6
	v_add_co_u32_e32 v20, vcc, s24, v12
	v_addc_co_u32_e32 v21, vcc, v1, v13, vcc
	v_pk_mul_f32 v[12:13], v[10:11], v[14:15] op_sel_hi:[0,1]
	v_pk_mul_f32 v[14:15], v[10:11], v[16:17] op_sel_hi:[0,1]
	global_store_dwordx4 v[20:21], v[12:15], off
	s_and_saveexec_b64 s[4:5], s[2:3]
	s_cbranch_execz .LBB0_25
; %bb.24:
	v_ashrrev_i32_e32 v1, 31, v0
	v_lshlrev_b64 v[10:11], 3, v[0:1]
	v_mov_b32_e32 v1, s27
	v_add_co_u32_e32 v10, vcc, s26, v10
	v_addc_co_u32_e32 v11, vcc, v1, v11, vcc
	v_mov_b32_e32 v12, v2
	v_mov_b32_e32 v13, v18
	global_store_dwordx2 v[10:11], v[12:13], off
.LBB0_25:
	s_or_b64 exec, exec, s[4:5]
	s_and_b64 vcc, exec, s[0:1]
	v_mov_b32_e32 v2, 1.0
	s_cbranch_vccnz .LBB0_27
; %bb.26:
	v_div_scale_f32 v1, s[0:1], v19, v19, 1.0
	v_rcp_f32_e32 v2, v1
	v_div_scale_f32 v6, vcc, 1.0, v19, 1.0
	v_fma_f32 v8, -v1, v2, 1.0
	v_fmac_f32_e32 v2, v8, v2
	v_mul_f32_e32 v8, v6, v2
	v_fma_f32 v10, -v1, v8, v6
	v_fmac_f32_e32 v8, v10, v2
	v_fma_f32 v1, -v1, v8, v6
	v_div_fmas_f32 v1, v1, v2, v8
	v_div_fixup_f32 v2, v1, v19, 1.0
.LBB0_27:
	v_add_u32_e32 v0, s6, v0
	v_cvt_f32_f16_sdwa v15, v9 dst_sel:DWORD dst_unused:UNUSED_PAD src0_sel:WORD_1
	v_cvt_f32_f16_e32 v14, v9
	v_cvt_f32_f16_sdwa v17, v4 dst_sel:DWORD dst_unused:UNUSED_PAD src0_sel:WORD_1
	v_cvt_f32_f16_e32 v16, v4
	v_lshl_add_u32 v12, v0, 8, v101
	v_mov_b32_e32 v13, 0
	v_lshlrev_b64 v[10:11], 2, v[12:13]
	v_mov_b32_e32 v1, s25
	v_add_co_u32_e32 v20, vcc, s24, v10
	v_addc_co_u32_e32 v21, vcc, v1, v11, vcc
	v_pk_mul_f32 v[8:9], v[2:3], v[14:15] op_sel_hi:[0,1]
	v_pk_mul_f32 v[10:11], v[2:3], v[16:17] op_sel_hi:[0,1]
	global_store_dwordx4 v[20:21], v[8:11], off
	v_cvt_f32_f16_e32 v6, v5
	v_cvt_f32_f16_sdwa v11, v7 dst_sel:DWORD dst_unused:UNUSED_PAD src0_sel:WORD_1
	v_cvt_f32_f16_e32 v10, v7
	v_cvt_f32_f16_sdwa v7, v5 dst_sel:DWORD dst_unused:UNUSED_PAD src0_sel:WORD_1
	v_add_u32_e32 v12, 0x80, v12
	v_lshlrev_b64 v[8:9], 2, v[12:13]
	v_add_co_u32_e32 v8, vcc, s24, v8
	v_addc_co_u32_e32 v9, vcc, v1, v9, vcc
	v_pk_mul_f32 v[4:5], v[2:3], v[10:11] op_sel_hi:[0,1]
	v_pk_mul_f32 v[6:7], v[2:3], v[6:7] op_sel_hi:[0,1]
	global_store_dwordx4 v[8:9], v[4:7], off
	s_and_b64 exec, exec, s[2:3]
	s_cbranch_execz .LBB0_29
; %bb.28:
	v_ashrrev_i32_e32 v1, 31, v0
	v_lshlrev_b64 v[0:1], 3, v[0:1]
	v_mov_b32_e32 v2, s27
	v_add_co_u32_e32 v0, vcc, s26, v0
	v_addc_co_u32_e32 v1, vcc, v2, v1, vcc
	v_mov_b32_e32 v18, v3
	global_store_dwordx2 v[0:1], v[18:19], off
.LBB0_29:
	s_endpgm
	.section	.rodata,"a",@progbits
	.p2align	6, 0x0
	.amdhsa_kernel _ZL15flash_attn_tileILi256ELi256ELi4ELi8ELb0EEvPKcS1_S1_S1_S1_PKiPfP15HIP_vector_typeIfLj2EEffffjfiS5_IjLj3EEiiiiiiiiiiiliiliiiiil
		.amdhsa_group_segment_fixed_size 27136
		.amdhsa_private_segment_fixed_size 0
		.amdhsa_kernarg_size 464
		.amdhsa_user_sgpr_count 6
		.amdhsa_user_sgpr_private_segment_buffer 1
		.amdhsa_user_sgpr_dispatch_ptr 0
		.amdhsa_user_sgpr_queue_ptr 0
		.amdhsa_user_sgpr_kernarg_segment_ptr 1
		.amdhsa_user_sgpr_dispatch_id 0
		.amdhsa_user_sgpr_flat_scratch_init 0
		.amdhsa_user_sgpr_kernarg_preload_length 0
		.amdhsa_user_sgpr_kernarg_preload_offset 0
		.amdhsa_user_sgpr_private_segment_size 0
		.amdhsa_uses_dynamic_stack 0
		.amdhsa_system_sgpr_private_segment_wavefront_offset 0
		.amdhsa_system_sgpr_workgroup_id_x 1
		.amdhsa_system_sgpr_workgroup_id_y 1
		.amdhsa_system_sgpr_workgroup_id_z 1
		.amdhsa_system_sgpr_workgroup_info 0
		.amdhsa_system_vgpr_workitem_id 1
		.amdhsa_next_free_vgpr 171
		.amdhsa_next_free_sgpr 43
		.amdhsa_accum_offset 172
		.amdhsa_reserve_vcc 1
		.amdhsa_reserve_flat_scratch 0
		.amdhsa_float_round_mode_32 0
		.amdhsa_float_round_mode_16_64 0
		.amdhsa_float_denorm_mode_32 3
		.amdhsa_float_denorm_mode_16_64 3
		.amdhsa_dx10_clamp 1
		.amdhsa_ieee_mode 1
		.amdhsa_fp16_overflow 0
		.amdhsa_tg_split 0
		.amdhsa_exception_fp_ieee_invalid_op 0
		.amdhsa_exception_fp_denorm_src 0
		.amdhsa_exception_fp_ieee_div_zero 0
		.amdhsa_exception_fp_ieee_overflow 0
		.amdhsa_exception_fp_ieee_underflow 0
		.amdhsa_exception_fp_ieee_inexact 0
		.amdhsa_exception_int_div_zero 0
	.end_amdhsa_kernel
	.section	.text._ZL15flash_attn_tileILi256ELi256ELi4ELi8ELb0EEvPKcS1_S1_S1_S1_PKiPfP15HIP_vector_typeIfLj2EEffffjfiS5_IjLj3EEiiiiiiiiiiiliiliiiiil,"axG",@progbits,_ZL15flash_attn_tileILi256ELi256ELi4ELi8ELb0EEvPKcS1_S1_S1_S1_PKiPfP15HIP_vector_typeIfLj2EEffffjfiS5_IjLj3EEiiiiiiiiiiiliiliiiiil,comdat
.Lfunc_end0:
	.size	_ZL15flash_attn_tileILi256ELi256ELi4ELi8ELb0EEvPKcS1_S1_S1_S1_PKiPfP15HIP_vector_typeIfLj2EEffffjfiS5_IjLj3EEiiiiiiiiiiiliiliiiiil, .Lfunc_end0-_ZL15flash_attn_tileILi256ELi256ELi4ELi8ELb0EEvPKcS1_S1_S1_S1_PKiPfP15HIP_vector_typeIfLj2EEffffjfiS5_IjLj3EEiiiiiiiiiiiliiliiiiil
                                        ; -- End function
	.section	.AMDGPU.csdata,"",@progbits
; Kernel info:
; codeLenInByte = 17156
; NumSgprs: 47
; NumVgprs: 171
; NumAgprs: 0
; TotalNumVgprs: 171
; ScratchSize: 0
; MemoryBound: 0
; FloatMode: 240
; IeeeMode: 1
; LDSByteSize: 27136 bytes/workgroup (compile time only)
; SGPRBlocks: 5
; VGPRBlocks: 21
; NumSGPRsForWavesPerEU: 47
; NumVGPRsForWavesPerEU: 171
; AccumOffset: 172
; Occupancy: 2
; WaveLimiterHint : 1
; COMPUTE_PGM_RSRC2:SCRATCH_EN: 0
; COMPUTE_PGM_RSRC2:USER_SGPR: 6
; COMPUTE_PGM_RSRC2:TRAP_HANDLER: 0
; COMPUTE_PGM_RSRC2:TGID_X_EN: 1
; COMPUTE_PGM_RSRC2:TGID_Y_EN: 1
; COMPUTE_PGM_RSRC2:TGID_Z_EN: 1
; COMPUTE_PGM_RSRC2:TIDIG_COMP_CNT: 1
; COMPUTE_PGM_RSRC3_GFX90A:ACCUM_OFFSET: 42
; COMPUTE_PGM_RSRC3_GFX90A:TG_SPLIT: 0
	.section	.text._ZL25flash_attn_mask_to_KV_maxILi4EEvPK7__half2Piiii,"axG",@progbits,_ZL25flash_attn_mask_to_KV_maxILi4EEvPK7__half2Piiii,comdat
	.globl	_ZL25flash_attn_mask_to_KV_maxILi4EEvPK7__half2Piiii ; -- Begin function _ZL25flash_attn_mask_to_KV_maxILi4EEvPK7__half2Piiii
	.p2align	8
	.type	_ZL25flash_attn_mask_to_KV_maxILi4EEvPK7__half2Piiii,@function
_ZL25flash_attn_mask_to_KV_maxILi4EEvPK7__half2Piiii: ; @_ZL25flash_attn_mask_to_KV_maxILi4EEvPK7__half2Piiii
; %bb.0:
	s_load_dwordx4 s[8:11], s[4:5], 0x0
	v_cmp_gt_u32_e32 vcc, 32, v0
	s_and_saveexec_b64 s[0:1], vcc
	s_cbranch_execz .LBB1_2
; %bb.1:
	v_lshlrev_b32_e32 v1, 2, v0
	v_mov_b32_e32 v2, 1
	ds_write_b32 v1, v2
.LBB1_2:
	s_or_b64 exec, exec, s[0:1]
	s_load_dwordx4 s[12:15], s[4:5], 0x10
	s_load_dword s24, s[4:5], 0x20
	v_and_b32_e32 v2, 31, v0
	v_lshlrev_b32_e32 v6, 2, v2
	v_lshrrev_b32_e32 v1, 3, v0
	s_waitcnt lgkmcnt(0)
	s_mul_i32 s1, s6, s13
	s_mul_i32 s0, s7, s14
	s_lshl_b32 s1, s1, 2
	s_add_i32 s0, s0, s1
	s_ashr_i32 s1, s0, 31
	s_lshl_b64 s[0:1], s[0:1], 2
	s_add_u32 s25, s8, s0
	s_addc_u32 s26, s9, s1
	v_cmp_eq_u32_e64 s[0:1], 0, v2
	v_mbcnt_lo_u32_b32 v2, -1, 0
	v_mbcnt_hi_u32_b32 v7, -1, v2
	v_and_b32_e32 v2, 0x60, v7
	s_lshl_b32 s12, s12, 8
	s_mov_b64 s[4:5], 0
	v_mov_b32_e32 v3, 0
	s_movk_i32 s27, 0x204
	s_movk_i32 s28, 0x7fff
	;; [unrolled: 1-line block ×3, first 2 shown]
	v_add_u32_e32 v8, 32, v2
	v_xor_b32_e32 v9, 16, v7
	v_xor_b32_e32 v10, 8, v7
	;; [unrolled: 1-line block ×5, first 2 shown]
	s_barrier
	s_waitcnt lgkmcnt(0)
                                        ; implicit-def: $sgpr2_sgpr3
	s_branch .LBB1_5
.LBB1_3:                                ;   in Loop: Header=BB1_5 Depth=1
	s_or_b64 exec, exec, s[8:9]
	s_waitcnt lgkmcnt(0)
	s_barrier
	ds_read_b32 v16, v6
	s_waitcnt lgkmcnt(0)
	s_barrier
	ds_bpermute_b32 v2, v2, v16
	v_cmp_ne_u32_e32 vcc, 0, v16
	s_waitcnt lgkmcnt(0)
	v_cmp_ne_u32_e64 s[2:3], 0, v2
	s_and_b64 s[2:3], vcc, s[2:3]
	v_cndmask_b32_e64 v2, 0, 1, s[2:3]
	ds_bpermute_b32 v2, v4, v2
	s_waitcnt lgkmcnt(0)
	v_cmp_ne_u32_e32 vcc, 0, v2
	s_and_b64 s[2:3], vcc, s[2:3]
	v_cndmask_b32_e64 v2, 0, 1, s[2:3]
	ds_bpermute_b32 v2, v5, v2
	s_waitcnt lgkmcnt(0)
	v_cmp_ne_u32_e32 vcc, 0, v2
	;; [unrolled: 5-line block ×3, first 2 shown]
	s_and_b64 s[2:3], vcc, s[2:3]
	v_cndmask_b32_e64 v2, 0, 1, s[2:3]
	ds_bpermute_b32 v2, v15, v2
	s_xor_b64 s[2:3], s[2:3], -1
	s_waitcnt lgkmcnt(0)
	v_cmp_eq_u32_e32 vcc, 0, v2
	s_or_b64 s[2:3], vcc, s[2:3]
.LBB1_4:                                ;   in Loop: Header=BB1_5 Depth=1
	s_and_b64 s[8:9], exec, s[2:3]
	s_or_b64 s[4:5], s[8:9], s[4:5]
	v_mov_b32_e32 v2, s12
	s_mov_b32 s12, s30
	s_andn2_b64 exec, exec, s[4:5]
	s_cbranch_execz .LBB1_20
.LBB1_5:                                ; =>This Inner Loop Header: Depth=1
	s_add_i32 s30, s12, 0xffffff00
	s_or_b64 s[2:3], s[2:3], exec
	s_cmp_lt_i32 s30, 0
	s_cbranch_scc1 .LBB1_4
; %bb.6:                                ;   in Loop: Header=BB1_5 Depth=1
	s_lshr_b32 s2, s30, 1
	v_add_u32_e32 v2, s2, v0
	v_lshlrev_b64 v[4:5], 2, v[2:3]
	v_mov_b32_e32 v14, s26
	v_add_co_u32_e32 v4, vcc, s25, v4
	v_addc_co_u32_e32 v5, vcc, v14, v5, vcc
	global_load_dword v4, v[4:5], off
	s_mov_b64 s[8:9], 0
	s_waitcnt vmcnt(0)
	v_cmp_class_f16_e64 s[2:3], v4, s27
	v_and_b32_sdwa v4, s28, v4 dst_sel:DWORD dst_unused:UNUSED_PAD src0_sel:DWORD src1_sel:WORD_1
	v_cmp_eq_f16_e32 vcc, s29, v4
	s_and_b64 s[14:15], s[2:3], vcc
	s_and_saveexec_b64 s[2:3], s[14:15]
	s_cbranch_execz .LBB1_18
; %bb.7:                                ;   in Loop: Header=BB1_5 Depth=1
	v_add_u32_e32 v4, s13, v2
	v_ashrrev_i32_e32 v5, 31, v4
	v_lshlrev_b64 v[14:15], 2, v[4:5]
	v_mov_b32_e32 v2, s26
	v_add_co_u32_e32 v14, vcc, s25, v14
	v_addc_co_u32_e32 v15, vcc, v2, v15, vcc
	global_load_dword v2, v[14:15], off
	s_mov_b64 s[14:15], 0
	s_waitcnt vmcnt(0)
	v_cmp_class_f16_e64 s[16:17], v2, s27
	s_and_saveexec_b64 s[8:9], s[16:17]
	s_cbranch_execz .LBB1_17
; %bb.8:                                ;   in Loop: Header=BB1_5 Depth=1
	v_cmp_class_f16_sdwa s[18:19], v2, s27 src0_sel:WORD_1 src1_sel:DWORD
	s_mov_b64 s[16:17], 0
	s_and_saveexec_b64 s[14:15], s[18:19]
	s_cbranch_execz .LBB1_16
; %bb.9:                                ;   in Loop: Header=BB1_5 Depth=1
	v_add_u32_e32 v4, s13, v4
	v_ashrrev_i32_e32 v5, 31, v4
	v_lshlrev_b64 v[14:15], 2, v[4:5]
	v_mov_b32_e32 v2, s26
	v_add_co_u32_e32 v14, vcc, s25, v14
	v_addc_co_u32_e32 v15, vcc, v2, v15, vcc
	global_load_dword v2, v[14:15], off
	s_mov_b64 s[18:19], 0
	s_waitcnt vmcnt(0)
	v_cmp_class_f16_e64 s[20:21], v2, s27
	s_and_saveexec_b64 s[16:17], s[20:21]
	s_cbranch_execz .LBB1_15
; %bb.10:                               ;   in Loop: Header=BB1_5 Depth=1
	v_cmp_class_f16_sdwa s[22:23], v2, s27 src0_sel:WORD_1 src1_sel:DWORD
	s_mov_b64 s[20:21], 0
	s_and_saveexec_b64 s[18:19], s[22:23]
	s_cbranch_execz .LBB1_14
; %bb.11:                               ;   in Loop: Header=BB1_5 Depth=1
	v_add_u32_e32 v4, s13, v4
	v_ashrrev_i32_e32 v5, 31, v4
	v_lshlrev_b64 v[4:5], 2, v[4:5]
	v_mov_b32_e32 v2, s26
	v_add_co_u32_e32 v4, vcc, s25, v4
	v_addc_co_u32_e32 v5, vcc, v2, v5, vcc
	global_load_dword v2, v[4:5], off
	s_waitcnt vmcnt(0)
	v_cmp_class_f16_e64 s[34:35], v2, s27
	s_and_saveexec_b64 s[22:23], s[34:35]
; %bb.12:                               ;   in Loop: Header=BB1_5 Depth=1
	v_cmp_class_f16_sdwa s[20:21], v2, s27 src0_sel:WORD_1 src1_sel:DWORD
	s_and_b64 s[20:21], s[20:21], exec
; %bb.13:                               ;   in Loop: Header=BB1_5 Depth=1
	s_or_b64 exec, exec, s[22:23]
	s_and_b64 s[20:21], s[20:21], exec
.LBB1_14:                               ;   in Loop: Header=BB1_5 Depth=1
	s_or_b64 exec, exec, s[18:19]
	s_and_b64 s[18:19], s[20:21], exec
.LBB1_15:                               ;   in Loop: Header=BB1_5 Depth=1
	s_or_b64 exec, exec, s[16:17]
	s_and_b64 s[16:17], s[18:19], exec
.LBB1_16:                               ;   in Loop: Header=BB1_5 Depth=1
	s_or_b64 exec, exec, s[14:15]
	s_and_b64 s[14:15], s[16:17], exec
.LBB1_17:                               ;   in Loop: Header=BB1_5 Depth=1
	s_or_b64 exec, exec, s[8:9]
	s_and_b64 s[8:9], s[14:15], exec
.LBB1_18:                               ;   in Loop: Header=BB1_5 Depth=1
	s_or_b64 exec, exec, s[2:3]
	v_cmp_lt_i32_e32 vcc, v9, v8
	v_cndmask_b32_e32 v2, v7, v9, vcc
	v_cndmask_b32_e64 v4, 0, 1, s[8:9]
	v_lshlrev_b32_e32 v2, 2, v2
	ds_bpermute_b32 v4, v2, v4
	s_waitcnt lgkmcnt(0)
	v_cmp_ne_u32_e32 vcc, 0, v4
	s_and_b64 s[2:3], s[8:9], vcc
	v_cmp_lt_i32_e32 vcc, v10, v8
	v_cndmask_b32_e32 v4, v7, v10, vcc
	v_cndmask_b32_e64 v5, 0, 1, s[2:3]
	v_lshlrev_b32_e32 v4, 2, v4
	ds_bpermute_b32 v5, v4, v5
	s_waitcnt lgkmcnt(0)
	v_cmp_ne_u32_e32 vcc, 0, v5
	s_and_b64 s[2:3], vcc, s[2:3]
	v_cmp_lt_i32_e32 vcc, v11, v8
	v_cndmask_b32_e32 v5, v7, v11, vcc
	v_cndmask_b32_e64 v14, 0, 1, s[2:3]
	v_lshlrev_b32_e32 v5, 2, v5
	ds_bpermute_b32 v14, v5, v14
	s_waitcnt lgkmcnt(0)
	v_cmp_ne_u32_e32 vcc, 0, v14
	s_and_b64 s[2:3], vcc, s[2:3]
	;; [unrolled: 8-line block ×3, first 2 shown]
	v_cmp_lt_i32_e32 vcc, v13, v8
	v_cndmask_b32_e32 v15, v7, v13, vcc
	v_cndmask_b32_e64 v16, 0, 1, s[2:3]
	v_lshlrev_b32_e32 v15, 2, v15
	ds_bpermute_b32 v16, v15, v16
	s_and_saveexec_b64 s[8:9], s[0:1]
	s_cbranch_execz .LBB1_3
; %bb.19:                               ;   in Loop: Header=BB1_5 Depth=1
	s_waitcnt lgkmcnt(0)
	v_cmp_ne_u32_e32 vcc, 0, v16
	s_and_b64 s[2:3], vcc, s[2:3]
	v_cndmask_b32_e64 v16, 0, 1, s[2:3]
	ds_write_b32 v1, v16
	s_branch .LBB1_3
.LBB1_20:
	s_or_b64 exec, exec, s[4:5]
	v_cmp_eq_u32_e32 vcc, 0, v0
	s_and_saveexec_b64 s[0:1], vcc
	s_cbranch_execz .LBB1_22
; %bb.21:
	s_mul_i32 s0, s24, s7
	s_add_i32 s0, s0, s6
	s_ashr_i32 s1, s0, 31
	s_lshl_b64 s[0:1], s[0:1], 2
	s_add_u32 s0, s10, s0
	s_addc_u32 s1, s11, s1
	v_mov_b32_e32 v0, 0
	global_store_dword v0, v2, s[0:1]
.LBB1_22:
	s_endpgm
	.section	.rodata,"a",@progbits
	.p2align	6, 0x0
	.amdhsa_kernel _ZL25flash_attn_mask_to_KV_maxILi4EEvPK7__half2Piiii
		.amdhsa_group_segment_fixed_size 128
		.amdhsa_private_segment_fixed_size 0
		.amdhsa_kernarg_size 288
		.amdhsa_user_sgpr_count 6
		.amdhsa_user_sgpr_private_segment_buffer 1
		.amdhsa_user_sgpr_dispatch_ptr 0
		.amdhsa_user_sgpr_queue_ptr 0
		.amdhsa_user_sgpr_kernarg_segment_ptr 1
		.amdhsa_user_sgpr_dispatch_id 0
		.amdhsa_user_sgpr_flat_scratch_init 0
		.amdhsa_user_sgpr_kernarg_preload_length 0
		.amdhsa_user_sgpr_kernarg_preload_offset 0
		.amdhsa_user_sgpr_private_segment_size 0
		.amdhsa_uses_dynamic_stack 0
		.amdhsa_system_sgpr_private_segment_wavefront_offset 0
		.amdhsa_system_sgpr_workgroup_id_x 1
		.amdhsa_system_sgpr_workgroup_id_y 1
		.amdhsa_system_sgpr_workgroup_id_z 0
		.amdhsa_system_sgpr_workgroup_info 0
		.amdhsa_system_vgpr_workitem_id 0
		.amdhsa_next_free_vgpr 17
		.amdhsa_next_free_sgpr 36
		.amdhsa_accum_offset 20
		.amdhsa_reserve_vcc 1
		.amdhsa_reserve_flat_scratch 0
		.amdhsa_float_round_mode_32 0
		.amdhsa_float_round_mode_16_64 0
		.amdhsa_float_denorm_mode_32 3
		.amdhsa_float_denorm_mode_16_64 3
		.amdhsa_dx10_clamp 1
		.amdhsa_ieee_mode 1
		.amdhsa_fp16_overflow 0
		.amdhsa_tg_split 0
		.amdhsa_exception_fp_ieee_invalid_op 0
		.amdhsa_exception_fp_denorm_src 0
		.amdhsa_exception_fp_ieee_div_zero 0
		.amdhsa_exception_fp_ieee_overflow 0
		.amdhsa_exception_fp_ieee_underflow 0
		.amdhsa_exception_fp_ieee_inexact 0
		.amdhsa_exception_int_div_zero 0
	.end_amdhsa_kernel
	.section	.text._ZL25flash_attn_mask_to_KV_maxILi4EEvPK7__half2Piiii,"axG",@progbits,_ZL25flash_attn_mask_to_KV_maxILi4EEvPK7__half2Piiii,comdat
.Lfunc_end1:
	.size	_ZL25flash_attn_mask_to_KV_maxILi4EEvPK7__half2Piiii, .Lfunc_end1-_ZL25flash_attn_mask_to_KV_maxILi4EEvPK7__half2Piiii
                                        ; -- End function
	.section	.AMDGPU.csdata,"",@progbits
; Kernel info:
; codeLenInByte = 1040
; NumSgprs: 40
; NumVgprs: 17
; NumAgprs: 0
; TotalNumVgprs: 17
; ScratchSize: 0
; MemoryBound: 0
; FloatMode: 240
; IeeeMode: 1
; LDSByteSize: 128 bytes/workgroup (compile time only)
; SGPRBlocks: 4
; VGPRBlocks: 2
; NumSGPRsForWavesPerEU: 40
; NumVGPRsForWavesPerEU: 17
; AccumOffset: 20
; Occupancy: 8
; WaveLimiterHint : 0
; COMPUTE_PGM_RSRC2:SCRATCH_EN: 0
; COMPUTE_PGM_RSRC2:USER_SGPR: 6
; COMPUTE_PGM_RSRC2:TRAP_HANDLER: 0
; COMPUTE_PGM_RSRC2:TGID_X_EN: 1
; COMPUTE_PGM_RSRC2:TGID_Y_EN: 1
; COMPUTE_PGM_RSRC2:TGID_Z_EN: 0
; COMPUTE_PGM_RSRC2:TIDIG_COMP_CNT: 0
; COMPUTE_PGM_RSRC3_GFX90A:ACCUM_OFFSET: 4
; COMPUTE_PGM_RSRC3_GFX90A:TG_SPLIT: 0
	.section	.text._ZL33flash_attn_stream_k_fixup_uniformILi256ELi4ELi8EEvPfPK15HIP_vector_typeIfLj2EEiiiiiiS1_IjLj3EES5_S5_,"axG",@progbits,_ZL33flash_attn_stream_k_fixup_uniformILi256ELi4ELi8EEvPfPK15HIP_vector_typeIfLj2EEiiiiiiS1_IjLj3EES5_S5_,comdat
	.globl	_ZL33flash_attn_stream_k_fixup_uniformILi256ELi4ELi8EEvPfPK15HIP_vector_typeIfLj2EEiiiiiiS1_IjLj3EES5_S5_ ; -- Begin function _ZL33flash_attn_stream_k_fixup_uniformILi256ELi4ELi8EEvPfPK15HIP_vector_typeIfLj2EEiiiiiiS1_IjLj3EES5_S5_
	.p2align	8
	.type	_ZL33flash_attn_stream_k_fixup_uniformILi256ELi4ELi8EEvPfPK15HIP_vector_typeIfLj2EEiiiiiiS1_IjLj3EES5_S5_,@function
_ZL33flash_attn_stream_k_fixup_uniformILi256ELi4ELi8EEvPfPK15HIP_vector_typeIfLj2EEiiiiiiS1_IjLj3EES5_S5_: ; @_ZL33flash_attn_stream_k_fixup_uniformILi256ELi4ELi8EEvPfPK15HIP_vector_typeIfLj2EEiiiiiiS1_IjLj3EES5_S5_
; %bb.0:
	s_load_dwordx8 s[12:19], s[4:5], 0x1c
	s_load_dwordx2 s[10:11], s[4:5], 0x10
	s_load_dwordx4 s[0:3], s[4:5], 0x3c
	s_waitcnt lgkmcnt(0)
	s_mul_hi_u32 s9, s15, s6
	s_add_i32 s9, s6, s9
	s_lshr_b32 s9, s9, s16
	s_mul_i32 s15, s9, s17
	s_sub_i32 s15, s6, s15
	s_mul_hi_u32 s16, s15, s18
	s_add_i32 s16, s15, s16
	s_lshr_b32 s16, s16, s19
	s_mul_i32 s0, s16, s0
	s_sub_i32 s0, s15, s0
	;; [unrolled: 5-line block ×3, first 2 shown]
	s_lshl_b32 s0, s17, 2
	s_lshl_b32 s15, s1, 3
	s_add_i32 s0, s0, s7
	s_cmp_lt_i32 s0, s10
	s_cselect_b64 s[0:1], -1, 0
	s_add_i32 s2, s15, s8
	s_cmp_lt_i32 s2, s13
	s_cselect_b64 s[2:3], -1, 0
	s_and_b64 s[0:1], s[0:1], s[2:3]
	s_andn2_b64 vcc, exec, s[0:1]
	s_cbranch_vccnz .LBB2_6
; %bb.1:
	s_load_dwordx4 s[0:3], s[4:5], 0x0
	s_mul_i32 s4, s9, s10
	s_add_i32 s4, s4, s7
	s_mul_i32 s4, s4, s11
	s_mul_i32 s16, s16, s13
	s_add_i32 s4, s4, s8
	s_add_i32 s4, s4, s16
	s_mul_i32 s5, s11, s17
	s_add_i32 s4, s4, s15
	s_lshl_b32 s5, s5, 10
	s_lshl_b32 s4, s4, 8
	s_add_i32 s5, s5, s4
	v_or_b32_e32 v2, s5, v0
	v_ashrrev_i32_e32 v3, 31, v2
	v_lshlrev_b64 v[2:3], 2, v[2:3]
	s_waitcnt lgkmcnt(0)
	v_mov_b32_e32 v1, s1
	v_add_co_u32_e32 v2, vcc, s0, v2
	v_addc_co_u32_e32 v3, vcc, v1, v3, vcc
	global_load_dword v8, v[2:3], off
	s_mul_i32 s9, s6, s14
	s_lshl_b32 s4, s7, 3
	s_add_i32 s11, s9, s14
	s_add_i32 s0, s4, s8
	s_lshl_b32 s1, s11, 5
	s_add_i32 s0, s0, s1
	s_sub_i32 s0, s0, 32
	s_ashr_i32 s1, s0, 31
	s_lshl_b64 s[0:1], s[0:1], 3
	s_add_u32 s0, s2, s0
	s_addc_u32 s1, s3, s1
	s_load_dword s5, s[0:1], 0x4
	s_add_i32 s10, s11, -2
	s_cmp_lt_i32 s10, s9
	s_cbranch_scc1 .LBB2_4
; %bb.2:
	s_lshl_b32 s16, s12, 7
	s_ashr_i32 s17, s16, 31
	s_lshl_b64 s[16:17], s[16:17], 2
	s_add_u32 s10, s2, s16
	s_addc_u32 s13, s3, s17
	s_add_i32 s6, s6, 1
	s_load_dword s0, s[0:1], 0x0
	s_mul_i32 s1, s14, s6
	s_lshl_b32 s7, s7, 11
	s_lshl_b32 s14, s8, 8
	;; [unrolled: 1-line block ×3, first 2 shown]
	s_add_i32 s7, s14, s7
	s_lshl_b32 s1, s1, 5
	s_add_i32 s7, s7, s6
	s_add_i32 s1, s8, s1
	s_lshl_b32 s6, s12, 5
	s_add_i32 s1, s1, s6
	v_or_b32_e32 v0, s7, v0
	s_add_i32 s1, s1, s4
	s_add_i32 s11, s11, -1
	v_add_u32_e32 v0, 0xffffc000, v0
	s_sub_i32 s4, s1, 64
	s_waitcnt lgkmcnt(0)
	v_mov_b32_e32 v7, s5
	v_mov_b32_e32 v6, s0
	;; [unrolled: 1-line block ×3, first 2 shown]
	s_mov_b32 s6, 0x3fb8aa3b
	s_mov_b32 s7, 0xc2ce8ed0
	;; [unrolled: 1-line block ×3, first 2 shown]
	v_mov_b32_e32 v5, 0x7f800000
	s_mov_b32 s12, 0xc1a00000
.LBB2_3:                                ; =>This Inner Loop Header: Depth=1
	v_ashrrev_i32_e32 v1, 31, v0
	v_lshlrev_b64 v[10:11], 2, v[0:1]
	v_add_co_u32_e32 v10, vcc, s10, v10
	v_addc_co_u32_e32 v11, vcc, v4, v11, vcc
	global_load_dword v1, v[10:11], off
	s_ashr_i32 s5, s4, 31
	s_lshl_b64 s[0:1], s[4:5], 3
	s_add_u32 s0, s2, s0
	s_addc_u32 s1, s3, s1
	s_load_dwordx2 s[14:15], s[0:1], 0x0
	s_waitcnt vmcnt(1)
	v_mov_b32_e32 v9, v8
	v_max_f32_e32 v8, v6, v6
	v_mov_b32_e32 v10, v7
	s_add_i32 s11, s11, -1
	s_waitcnt lgkmcnt(0)
	v_max_f32_e64 v7, s14, s14
	v_max_f32_e32 v7, v8, v7
	v_sub_f32_e32 v11, s14, v7
	v_sub_f32_e32 v8, v6, v7
	v_mul_f32_e32 v12, 0x3fb8aa3b, v11
	v_mov_b32_e32 v6, v7
	v_mul_f32_e32 v7, 0x3fb8aa3b, v8
	v_fma_f32 v15, v11, s6, -v12
	v_rndne_f32_e32 v16, v12
	v_fma_f32 v13, v8, s6, -v7
	v_rndne_f32_e32 v14, v7
	v_fmac_f32_e32 v15, 0x32a5705f, v11
	v_sub_f32_e32 v12, v12, v16
	v_fmac_f32_e32 v13, 0x32a5705f, v8
	v_sub_f32_e32 v7, v7, v14
	v_add_f32_e32 v12, v12, v15
	v_cvt_i32_f32_e32 v16, v16
	v_add_f32_e32 v7, v7, v13
	v_exp_f32_e32 v12, v12
	v_cvt_i32_f32_e32 v14, v14
	v_exp_f32_e32 v7, v7
	v_cmp_ngt_f32_e32 vcc, s7, v11
	v_ldexp_f32 v12, v12, v16
	v_cmp_ngt_f32_e64 s[0:1], s7, v8
	v_ldexp_f32 v7, v7, v14
	v_cndmask_b32_e32 v12, 0, v12, vcc
	v_cmp_nlt_f32_e32 vcc, s8, v11
	v_cndmask_b32_e64 v7, 0, v7, s[0:1]
	v_cmp_nlt_f32_e64 s[0:1], s8, v8
	v_cndmask_b32_e32 v12, v5, v12, vcc
	v_cmp_le_f32_e32 vcc, s12, v11
	v_cndmask_b32_e64 v7, v5, v7, s[0:1]
	v_cmp_le_f32_e64 s[0:1], s12, v8
	v_cndmask_b32_e32 v8, 0, v12, vcc
	s_sub_i32 s4, s4, 32
	v_cndmask_b32_e64 v11, 0, v7, s[0:1]
	v_mul_f32_e32 v7, s15, v8
	v_add_u32_e32 v0, 0xffffe000, v0
	s_cmp_le_i32 s11, s9
	v_fmac_f32_e32 v7, v10, v11
	s_waitcnt vmcnt(0)
	v_mul_f32_e32 v8, v1, v8
	v_fmac_f32_e32 v8, v9, v11
	s_cbranch_scc0 .LBB2_3
	s_branch .LBB2_5
.LBB2_4:
	s_waitcnt lgkmcnt(0)
	v_mov_b32_e32 v7, s5
.LBB2_5:
	s_waitcnt vmcnt(0)
	v_div_scale_f32 v0, s[0:1], v7, v7, v8
	v_rcp_f32_e32 v1, v0
	v_div_scale_f32 v4, vcc, v8, v7, v8
	v_fma_f32 v5, -v0, v1, 1.0
	v_fmac_f32_e32 v1, v5, v1
	v_mul_f32_e32 v5, v4, v1
	v_fma_f32 v6, -v0, v5, v4
	v_fmac_f32_e32 v5, v6, v1
	v_fma_f32 v0, -v0, v5, v4
	v_div_fmas_f32 v0, v0, v1, v5
	v_div_fixup_f32 v0, v0, v7, v8
	global_store_dword v[2:3], v0, off
.LBB2_6:
	s_endpgm
	.section	.rodata,"a",@progbits
	.p2align	6, 0x0
	.amdhsa_kernel _ZL33flash_attn_stream_k_fixup_uniformILi256ELi4ELi8EEvPfPK15HIP_vector_typeIfLj2EEiiiiiiS1_IjLj3EES5_S5_
		.amdhsa_group_segment_fixed_size 0
		.amdhsa_private_segment_fixed_size 0
		.amdhsa_kernarg_size 76
		.amdhsa_user_sgpr_count 6
		.amdhsa_user_sgpr_private_segment_buffer 1
		.amdhsa_user_sgpr_dispatch_ptr 0
		.amdhsa_user_sgpr_queue_ptr 0
		.amdhsa_user_sgpr_kernarg_segment_ptr 1
		.amdhsa_user_sgpr_dispatch_id 0
		.amdhsa_user_sgpr_flat_scratch_init 0
		.amdhsa_user_sgpr_kernarg_preload_length 0
		.amdhsa_user_sgpr_kernarg_preload_offset 0
		.amdhsa_user_sgpr_private_segment_size 0
		.amdhsa_uses_dynamic_stack 0
		.amdhsa_system_sgpr_private_segment_wavefront_offset 0
		.amdhsa_system_sgpr_workgroup_id_x 1
		.amdhsa_system_sgpr_workgroup_id_y 1
		.amdhsa_system_sgpr_workgroup_id_z 1
		.amdhsa_system_sgpr_workgroup_info 0
		.amdhsa_system_vgpr_workitem_id 0
		.amdhsa_next_free_vgpr 17
		.amdhsa_next_free_sgpr 20
		.amdhsa_accum_offset 20
		.amdhsa_reserve_vcc 1
		.amdhsa_reserve_flat_scratch 0
		.amdhsa_float_round_mode_32 0
		.amdhsa_float_round_mode_16_64 0
		.amdhsa_float_denorm_mode_32 3
		.amdhsa_float_denorm_mode_16_64 3
		.amdhsa_dx10_clamp 1
		.amdhsa_ieee_mode 1
		.amdhsa_fp16_overflow 0
		.amdhsa_tg_split 0
		.amdhsa_exception_fp_ieee_invalid_op 0
		.amdhsa_exception_fp_denorm_src 0
		.amdhsa_exception_fp_ieee_div_zero 0
		.amdhsa_exception_fp_ieee_overflow 0
		.amdhsa_exception_fp_ieee_underflow 0
		.amdhsa_exception_fp_ieee_inexact 0
		.amdhsa_exception_int_div_zero 0
	.end_amdhsa_kernel
	.section	.text._ZL33flash_attn_stream_k_fixup_uniformILi256ELi4ELi8EEvPfPK15HIP_vector_typeIfLj2EEiiiiiiS1_IjLj3EES5_S5_,"axG",@progbits,_ZL33flash_attn_stream_k_fixup_uniformILi256ELi4ELi8EEvPfPK15HIP_vector_typeIfLj2EEiiiiiiS1_IjLj3EES5_S5_,comdat
.Lfunc_end2:
	.size	_ZL33flash_attn_stream_k_fixup_uniformILi256ELi4ELi8EEvPfPK15HIP_vector_typeIfLj2EEiiiiiiS1_IjLj3EES5_S5_, .Lfunc_end2-_ZL33flash_attn_stream_k_fixup_uniformILi256ELi4ELi8EEvPfPK15HIP_vector_typeIfLj2EEiiiiiiS1_IjLj3EES5_S5_
                                        ; -- End function
	.section	.AMDGPU.csdata,"",@progbits
; Kernel info:
; codeLenInByte = 856
; NumSgprs: 24
; NumVgprs: 17
; NumAgprs: 0
; TotalNumVgprs: 17
; ScratchSize: 0
; MemoryBound: 0
; FloatMode: 240
; IeeeMode: 1
; LDSByteSize: 0 bytes/workgroup (compile time only)
; SGPRBlocks: 2
; VGPRBlocks: 2
; NumSGPRsForWavesPerEU: 24
; NumVGPRsForWavesPerEU: 17
; AccumOffset: 20
; Occupancy: 8
; WaveLimiterHint : 0
; COMPUTE_PGM_RSRC2:SCRATCH_EN: 0
; COMPUTE_PGM_RSRC2:USER_SGPR: 6
; COMPUTE_PGM_RSRC2:TRAP_HANDLER: 0
; COMPUTE_PGM_RSRC2:TGID_X_EN: 1
; COMPUTE_PGM_RSRC2:TGID_Y_EN: 1
; COMPUTE_PGM_RSRC2:TGID_Z_EN: 1
; COMPUTE_PGM_RSRC2:TIDIG_COMP_CNT: 0
; COMPUTE_PGM_RSRC3_GFX90A:ACCUM_OFFSET: 4
; COMPUTE_PGM_RSRC3_GFX90A:TG_SPLIT: 0
	.section	.text._ZL33flash_attn_stream_k_fixup_generalILi256ELi4ELi8EEvPfPK15HIP_vector_typeIfLj2EEiiiiS1_IjLj3EES5_S5_S5_,"axG",@progbits,_ZL33flash_attn_stream_k_fixup_generalILi256ELi4ELi8EEvPfPK15HIP_vector_typeIfLj2EEiiiiS1_IjLj3EES5_S5_S5_,comdat
	.globl	_ZL33flash_attn_stream_k_fixup_generalILi256ELi4ELi8EEvPfPK15HIP_vector_typeIfLj2EEiiiiS1_IjLj3EES5_S5_S5_ ; -- Begin function _ZL33flash_attn_stream_k_fixup_generalILi256ELi4ELi8EEvPfPK15HIP_vector_typeIfLj2EEiiiiS1_IjLj3EES5_S5_S5_
	.p2align	8
	.type	_ZL33flash_attn_stream_k_fixup_generalILi256ELi4ELi8EEvPfPK15HIP_vector_typeIfLj2EEiiiiS1_IjLj3EES5_S5_S5_,@function
_ZL33flash_attn_stream_k_fixup_generalILi256ELi4ELi8EEvPfPK15HIP_vector_typeIfLj2EEiiiiS1_IjLj3EES5_S5_S5_: ; @_ZL33flash_attn_stream_k_fixup_generalILi256ELi4ELi8EEvPfPK15HIP_vector_typeIfLj2EEiiiiS1_IjLj3EES5_S5_S5_
; %bb.0:
	s_load_dwordx4 s[12:15], s[4:5], 0x10
	s_load_dword s9, s[4:5], 0x50
	s_mov_b32 s2, 0
	s_waitcnt lgkmcnt(0)
	s_mul_hi_i32 s3, s15, s6
	s_cmp_lg_u64 s[2:3], 0
	s_mul_i32 s2, s15, s6
	s_cbranch_scc0 .LBB3_21
; %bb.1:
	v_cvt_f32_u32_e32 v1, s9
	v_cvt_f32_ubyte0_e32 v2, 0
	s_sub_u32 s10, 0, s9
	s_subb_u32 s11, 0, 0
	v_madmk_f32 v1, v2, 0x4f800000, v1
	v_rcp_f32_e32 v1, v1
	v_mul_f32_e32 v1, 0x5f7ffffc, v1
	v_mul_f32_e32 v2, 0x2f800000, v1
	v_trunc_f32_e32 v2, v2
	v_madmk_f32 v1, v2, 0xcf800000, v1
	v_cvt_u32_f32_e32 v2, v2
	v_cvt_u32_f32_e32 v1, v1
	v_readfirstlane_b32 s16, v2
	v_readfirstlane_b32 s17, v1
	s_mul_i32 s18, s10, s16
	s_mul_hi_u32 s20, s10, s17
	s_mul_i32 s19, s11, s17
	s_add_i32 s18, s20, s18
	s_add_i32 s18, s18, s19
	s_mul_i32 s21, s10, s17
	s_mul_hi_u32 s19, s17, s18
	s_mul_i32 s20, s17, s18
	s_mul_hi_u32 s17, s17, s21
	s_add_u32 s17, s17, s20
	s_addc_u32 s19, 0, s19
	s_mul_hi_u32 s22, s16, s21
	s_mul_i32 s21, s16, s21
	s_add_u32 s17, s17, s21
	s_mul_hi_u32 s20, s16, s18
	s_addc_u32 s17, s19, s22
	s_addc_u32 s19, s20, 0
	s_mul_i32 s18, s16, s18
	s_add_u32 s17, s17, s18
	s_addc_u32 s18, 0, s19
	v_add_co_u32_e32 v1, vcc, s17, v1
	s_cmp_lg_u64 vcc, 0
	s_addc_u32 s16, s16, s18
	v_readfirstlane_b32 s18, v1
	s_mul_i32 s17, s10, s16
	s_mul_hi_u32 s19, s10, s18
	s_add_i32 s17, s19, s17
	s_mul_i32 s11, s11, s18
	s_add_i32 s17, s17, s11
	s_mul_i32 s10, s10, s18
	s_mul_hi_u32 s19, s16, s10
	s_mul_i32 s20, s16, s10
	s_mul_i32 s22, s18, s17
	s_mul_hi_u32 s10, s18, s10
	s_mul_hi_u32 s21, s18, s17
	s_add_u32 s10, s10, s22
	s_addc_u32 s18, 0, s21
	s_add_u32 s10, s10, s20
	s_mul_hi_u32 s11, s16, s17
	s_addc_u32 s10, s18, s19
	s_addc_u32 s11, s11, 0
	s_mul_i32 s17, s16, s17
	s_add_u32 s10, s10, s17
	s_addc_u32 s11, 0, s11
	v_add_co_u32_e32 v1, vcc, s10, v1
	s_cmp_lg_u64 vcc, 0
	s_addc_u32 s18, s16, s11
	s_ashr_i32 s10, s3, 31
	s_add_u32 s16, s2, s10
	s_mov_b32 s11, s10
	s_addc_u32 s17, s3, s10
	s_xor_b64 s[16:17], s[16:17], s[10:11]
	v_readfirstlane_b32 s20, v1
	s_mul_i32 s19, s16, s18
	s_mul_hi_u32 s21, s16, s20
	s_mul_hi_u32 s3, s16, s18
	s_add_u32 s19, s21, s19
	s_addc_u32 s3, 0, s3
	s_mul_hi_u32 s22, s17, s20
	s_mul_i32 s20, s17, s20
	s_add_u32 s19, s19, s20
	s_mul_hi_u32 s21, s17, s18
	s_addc_u32 s3, s3, s22
	s_addc_u32 s19, s21, 0
	s_mul_i32 s18, s17, s18
	s_add_u32 s3, s3, s18
	s_addc_u32 s18, 0, s19
	s_add_u32 s19, s3, 1
	s_addc_u32 s20, s18, 0
	s_add_u32 s21, s3, 2
	s_mul_i32 s23, s9, s18
	s_mul_hi_u32 s24, s9, s3
	s_addc_u32 s22, s18, 0
	s_add_i32 s24, s24, s23
	s_mul_i32 s23, s9, s3
	v_mov_b32_e32 v1, s23
	v_sub_co_u32_e32 v1, vcc, s16, v1
	s_cmp_lg_u64 vcc, 0
	s_subb_u32 s16, s17, s24
	v_subrev_co_u32_e32 v2, vcc, s9, v1
	s_cmp_lg_u64 vcc, 0
	s_subb_u32 s17, s16, 0
	v_readfirstlane_b32 s23, v2
	s_cmp_ge_u32 s23, s9
	s_cselect_b32 s23, -1, 0
	s_cmp_eq_u32 s17, 0
	s_cselect_b32 s17, s23, -1
	s_cmp_lg_u32 s17, 0
	s_cselect_b32 s17, s22, s20
	v_readfirstlane_b32 s20, v1
	s_cselect_b32 s19, s21, s19
	s_cmp_ge_u32 s20, s9
	s_cselect_b32 s20, -1, 0
	s_cmp_eq_u32 s16, 0
	s_cselect_b32 s16, s20, -1
	s_cmp_lg_u32 s16, 0
	s_cselect_b32 s17, s17, s18
	s_cselect_b32 s16, s19, s3
	s_xor_b64 s[16:17], s[16:17], s[10:11]
	s_sub_u32 s20, s16, s10
	s_load_dwordx4 s[16:19], s[4:5], 0x44
	s_cbranch_execnz .LBB3_3
.LBB3_2:
	v_cvt_f32_u32_e32 v1, s9
	s_sub_i32 s0, 0, s9
	v_rcp_iflag_f32_e32 v1, v1
	v_mul_f32_e32 v1, 0x4f7ffffe, v1
	v_cvt_u32_f32_e32 v1, v1
	v_readfirstlane_b32 s1, v1
	s_mul_i32 s0, s0, s1
	s_mul_hi_u32 s0, s1, s0
	s_add_i32 s1, s1, s0
	s_mul_hi_u32 s0, s2, s1
	s_mul_i32 s3, s0, s9
	s_sub_i32 s2, s2, s3
	s_add_i32 s1, s0, 1
	s_sub_i32 s3, s2, s9
	s_cmp_ge_u32 s2, s9
	s_cselect_b32 s0, s1, s0
	s_cselect_b32 s2, s3, s2
	s_add_i32 s1, s0, 1
	s_cmp_ge_u32 s2, s9
	s_cselect_b32 s20, s1, s0
.LBB3_3:
	s_add_i32 s0, s6, 1
	s_mul_hi_i32 s3, s15, s0
	s_mov_b32 s2, 0
	s_cmp_lg_u64 s[2:3], 0
	s_mul_i32 s2, s15, s0
	s_cbranch_scc0 .LBB3_22
; %bb.4:
	v_cvt_f32_u32_e32 v1, s9
	v_cvt_f32_ubyte0_e32 v2, 0
	s_sub_u32 s10, 0, s9
	s_subb_u32 s11, 0, 0
	v_madmk_f32 v1, v2, 0x4f800000, v1
	v_rcp_f32_e32 v1, v1
	v_mul_f32_e32 v1, 0x5f7ffffc, v1
	v_mul_f32_e32 v2, 0x2f800000, v1
	v_trunc_f32_e32 v2, v2
	v_madmk_f32 v1, v2, 0xcf800000, v1
	v_cvt_u32_f32_e32 v2, v2
	v_cvt_u32_f32_e32 v1, v1
	s_waitcnt lgkmcnt(0)
	v_readfirstlane_b32 s19, v2
	v_readfirstlane_b32 s21, v1
	s_mul_i32 s22, s10, s19
	s_mul_hi_u32 s24, s10, s21
	s_mul_i32 s23, s11, s21
	s_add_i32 s22, s24, s22
	s_add_i32 s22, s22, s23
	s_mul_i32 s25, s10, s21
	s_mul_hi_u32 s23, s21, s22
	s_mul_i32 s24, s21, s22
	s_mul_hi_u32 s21, s21, s25
	s_add_u32 s21, s21, s24
	s_addc_u32 s23, 0, s23
	s_mul_hi_u32 s26, s19, s25
	s_mul_i32 s25, s19, s25
	s_add_u32 s21, s21, s25
	s_mul_hi_u32 s24, s19, s22
	s_addc_u32 s21, s23, s26
	s_addc_u32 s23, s24, 0
	s_mul_i32 s22, s19, s22
	s_add_u32 s21, s21, s22
	s_addc_u32 s22, 0, s23
	v_add_co_u32_e32 v1, vcc, s21, v1
	s_cmp_lg_u64 vcc, 0
	s_addc_u32 s19, s19, s22
	v_readfirstlane_b32 s22, v1
	s_mul_i32 s21, s10, s19
	s_mul_hi_u32 s23, s10, s22
	s_add_i32 s21, s23, s21
	s_mul_i32 s11, s11, s22
	s_add_i32 s21, s21, s11
	s_mul_i32 s10, s10, s22
	s_mul_hi_u32 s23, s19, s10
	s_mul_i32 s24, s19, s10
	s_mul_i32 s26, s22, s21
	s_mul_hi_u32 s10, s22, s10
	s_mul_hi_u32 s25, s22, s21
	s_add_u32 s10, s10, s26
	s_addc_u32 s22, 0, s25
	s_add_u32 s10, s10, s24
	s_mul_hi_u32 s11, s19, s21
	s_addc_u32 s10, s22, s23
	s_addc_u32 s11, s11, 0
	s_mul_i32 s21, s19, s21
	s_add_u32 s10, s10, s21
	s_addc_u32 s11, 0, s11
	v_add_co_u32_e32 v1, vcc, s10, v1
	s_cmp_lg_u64 vcc, 0
	s_addc_u32 s19, s19, s11
	s_ashr_i32 s10, s3, 31
	s_add_u32 s22, s2, s10
	s_mov_b32 s11, s10
	s_addc_u32 s23, s3, s10
	s_xor_b64 s[22:23], s[22:23], s[10:11]
	v_readfirstlane_b32 s21, v1
	s_mul_i32 s11, s22, s19
	s_mul_hi_u32 s24, s22, s21
	s_mul_hi_u32 s3, s22, s19
	s_add_u32 s11, s24, s11
	s_addc_u32 s3, 0, s3
	s_mul_hi_u32 s25, s23, s21
	s_mul_i32 s21, s23, s21
	s_add_u32 s11, s11, s21
	s_mul_hi_u32 s24, s23, s19
	s_addc_u32 s3, s3, s25
	s_addc_u32 s11, s24, 0
	s_mul_i32 s19, s23, s19
	s_add_u32 s3, s3, s19
	s_addc_u32 s11, 0, s11
	s_mul_i32 s11, s9, s11
	s_mul_hi_u32 s24, s9, s3
	s_add_i32 s24, s24, s11
	s_mul_i32 s11, s9, s3
	v_mov_b32_e32 v1, s11
	s_add_u32 s19, s3, 1
	s_add_u32 s21, s3, 2
	v_sub_co_u32_e32 v1, vcc, s22, v1
	s_cmp_lg_u64 vcc, 0
	s_subb_u32 s11, s23, s24
	v_subrev_co_u32_e32 v2, vcc, s9, v1
	s_cmp_lg_u64 vcc, 0
	s_subb_u32 s22, s11, 0
	v_cmp_le_u32_e32 vcc, s9, v2
	s_cmp_eq_u32 s22, 0
	v_cndmask_b32_e64 v2, 0, -1, vcc
	s_cselect_b64 vcc, -1, 0
	v_cndmask_b32_e32 v2, -1, v2, vcc
	v_mov_b32_e32 v3, s19
	v_mov_b32_e32 v4, s21
	v_cmp_ne_u32_e32 vcc, 0, v2
	v_cndmask_b32_e32 v2, v3, v4, vcc
	v_cmp_le_u32_e32 vcc, s9, v1
	s_cmp_eq_u32 s11, 0
	v_cndmask_b32_e64 v1, 0, -1, vcc
	s_cselect_b64 vcc, -1, 0
	v_cndmask_b32_e32 v1, -1, v1, vcc
	v_mov_b32_e32 v3, s3
	v_cmp_ne_u32_e32 vcc, 0, v1
	v_cndmask_b32_e32 v1, v3, v2, vcc
	v_xor_b32_e32 v1, s10, v1
	v_subrev_co_u32_e32 v2, vcc, s10, v1
	s_cbranch_execnz .LBB3_6
.LBB3_5:
	v_cvt_f32_u32_e32 v1, s9
	s_sub_i32 s0, 0, s9
	s_mov_b32 s1, 0
	v_rcp_iflag_f32_e32 v1, v1
	v_mul_f32_e32 v1, 0x4f7ffffe, v1
	v_cvt_u32_f32_e32 v1, v1
	v_readfirstlane_b32 s3, v1
	s_mul_i32 s0, s0, s3
	s_mul_hi_u32 s0, s3, s0
	s_add_i32 s3, s3, s0
	s_mul_hi_u32 s0, s2, s3
	s_mul_i32 s10, s0, s9
	s_sub_i32 s2, s2, s10
	s_add_i32 s3, s0, 1
	s_sub_i32 s10, s2, s9
	s_cmp_ge_u32 s2, s9
	s_cselect_b32 s0, s3, s0
	s_cselect_b32 s2, s10, s2
	s_add_i32 s3, s0, 1
	s_cmp_ge_u32 s2, s9
	s_cselect_b32 s0, s3, s0
	v_pk_mov_b32 v[2:3], s[0:1], s[0:1] op_sel:[0,1]
.LBB3_6:
	s_waitcnt lgkmcnt(0)
	s_mul_hi_u32 s0, s20, s16
	s_add_i32 s0, s0, s20
	v_mul_hi_u32 v1, v2, s16
	s_lshr_b32 s19, s0, s17
	v_add_u32_e32 v1, v1, v2
	s_mul_i32 s0, s19, s18
	v_lshrrev_b32_e32 v1, s17, v1
	s_cmp_eq_u32 s0, s20
	v_cmp_eq_u32_e64 s[0:1], s19, v1
	v_mul_lo_u32 v1, v1, s18
	v_cmp_eq_u32_e32 vcc, s20, v2
	s_cselect_b64 s[10:11], -1, 0
	v_cmp_ne_u32_e64 s[2:3], v1, v2
	s_and_b64 s[0:1], s[0:1], s[2:3]
	s_or_b64 s[2:3], vcc, s[10:11]
	s_or_b64 s[0:1], s[2:3], s[0:1]
	s_and_b64 vcc, exec, s[0:1]
	s_cbranch_vccnz .LBB3_24
; %bb.7:
	s_load_dwordx8 s[24:31], s[4:5], 0x20
	s_load_dword s0, s[4:5], 0x40
	s_mov_b32 s10, 0
	s_waitcnt lgkmcnt(0)
	s_mul_hi_u32 s1, s20, s24
	s_add_i32 s1, s1, s20
	s_lshr_b32 s11, s1, s25
	s_mul_i32 s1, s11, s26
	s_sub_i32 s1, s20, s1
	s_mul_hi_u32 s2, s1, s27
	s_add_i32 s2, s1, s2
	s_lshr_b32 s24, s2, s28
	s_mul_i32 s2, s24, s29
	s_sub_i32 s1, s1, s2
	;; [unrolled: 5-line block ×3, first 2 shown]
	s_mul_hi_u32 s1, s0, s16
	s_add_i32 s0, s0, s1
	s_lshr_b32 s26, s0, s17
	s_lshl_b32 s0, s26, 2
	s_lshl_b32 s25, s2, 3
	s_add_i32 s0, s0, s7
	s_cmp_lt_i32 s0, s12
	s_cselect_b64 s[0:1], -1, 0
	s_add_i32 s2, s25, s8
	s_cmp_lt_i32 s2, s14
	s_cselect_b64 s[2:3], -1, 0
	s_and_b64 s[0:1], s[0:1], s[2:3]
	s_andn2_b64 vcc, exec, s[0:1]
	s_cbranch_vccnz .LBB3_24
; %bb.8:
	s_load_dwordx4 s[0:3], s[4:5], 0x0
	s_lshl_b32 s21, s7, 3
	s_lshl_b32 s4, s9, 7
	s_mov_b32 s5, s10
	s_add_i32 s21, s21, s8
	s_lshl_b64 s[4:5], s[4:5], 2
	s_waitcnt lgkmcnt(0)
	s_add_u32 s22, s2, s4
	s_mul_i32 s4, s11, s12
	s_addc_u32 s23, s3, s5
	s_add_i32 s4, s4, s7
	s_mul_i32 s4, s4, s13
	s_mul_i32 s24, s24, s14
	s_add_i32 s4, s4, s8
	s_add_i32 s4, s4, s24
	s_mul_i32 s5, s13, s26
	s_add_i32 s4, s4, s25
	s_lshl_b32 s5, s5, 10
	s_lshl_b32 s4, s4, 8
	s_add_i32 s5, s5, s4
	v_or_b32_e32 v2, s5, v0
	v_ashrrev_i32_e32 v3, 31, v2
	v_lshlrev_b64 v[2:3], 2, v[2:3]
	v_mov_b32_e32 v1, s1
	v_add_co_u32_e32 v2, vcc, s0, v2
	v_addc_co_u32_e32 v3, vcc, v1, v3, vcc
	global_load_dword v5, v[2:3], off
	v_lshl_or_b32 v4, s21, 8, v0
	v_cvt_f32_u32_e32 v0, s9
	v_cvt_f32_ubyte0_e32 v1, 0
	s_lshl_b32 s0, s6, 5
	s_add_i32 s0, s21, s0
	v_mac_f32_e32 v0, 0x4f800000, v1
	v_rcp_f32_e32 v0, v0
	v_cvt_f32_u32_e32 v1, s9
	s_ashr_i32 s1, s0, 31
	s_lshl_b64 s[0:1], s[0:1], 3
	v_mul_f32_e32 v0, 0x5f7ffffc, v0
	v_rcp_iflag_f32_e32 v1, v1
	s_add_u32 s0, s2, s0
	v_mul_f32_e32 v9, 0x2f800000, v0
	s_addc_u32 s1, s3, s1
	v_trunc_f32_e32 v10, v9
	s_load_dwordx2 s[0:1], s[0:1], 0x0
	v_mac_f32_e32 v0, 0xcf800000, v10
	v_cvt_u32_f32_e32 v9, v0
	v_mul_f32_e32 v0, 0x4f7ffffe, v1
	v_cvt_u32_f32_e32 v10, v10
	v_cvt_u32_f32_e32 v11, v0
	s_add_i32 s8, s6, -1
	s_waitcnt lgkmcnt(0)
	v_mov_b32_e32 v6, s1
	v_mov_b32_e32 v7, s0
	;; [unrolled: 1-line block ×3, first 2 shown]
	s_mov_b32 s6, 0x3fb8aa3b
	s_mov_b32 s7, 0xc2ce8ed0
	;; [unrolled: 1-line block ×4, first 2 shown]
	v_mov_b32_e32 v12, 0x7f800000
	s_mul_hi_i32 s11, s8, s15
	s_cmp_lg_u64 s[10:11], 0
	s_mul_i32 s4, s8, s15
	s_cbranch_scc0 .LBB3_15
.LBB3_9:
	s_sub_u32 s0, 0, s9
	v_readfirstlane_b32 s5, v9
	v_readfirstlane_b32 s24, v10
	s_subb_u32 s1, 0, 0
	s_mul_hi_u32 s20, s0, s5
	s_mul_i32 s25, s0, s24
	s_mul_i32 s14, s1, s5
	s_add_i32 s20, s20, s25
	s_add_i32 s20, s20, s14
	s_mul_i32 s26, s0, s5
	s_mul_hi_u32 s14, s5, s20
	s_mul_i32 s25, s5, s20
	s_mul_hi_u32 s5, s5, s26
	s_add_u32 s5, s5, s25
	s_addc_u32 s14, 0, s14
	s_mul_hi_u32 s27, s24, s26
	s_mul_i32 s26, s24, s26
	s_add_u32 s5, s5, s26
	s_mul_hi_u32 s25, s24, s20
	s_addc_u32 s5, s14, s27
	s_addc_u32 s14, s25, 0
	s_mul_i32 s20, s24, s20
	s_add_u32 s5, s5, s20
	s_addc_u32 s14, 0, s14
	v_add_co_u32_e32 v0, vcc, s5, v9
	s_cmp_lg_u64 vcc, 0
	s_addc_u32 s5, s24, s14
	v_readfirstlane_b32 s20, v0
	s_mul_i32 s14, s0, s5
	s_mul_hi_u32 s24, s0, s20
	s_add_i32 s14, s24, s14
	s_mul_i32 s1, s1, s20
	s_add_i32 s14, s14, s1
	s_mul_i32 s0, s0, s20
	s_mul_hi_u32 s24, s5, s0
	s_mul_i32 s25, s5, s0
	s_mul_i32 s27, s20, s14
	s_mul_hi_u32 s0, s20, s0
	s_mul_hi_u32 s26, s20, s14
	s_add_u32 s0, s0, s27
	s_addc_u32 s20, 0, s26
	s_add_u32 s0, s0, s25
	s_mul_hi_u32 s1, s5, s14
	s_addc_u32 s0, s20, s24
	s_addc_u32 s1, s1, 0
	s_mul_i32 s14, s5, s14
	s_add_u32 s0, s0, s14
	s_addc_u32 s1, 0, s1
	v_add_co_u32_e32 v0, vcc, s0, v0
	s_cmp_lg_u64 vcc, 0
	s_addc_u32 s5, s5, s1
	s_ashr_i32 s0, s11, 31
	s_add_u32 s24, s4, s0
	s_mov_b32 s1, s0
	s_addc_u32 s25, s11, s0
	s_xor_b64 s[24:25], s[24:25], s[0:1]
	v_readfirstlane_b32 s14, v0
	s_mul_i32 s11, s24, s5
	s_mul_hi_u32 s20, s24, s14
	s_mul_hi_u32 s1, s24, s5
	s_add_u32 s11, s20, s11
	s_addc_u32 s1, 0, s1
	s_mul_hi_u32 s26, s25, s14
	s_mul_i32 s14, s25, s14
	s_add_u32 s11, s11, s14
	s_mul_hi_u32 s20, s25, s5
	s_addc_u32 s1, s1, s26
	s_addc_u32 s11, s20, 0
	s_mul_i32 s5, s25, s5
	s_add_u32 s1, s1, s5
	s_addc_u32 s5, 0, s11
	s_mul_i32 s5, s9, s5
	s_mul_hi_u32 s20, s9, s1
	s_add_i32 s20, s20, s5
	s_mul_i32 s5, s9, s1
	v_mov_b32_e32 v0, s5
	s_add_u32 s11, s1, 1
	s_add_u32 s14, s1, 2
	v_sub_co_u32_e32 v0, vcc, s24, v0
	s_cmp_lg_u64 vcc, 0
	s_subb_u32 s5, s25, s20
	v_subrev_co_u32_e32 v1, vcc, s9, v0
	s_cmp_lg_u64 vcc, 0
	s_subb_u32 s20, s5, 0
	v_cmp_le_u32_e32 vcc, s9, v1
	s_cmp_eq_u32 s20, 0
	v_cndmask_b32_e64 v1, 0, -1, vcc
	s_cselect_b64 vcc, -1, 0
	v_cndmask_b32_e32 v1, -1, v1, vcc
	v_mov_b32_e32 v13, s11
	v_mov_b32_e32 v14, s14
	v_cmp_ne_u32_e32 vcc, 0, v1
	v_cndmask_b32_e32 v1, v13, v14, vcc
	v_cmp_le_u32_e32 vcc, s9, v0
	s_cmp_eq_u32 s5, 0
	v_cndmask_b32_e64 v0, 0, -1, vcc
	s_cselect_b64 vcc, -1, 0
	v_cndmask_b32_e32 v0, -1, v0, vcc
	v_mov_b32_e32 v13, s1
	v_cmp_ne_u32_e32 vcc, 0, v0
	v_cndmask_b32_e32 v0, v13, v1, vcc
	v_xor_b32_e32 v0, s0, v0
	v_subrev_co_u32_e32 v0, vcc, s0, v0
	s_cbranch_execnz .LBB3_11
.LBB3_10:
	s_sub_i32 s0, 0, s9
	v_mul_lo_u32 v0, s0, v11
	v_mul_hi_u32 v0, v11, v0
	v_add_u32_e32 v0, v11, v0
	v_mul_hi_u32 v0, s4, v0
	v_mul_lo_u32 v13, v0, s9
	v_sub_u32_e32 v13, s4, v13
	v_add_u32_e32 v1, 1, v0
	v_subrev_u32_e32 v14, s9, v13
	v_cmp_le_u32_e32 vcc, s9, v13
	v_cndmask_b32_e32 v13, v13, v14, vcc
	v_cndmask_b32_e32 v0, v0, v1, vcc
	v_add_u32_e32 v1, 1, v0
	v_cmp_le_u32_e32 vcc, s9, v13
	v_cndmask_b32_e32 v0, v0, v1, vcc
.LBB3_11:
	v_cmp_ne_u32_e32 vcc, v8, v0
	s_cbranch_vccz .LBB3_14
; %bb.12:
	s_add_i32 s0, s8, s9
	s_lshl_b32 s0, s0, 5
	v_mul_hi_u32 v1, v0, s16
	s_add_i32 s0, s0, s21
	s_mov_b32 s1, s10
	v_add_u32_e32 v1, v1, v0
	s_lshl_b64 s[0:1], s[0:1], 3
	v_lshrrev_b32_e32 v1, s17, v1
	s_add_u32 s4, s2, s0
	v_mul_lo_u32 v13, v1, s18
	s_addc_u32 s5, s3, s1
	v_cmp_eq_u32_e32 vcc, v13, v0
	v_cmp_gt_u32_e64 s[0:1], s19, v1
	s_or_b64 s[0:1], s[0:1], vcc
	s_and_b64 vcc, exec, s[0:1]
	s_cbranch_vccnz .LBB3_16
; %bb.13:
	s_add_i32 s11, s8, -1
	s_mov_b64 s[0:1], 0
	s_branch .LBB3_17
.LBB3_14:
                                        ; implicit-def: $sgpr0_sgpr1
                                        ; implicit-def: $vgpr14
                                        ; implicit-def: $vgpr1
                                        ; implicit-def: $vgpr13
                                        ; implicit-def: $sgpr11
                                        ; implicit-def: $vgpr0
	s_branch .LBB3_18
.LBB3_15:
                                        ; implicit-def: $vgpr0_vgpr1
	s_branch .LBB3_10
.LBB3_16:
	s_mov_b64 s[0:1], -1
	s_mov_b32 s11, s8
	v_mov_b32_e32 v0, v8
.LBB3_17:
	v_lshl_add_u32 v14, s8, 13, v4
	v_ashrrev_i32_e32 v15, 31, v14
	v_lshlrev_b64 v[14:15], 2, v[14:15]
	v_mov_b32_e32 v1, s23
	v_add_co_u32_e32 v14, vcc, s22, v14
	v_addc_co_u32_e32 v15, vcc, v1, v15, vcc
	global_load_dword v14, v[14:15], off
	s_load_dwordx2 s[4:5], s[4:5], 0x0
	v_max_f32_e32 v1, v7, v7
	s_waitcnt lgkmcnt(0)
	v_max_f32_e64 v13, s4, s4
	v_max_f32_e32 v1, v1, v13
	v_sub_f32_e32 v13, v7, v1
	v_sub_f32_e32 v15, s4, v1
	v_mul_f32_e32 v16, 0x3fb8aa3b, v13
	v_mul_f32_e32 v17, 0x3fb8aa3b, v15
	v_fma_f32 v18, v13, s6, -v16
	v_rndne_f32_e32 v19, v16
	v_fma_f32 v20, v15, s6, -v17
	v_rndne_f32_e32 v21, v17
	v_fmac_f32_e32 v18, 0x32a5705f, v13
	v_sub_f32_e32 v16, v16, v19
	v_fmac_f32_e32 v20, 0x32a5705f, v15
	v_sub_f32_e32 v17, v17, v21
	v_add_f32_e32 v16, v16, v18
	v_cvt_i32_f32_e32 v19, v19
	v_add_f32_e32 v17, v17, v20
	v_exp_f32_e32 v16, v16
	v_cvt_i32_f32_e32 v21, v21
	v_exp_f32_e32 v17, v17
	v_cmp_ngt_f32_e32 vcc, s7, v13
	v_ldexp_f32 v16, v16, v19
	v_cndmask_b32_e32 v16, 0, v16, vcc
	v_ldexp_f32 v17, v17, v21
	v_cmp_ngt_f32_e32 vcc, s7, v15
	v_cndmask_b32_e32 v17, 0, v17, vcc
	v_cmp_nlt_f32_e32 vcc, s12, v13
	v_cndmask_b32_e32 v16, v12, v16, vcc
	v_cmp_nlt_f32_e32 vcc, s12, v15
	v_cndmask_b32_e32 v17, v12, v17, vcc
	v_cmp_le_f32_e32 vcc, s13, v13
	v_cndmask_b32_e32 v16, 0, v16, vcc
	v_cmp_le_f32_e32 vcc, s13, v15
	v_cndmask_b32_e32 v15, 0, v17, vcc
	v_mul_f32_e32 v13, s5, v15
	v_fmac_f32_e32 v13, v6, v16
	s_waitcnt vmcnt(0)
	v_mul_f32_e32 v14, v14, v15
	v_fmac_f32_e32 v14, v5, v16
	s_cbranch_execnz .LBB3_19
.LBB3_18:
	s_add_i32 s11, s8, -1
	s_mov_b64 s[0:1], 0
	v_mov_b32_e32 v0, v8
	v_mov_b32_e32 v13, v6
	;; [unrolled: 1-line block ×3, first 2 shown]
	s_waitcnt vmcnt(0)
	v_mov_b32_e32 v14, v5
.LBB3_19:
	s_andn2_b64 vcc, exec, s[0:1]
	s_cbranch_vccz .LBB3_23
; %bb.20:
	v_mov_b32_e32 v8, v0
	s_mov_b32 s8, s11
	v_mov_b32_e32 v6, v13
	v_mov_b32_e32 v7, v1
	s_waitcnt vmcnt(0)
	v_mov_b32_e32 v5, v14
	s_mul_hi_i32 s11, s8, s15
	s_cmp_lg_u64 s[10:11], 0
	s_mul_i32 s4, s8, s15
	s_cbranch_scc1 .LBB3_9
	s_branch .LBB3_15
.LBB3_21:
                                        ; implicit-def: $sgpr20_sgpr21
	s_load_dwordx4 s[16:19], s[4:5], 0x44
	s_branch .LBB3_2
.LBB3_22:
                                        ; implicit-def: $vgpr2_vgpr3
	s_branch .LBB3_5
.LBB3_23:
	v_div_scale_f32 v0, s[0:1], v13, v13, v14
	v_rcp_f32_e32 v1, v0
	v_div_scale_f32 v4, vcc, v14, v13, v14
	s_waitcnt vmcnt(0)
	v_fma_f32 v5, -v0, v1, 1.0
	v_fmac_f32_e32 v1, v5, v1
	v_mul_f32_e32 v5, v4, v1
	v_fma_f32 v6, -v0, v5, v4
	v_fmac_f32_e32 v5, v6, v1
	v_fma_f32 v0, -v0, v5, v4
	v_div_fmas_f32 v0, v0, v1, v5
	v_div_fixup_f32 v0, v0, v13, v14
	global_store_dword v[2:3], v0, off
.LBB3_24:
	s_endpgm
	.section	.rodata,"a",@progbits
	.p2align	6, 0x0
	.amdhsa_kernel _ZL33flash_attn_stream_k_fixup_generalILi256ELi4ELi8EEvPfPK15HIP_vector_typeIfLj2EEiiiiS1_IjLj3EES5_S5_S5_
		.amdhsa_group_segment_fixed_size 0
		.amdhsa_private_segment_fixed_size 0
		.amdhsa_kernarg_size 336
		.amdhsa_user_sgpr_count 6
		.amdhsa_user_sgpr_private_segment_buffer 1
		.amdhsa_user_sgpr_dispatch_ptr 0
		.amdhsa_user_sgpr_queue_ptr 0
		.amdhsa_user_sgpr_kernarg_segment_ptr 1
		.amdhsa_user_sgpr_dispatch_id 0
		.amdhsa_user_sgpr_flat_scratch_init 0
		.amdhsa_user_sgpr_kernarg_preload_length 0
		.amdhsa_user_sgpr_kernarg_preload_offset 0
		.amdhsa_user_sgpr_private_segment_size 0
		.amdhsa_uses_dynamic_stack 0
		.amdhsa_system_sgpr_private_segment_wavefront_offset 0
		.amdhsa_system_sgpr_workgroup_id_x 1
		.amdhsa_system_sgpr_workgroup_id_y 1
		.amdhsa_system_sgpr_workgroup_id_z 1
		.amdhsa_system_sgpr_workgroup_info 0
		.amdhsa_system_vgpr_workitem_id 0
		.amdhsa_next_free_vgpr 22
		.amdhsa_next_free_sgpr 32
		.amdhsa_accum_offset 24
		.amdhsa_reserve_vcc 1
		.amdhsa_reserve_flat_scratch 0
		.amdhsa_float_round_mode_32 0
		.amdhsa_float_round_mode_16_64 0
		.amdhsa_float_denorm_mode_32 3
		.amdhsa_float_denorm_mode_16_64 3
		.amdhsa_dx10_clamp 1
		.amdhsa_ieee_mode 1
		.amdhsa_fp16_overflow 0
		.amdhsa_tg_split 0
		.amdhsa_exception_fp_ieee_invalid_op 0
		.amdhsa_exception_fp_denorm_src 0
		.amdhsa_exception_fp_ieee_div_zero 0
		.amdhsa_exception_fp_ieee_overflow 0
		.amdhsa_exception_fp_ieee_underflow 0
		.amdhsa_exception_fp_ieee_inexact 0
		.amdhsa_exception_int_div_zero 0
	.end_amdhsa_kernel
	.section	.text._ZL33flash_attn_stream_k_fixup_generalILi256ELi4ELi8EEvPfPK15HIP_vector_typeIfLj2EEiiiiS1_IjLj3EES5_S5_S5_,"axG",@progbits,_ZL33flash_attn_stream_k_fixup_generalILi256ELi4ELi8EEvPfPK15HIP_vector_typeIfLj2EEiiiiS1_IjLj3EES5_S5_S5_,comdat
.Lfunc_end3:
	.size	_ZL33flash_attn_stream_k_fixup_generalILi256ELi4ELi8EEvPfPK15HIP_vector_typeIfLj2EEiiiiS1_IjLj3EES5_S5_S5_, .Lfunc_end3-_ZL33flash_attn_stream_k_fixup_generalILi256ELi4ELi8EEvPfPK15HIP_vector_typeIfLj2EEiiiiS1_IjLj3EES5_S5_S5_
                                        ; -- End function
	.section	.AMDGPU.csdata,"",@progbits
; Kernel info:
; codeLenInByte = 2824
; NumSgprs: 36
; NumVgprs: 22
; NumAgprs: 0
; TotalNumVgprs: 22
; ScratchSize: 0
; MemoryBound: 0
; FloatMode: 240
; IeeeMode: 1
; LDSByteSize: 0 bytes/workgroup (compile time only)
; SGPRBlocks: 4
; VGPRBlocks: 2
; NumSGPRsForWavesPerEU: 36
; NumVGPRsForWavesPerEU: 22
; AccumOffset: 24
; Occupancy: 8
; WaveLimiterHint : 0
; COMPUTE_PGM_RSRC2:SCRATCH_EN: 0
; COMPUTE_PGM_RSRC2:USER_SGPR: 6
; COMPUTE_PGM_RSRC2:TRAP_HANDLER: 0
; COMPUTE_PGM_RSRC2:TGID_X_EN: 1
; COMPUTE_PGM_RSRC2:TGID_Y_EN: 1
; COMPUTE_PGM_RSRC2:TGID_Z_EN: 1
; COMPUTE_PGM_RSRC2:TIDIG_COMP_CNT: 0
; COMPUTE_PGM_RSRC3_GFX90A:ACCUM_OFFSET: 5
; COMPUTE_PGM_RSRC3_GFX90A:TG_SPLIT: 0
	.section	.text._ZL26flash_attn_combine_resultsILi256EEvPKfPK15HIP_vector_typeIfLj2EEPfi,"axG",@progbits,_ZL26flash_attn_combine_resultsILi256EEvPKfPK15HIP_vector_typeIfLj2EEPfi,comdat
	.globl	_ZL26flash_attn_combine_resultsILi256EEvPKfPK15HIP_vector_typeIfLj2EEPfi ; -- Begin function _ZL26flash_attn_combine_resultsILi256EEvPKfPK15HIP_vector_typeIfLj2EEPfi
	.p2align	8
	.type	_ZL26flash_attn_combine_resultsILi256EEvPKfPK15HIP_vector_typeIfLj2EEPfi,@function
_ZL26flash_attn_combine_resultsILi256EEvPKfPK15HIP_vector_typeIfLj2EEPfi: ; @_ZL26flash_attn_combine_resultsILi256EEvPKfPK15HIP_vector_typeIfLj2EEPfi
; %bb.0:
	s_load_dwordx2 s[10:11], s[4:5], 0x20
	s_load_dword s17, s[4:5], 0x18
	s_load_dwordx4 s[0:3], s[4:5], 0x0
	s_load_dwordx2 s[14:15], s[4:5], 0x10
	s_waitcnt lgkmcnt(0)
	s_mul_i32 s4, s10, s8
	s_add_i32 s4, s4, s6
	s_mul_i32 s16, s4, s11
	s_add_i32 s16, s16, s7
	s_lshl_b32 s18, s17, 1
	s_mul_i32 s4, s16, s17
	v_cmp_gt_i32_e32 vcc, s18, v0
	s_and_saveexec_b64 s[6:7], vcc
	s_cbranch_execz .LBB4_13
; %bb.1:
	v_xad_u32 v1, v0, -1, s18
	s_movk_i32 s8, 0xff
	s_ashr_i32 s5, s4, 31
	v_cmp_lt_u32_e32 vcc, s8, v1
	s_mov_b64 s[10:11], -1
	v_mov_b32_e32 v2, v0
	s_and_saveexec_b64 s[8:9], vcc
	s_cbranch_execz .LBB4_10
; %bb.2:
	v_lshrrev_b32_e32 v6, 8, v1
	s_lshl_b64 s[10:11], s[4:5], 3
	v_add_u32_e32 v2, -1, v6
	s_add_u32 s19, s2, s10
	v_or_b32_e32 v1, 0x100, v0
	v_lshrrev_b32_e32 v3, 1, v2
	s_addc_u32 s20, s3, s11
	v_add_u32_e32 v7, 1, v3
	v_cmp_lt_u32_e32 vcc, 13, v2
	v_mov_b32_e32 v4, 0
	v_pk_mov_b32 v[2:3], v[0:1], v[0:1] op_sel:[0,1]
	s_and_saveexec_b64 s[10:11], vcc
	s_cbranch_execz .LBB4_6
; %bb.3:
	v_and_b32_e32 v8, -8, v7
	s_mov_b32 s21, 0
	v_lshl_add_u32 v9, v0, 2, 0
	s_mov_b64 s[12:13], 0
	v_mov_b32_e32 v10, s20
	v_mov_b32_e32 v5, 0
	v_pk_mov_b32 v[2:3], v[0:1], v[0:1] op_sel:[0,1]
.LBB4_4:                                ; =>This Inner Loop Header: Depth=1
	v_mov_b32_e32 v4, v2
	v_lshlrev_b64 v[26:27], 2, v[4:5]
	v_add_u32_e32 v12, 0x200, v3
	v_mov_b32_e32 v13, v5
	v_add_co_u32_e32 v26, vcc, s19, v26
	v_lshlrev_b64 v[12:13], 2, v[12:13]
	v_addc_co_u32_e32 v27, vcc, v10, v27, vcc
	v_add_u32_e32 v14, 0x400, v3
	v_mov_b32_e32 v15, v5
	v_add_co_u32_e32 v12, vcc, s19, v12
	v_lshlrev_b64 v[14:15], 2, v[14:15]
	v_addc_co_u32_e32 v13, vcc, v10, v13, vcc
	;; [unrolled: 5-line block ×7, first 2 shown]
	v_mov_b32_e32 v4, v3
	v_add_co_u32_e32 v24, vcc, s19, v24
	v_lshlrev_b64 v[28:29], 2, v[4:5]
	v_addc_co_u32_e32 v25, vcc, v10, v25, vcc
	v_add_u32_e32 v4, 0x200, v2
	v_add_co_u32_e32 v28, vcc, s19, v28
	v_addc_co_u32_e32 v29, vcc, v10, v29, vcc
	global_load_dword v1, v[26:27], off
	v_lshlrev_b64 v[26:27], 2, v[4:5]
	v_add_u32_e32 v4, 0x400, v2
	v_add_co_u32_e32 v26, vcc, s19, v26
	v_addc_co_u32_e32 v27, vcc, v10, v27, vcc
	v_lshlrev_b64 v[30:31], 2, v[4:5]
	v_add_u32_e32 v4, 0x600, v2
	global_load_dword v11, v[28:29], off
	global_load_dword v32, v[26:27], off
	global_load_dword v33, v[12:13], off
	v_add_co_u32_e32 v12, vcc, s19, v30
	v_addc_co_u32_e32 v13, vcc, v10, v31, vcc
	v_lshlrev_b64 v[26:27], 2, v[4:5]
	v_add_u32_e32 v4, 0x800, v2
	v_add_co_u32_e32 v26, vcc, s19, v26
	v_addc_co_u32_e32 v27, vcc, v10, v27, vcc
	v_lshlrev_b64 v[28:29], 2, v[4:5]
	v_add_u32_e32 v4, 0xa00, v2
	global_load_dword v30, v[12:13], off
	global_load_dword v31, v[14:15], off
	;; [unrolled: 1-line block ×4, first 2 shown]
	v_add_co_u32_e32 v12, vcc, s19, v28
	v_addc_co_u32_e32 v13, vcc, v10, v29, vcc
	v_lshlrev_b64 v[14:15], 2, v[4:5]
	v_add_u32_e32 v4, 0xc00, v2
	v_add_co_u32_e32 v14, vcc, s19, v14
	v_addc_co_u32_e32 v15, vcc, v10, v15, vcc
	v_lshlrev_b64 v[16:17], 2, v[4:5]
	v_add_u32_e32 v4, 0xe00, v2
	global_load_dword v26, v[12:13], off
	global_load_dword v27, v[18:19], off
	;; [unrolled: 1-line block ×4, first 2 shown]
	v_add_co_u32_e32 v12, vcc, s19, v16
	v_addc_co_u32_e32 v13, vcc, v10, v17, vcc
	v_lshlrev_b64 v[14:15], 2, v[4:5]
	v_add_co_u32_e32 v14, vcc, s19, v14
	v_addc_co_u32_e32 v15, vcc, v10, v15, vcc
	global_load_dword v16, v[12:13], off
	global_load_dword v17, v[22:23], off
	;; [unrolled: 1-line block ×4, first 2 shown]
	v_add_u32_e32 v8, -8, v8
	s_add_i32 s21, s21, 16
	v_cmp_eq_u32_e32 vcc, 0, v8
	v_add_u32_e32 v3, 0x1000, v3
	v_mov_b32_e32 v4, s21
	s_or_b64 s[12:13], vcc, s[12:13]
	v_add_u32_e32 v2, 0x1000, v2
	s_waitcnt vmcnt(14)
	ds_write2st64_b32 v9, v1, v11 offset1:4
	s_waitcnt vmcnt(12)
	ds_write2st64_b32 v9, v32, v33 offset0:8 offset1:12
	s_waitcnt vmcnt(10)
	ds_write2st64_b32 v9, v30, v31 offset0:16 offset1:20
	;; [unrolled: 2-line block ×7, first 2 shown]
	v_add_u32_e32 v9, 0x4000, v9
	s_andn2_b64 exec, exec, s[12:13]
	s_cbranch_execnz .LBB4_4
; %bb.5:
	s_or_b64 exec, exec, s[12:13]
.LBB4_6:
	s_or_b64 exec, exec, s[10:11]
	v_and_b32_e32 v1, 7, v7
	v_cmp_ne_u32_e32 vcc, 0, v1
	s_and_saveexec_b64 s[10:11], vcc
	s_cbranch_execz .LBB4_9
; %bb.7:
	v_lshlrev_b32_e32 v5, 2, v0
	v_lshl_or_b32 v4, v4, 10, v5
	v_add_u32_e32 v7, 0, v4
	s_mov_b64 s[12:13], 0
	v_mov_b32_e32 v8, s20
	v_mov_b32_e32 v5, 0
.LBB4_8:                                ; =>This Inner Loop Header: Depth=1
	v_mov_b32_e32 v4, v2
	v_lshlrev_b64 v[10:11], 2, v[4:5]
	v_mov_b32_e32 v4, v3
	v_add_co_u32_e32 v10, vcc, s19, v10
	v_addc_co_u32_e32 v11, vcc, v8, v11, vcc
	v_lshlrev_b64 v[12:13], 2, v[4:5]
	v_add_co_u32_e32 v12, vcc, s19, v12
	v_addc_co_u32_e32 v13, vcc, v8, v13, vcc
	global_load_dword v4, v[10:11], off
	global_load_dword v9, v[12:13], off
	v_add_u32_e32 v1, -1, v1
	v_cmp_eq_u32_e32 vcc, 0, v1
	v_add_u32_e32 v2, 0x200, v2
	v_add_u32_e32 v3, 0x200, v3
	s_or_b64 s[12:13], vcc, s[12:13]
	s_waitcnt vmcnt(0)
	ds_write2st64_b32 v7, v4, v9 offset1:4
	v_add_u32_e32 v7, 0x800, v7
	s_andn2_b64 exec, exec, s[12:13]
	s_cbranch_execnz .LBB4_8
.LBB4_9:
	s_or_b64 exec, exec, s[10:11]
	v_add_u32_e32 v1, 1, v6
	v_and_b32_e32 v3, 0x1fffffe, v1
	v_cmp_ne_u32_e32 vcc, v1, v3
	v_lshl_or_b32 v2, v3, 8, v0
	s_orn2_b64 s[10:11], vcc, exec
.LBB4_10:
	s_or_b64 exec, exec, s[8:9]
	s_and_b64 exec, exec, s[10:11]
	s_cbranch_execz .LBB4_13
; %bb.11:
	s_lshl_b64 s[8:9], s[4:5], 3
	v_mov_b32_e32 v3, 0
	s_add_u32 s2, s2, s8
	v_lshlrev_b64 v[4:5], 2, v[2:3]
	s_addc_u32 s3, s3, s9
	v_mov_b32_e32 v1, s3
	v_add_co_u32_e32 v4, vcc, s2, v4
	v_addc_co_u32_e32 v5, vcc, v1, v5, vcc
	v_lshl_add_u32 v1, v2, 2, 0
	s_mov_b64 s[2:3], 0
.LBB4_12:                               ; =>This Inner Loop Header: Depth=1
	global_load_dword v3, v[4:5], off
	v_add_co_u32_e32 v4, vcc, 0x400, v4
	v_add_u32_e32 v2, 0x100, v2
	v_addc_co_u32_e32 v5, vcc, 0, v5, vcc
	v_cmp_le_i32_e32 vcc, s18, v2
	s_or_b64 s[2:3], vcc, s[2:3]
	s_waitcnt vmcnt(0)
	ds_write_b32 v1, v3
	v_add_u32_e32 v1, 0x400, v1
	s_andn2_b64 exec, exec, s[2:3]
	s_cbranch_execnz .LBB4_12
.LBB4_13:
	s_or_b64 exec, exec, s[6:7]
	v_mov_b32_e32 v1, 0
	s_waitcnt lgkmcnt(0)
	s_barrier
	ds_read_b32 v1, v1
	s_cmp_lt_i32 s17, 2
	s_cbranch_scc1 .LBB4_21
; %bb.14:
	s_add_i32 s2, s17, -1
	s_add_i32 s3, s17, -2
	s_cmp_lt_u32 s3, 7
	s_cbranch_scc1 .LBB4_18
; %bb.15:
	s_mov_b32 s6, 0
	s_add_i32 s3, 0, 8
	s_and_b32 s5, s2, -8
.LBB4_16:                               ; =>This Inner Loop Header: Depth=1
	v_mov_b32_e32 v8, s3
	ds_read2_b32 v[2:3], v8 offset1:2
	ds_read2_b32 v[4:5], v8 offset0:4 offset1:6
	ds_read2_b32 v[6:7], v8 offset0:8 offset1:10
	;; [unrolled: 1-line block ×3, first 2 shown]
	s_mov_b32 s7, s6
	s_waitcnt lgkmcnt(3)
	v_max3_f32 v1, v1, v2, v3
	s_waitcnt lgkmcnt(2)
	v_max3_f32 v1, v1, v4, v5
	s_add_i32 s3, s3, 64
	s_add_i32 s6, s6, 8
	s_waitcnt lgkmcnt(1)
	v_max3_f32 v1, v1, v6, v7
	s_cmp_eq_u32 s5, s6
	s_waitcnt lgkmcnt(0)
	v_max3_f32 v1, v1, v8, v9
	s_cbranch_scc0 .LBB4_16
; %bb.17:
	s_add_i32 s3, s7, 9
	s_and_b32 s2, s2, 7
	s_cmp_eq_u32 s2, 0
	s_cbranch_scc0 .LBB4_19
	s_branch .LBB4_21
.LBB4_18:
	s_mov_b32 s3, 1
	s_and_b32 s2, s2, 7
	s_cmp_eq_u32 s2, 0
	s_cbranch_scc1 .LBB4_21
.LBB4_19:
	s_lshl_b32 s3, s3, 3
	s_add_i32 s3, s3, 0
.LBB4_20:                               ; =>This Inner Loop Header: Depth=1
	v_mov_b32_e32 v2, s3
	ds_read_b32 v2, v2
	s_waitcnt lgkmcnt(1)
	v_max_f32_e32 v1, v1, v1
	s_add_i32 s3, s3, 8
	s_add_i32 s2, s2, -1
	s_cmp_lg_u32 s2, 0
	s_waitcnt lgkmcnt(0)
	v_max_f32_e32 v2, v2, v2
	v_max_f32_e32 v1, v1, v2
	s_cbranch_scc1 .LBB4_20
.LBB4_21:
	s_cmp_lt_i32 s17, 1
	s_cbranch_scc1 .LBB4_26
; %bb.22:
	s_lshl_b32 s2, s4, 8
	s_ashr_i32 s3, s2, 31
	s_lshl_b64 s[2:3], s[2:3], 2
	s_add_u32 s18, s0, s2
	s_addc_u32 s19, s1, s3
	s_cmp_lt_u32 s17, 8
	v_mov_b32_e32 v6, 0
	s_cbranch_scc1 .LBB4_27
; %bb.23:
	s_and_b32 s20, s17, 0x7ffffff8
	v_or_b32_e32 v2, 0x700, v0
	s_mov_b32 s21, 0
	v_mov_b32_e32 v5, 0
	s_mov_b32 s22, 0x3fb8aa3b
	s_mov_b32 s23, 0xc2ce8ed0
	;; [unrolled: 1-line block ×3, first 2 shown]
	v_mov_b32_e32 v8, 0x7f800000
	v_mov_b32_e32 v9, s19
	s_mov_b32 s25, 0
	v_mov_b32_e32 v7, 0
	v_mov_b32_e32 v6, 0
.LBB4_24:                               ; =>This Inner Loop Header: Depth=1
	v_add_u32_e32 v4, 0xfffff900, v2
	v_lshlrev_b64 v[26:27], 2, v[4:5]
	v_mov_b32_e32 v3, v5
	v_add_co_u32_e32 v26, vcc, s18, v26
	v_lshlrev_b64 v[28:29], 2, v[2:3]
	v_addc_co_u32_e32 v27, vcc, v9, v27, vcc
	v_add_u32_e32 v4, 0xfffffa00, v2
	v_add_co_u32_e32 v28, vcc, s18, v28
	v_mov_b32_e32 v22, s21
	v_lshlrev_b64 v[30:31], 2, v[4:5]
	v_addc_co_u32_e32 v29, vcc, v9, v29, vcc
	ds_read2_b64 v[10:13], v22 offset1:1
	ds_read2_b64 v[14:17], v22 offset0:2 offset1:3
	ds_read2_b64 v[18:21], v22 offset0:4 offset1:5
	;; [unrolled: 1-line block ×3, first 2 shown]
	v_add_u32_e32 v4, 0xfffffb00, v2
	global_load_dword v3, v[26:27], off
	v_add_co_u32_e32 v26, vcc, s18, v30
	v_addc_co_u32_e32 v27, vcc, v9, v31, vcc
	v_lshlrev_b64 v[30:31], 2, v[4:5]
	v_add_u32_e32 v4, 0xfffffc00, v2
	v_add_co_u32_e32 v30, vcc, s18, v30
	v_addc_co_u32_e32 v31, vcc, v9, v31, vcc
	v_lshlrev_b64 v[32:33], 2, v[4:5]
	v_add_u32_e32 v4, 0xfffffd00, v2
	global_load_dword v34, v[26:27], off
	global_load_dword v35, v[30:31], off
	v_add_co_u32_e32 v26, vcc, s18, v32
	v_addc_co_u32_e32 v27, vcc, v9, v33, vcc
	v_lshlrev_b64 v[30:31], 2, v[4:5]
	v_add_u32_e32 v4, 0xfffffe00, v2
	v_add_co_u32_e32 v30, vcc, s18, v30
	v_addc_co_u32_e32 v31, vcc, v9, v31, vcc
	v_lshlrev_b64 v[32:33], 2, v[4:5]
	global_load_dword v36, v[26:27], off
	v_add_u32_e32 v4, 0xffffff00, v2
	global_load_dword v28, v[28:29], off
	v_add_co_u32_e32 v26, vcc, s18, v32
	v_addc_co_u32_e32 v27, vcc, v9, v33, vcc
	global_load_dword v42, v[30:31], off
	s_waitcnt lgkmcnt(3)
	v_sub_f32_e32 v12, v12, v1
	global_load_dword v26, v[26:27], off
	v_lshlrev_b64 v[30:31], 2, v[4:5]
	v_add_co_u32_e32 v30, vcc, s18, v30
	v_addc_co_u32_e32 v31, vcc, v9, v31, vcc
	global_load_dword v30, v[30:31], off
	s_waitcnt lgkmcnt(2)
	v_sub_f32_e32 v14, v14, v1
	v_sub_f32_e32 v10, v10, v1
	v_mul_f32_e32 v38, 0x3fb8aa3b, v12
	v_mul_f32_e32 v39, 0x3fb8aa3b, v14
	s_waitcnt lgkmcnt(1)
	v_sub_f32_e32 v18, v18, v1
	s_waitcnt lgkmcnt(0)
	v_sub_f32_e32 v22, v22, v1
	v_mul_f32_e32 v37, 0x3fb8aa3b, v10
	v_fma_f32 v45, v12, s22, -v38
	v_rndne_f32_e32 v46, v38
	v_fma_f32 v47, v14, s22, -v39
	v_rndne_f32_e32 v48, v39
	v_sub_f32_e32 v16, v16, v1
	v_sub_f32_e32 v20, v20, v1
	v_mul_f32_e32 v41, 0x3fb8aa3b, v18
	v_mul_f32_e32 v32, 0x3fb8aa3b, v22
	v_fma_f32 v33, v10, s22, -v37
	v_rndne_f32_e32 v44, v37
	v_fmac_f32_e32 v45, 0x32a5705f, v12
	v_sub_f32_e32 v38, v38, v46
	v_fmac_f32_e32 v47, 0x32a5705f, v14
	v_sub_f32_e32 v39, v39, v48
	v_mul_f32_e32 v40, 0x3fb8aa3b, v16
	v_mul_f32_e32 v43, 0x3fb8aa3b, v20
	v_fma_f32 v27, v18, s22, -v41
	v_rndne_f32_e32 v31, v41
	v_fmac_f32_e32 v33, 0x32a5705f, v10
	v_sub_f32_e32 v37, v37, v44
	v_add_f32_e32 v38, v38, v45
	v_fma_f32 v45, v22, s22, -v32
	v_add_f32_e32 v39, v39, v47
	v_rndne_f32_e32 v47, v32
	v_fma_f32 v49, v16, s22, -v40
	v_rndne_f32_e32 v50, v40
	v_fma_f32 v29, v20, s22, -v43
	v_add_f32_e32 v33, v37, v33
	v_rndne_f32_e32 v37, v43
	v_fmac_f32_e32 v27, 0x32a5705f, v18
	v_sub_f32_e32 v41, v41, v31
	v_fmac_f32_e32 v45, 0x32a5705f, v22
	v_sub_f32_e32 v32, v32, v47
	;; [unrolled: 2-line block ×3, first 2 shown]
	v_add_f32_e32 v27, v41, v27
	v_cvt_i32_f32_e32 v44, v44
	v_fmac_f32_e32 v29, 0x32a5705f, v20
	v_sub_f32_e32 v43, v43, v37
	v_add_f32_e32 v32, v32, v45
	v_exp_f32_e32 v33, v33
	v_add_f32_e32 v40, v40, v49
	v_cvt_i32_f32_e32 v46, v46
	v_cvt_i32_f32_e32 v31, v31
	;; [unrolled: 1-line block ×3, first 2 shown]
	v_add_f32_e32 v29, v43, v29
	v_exp_f32_e32 v38, v38
	v_exp_f32_e32 v27, v27
	;; [unrolled: 1-line block ×3, first 2 shown]
	v_sub_f32_e32 v24, v24, v1
	v_cvt_i32_f32_e32 v48, v48
	v_cvt_i32_f32_e32 v50, v50
	;; [unrolled: 1-line block ×3, first 2 shown]
	v_exp_f32_e32 v39, v39
	v_exp_f32_e32 v40, v40
	;; [unrolled: 1-line block ×3, first 2 shown]
	v_mul_f32_e32 v4, 0x3fb8aa3b, v24
	v_fma_f32 v49, v24, s22, -v4
	v_rndne_f32_e32 v41, v4
	v_ldexp_f32 v33, v33, v44
	v_cmp_ngt_f32_e64 s[12:13], s23, v10
	v_fmac_f32_e32 v49, 0x32a5705f, v24
	v_sub_f32_e32 v4, v4, v41
	v_ldexp_f32 v38, v38, v46
	v_cmp_ngt_f32_e32 vcc, s23, v12
	v_ldexp_f32 v27, v27, v31
	v_ldexp_f32 v31, v32, v47
	v_cndmask_b32_e64 v32, 0, v33, s[12:13]
	v_cmp_nlt_f32_e64 s[12:13], s24, v10
	v_add_f32_e32 v4, v4, v49
	v_ldexp_f32 v39, v39, v48
	v_cmp_ngt_f32_e64 s[0:1], s23, v14
	v_ldexp_f32 v40, v40, v50
	v_cmp_ngt_f32_e64 s[2:3], s23, v16
	v_cmp_ngt_f32_e64 s[4:5], s23, v18
	v_ldexp_f32 v29, v29, v37
	v_cmp_ngt_f32_e64 s[6:7], s23, v20
	v_cmp_ngt_f32_e64 s[8:9], s23, v22
	v_cndmask_b32_e32 v33, 0, v38, vcc
	v_cmp_nlt_f32_e32 vcc, s24, v12
	v_cndmask_b32_e64 v10, v8, v32, s[12:13]
	v_cvt_i32_f32_e32 v41, v41
	v_exp_f32_e32 v4, v4
	v_cndmask_b32_e64 v12, 0, v39, s[0:1]
	v_cmp_nlt_f32_e64 s[0:1], s24, v14
	v_cndmask_b32_e64 v14, 0, v40, s[2:3]
	v_cmp_nlt_f32_e64 s[2:3], s24, v16
	;; [unrolled: 2-line block ×5, first 2 shown]
	v_cndmask_b32_e32 v22, v8, v33, vcc
	v_fmac_f32_e32 v7, v10, v11
	s_waitcnt vmcnt(7)
	v_fmac_f32_e32 v6, v3, v10
	v_cndmask_b32_e64 v12, v8, v12, s[0:1]
	v_fmac_f32_e32 v7, v22, v13
	s_waitcnt vmcnt(6)
	v_fmac_f32_e32 v6, v34, v22
	v_cndmask_b32_e64 v14, v8, v14, s[2:3]
	;; [unrolled: 4-line block ×3, first 2 shown]
	v_fmac_f32_e32 v7, v14, v17
	s_waitcnt vmcnt(4)
	v_fmac_f32_e32 v6, v36, v14
	v_ldexp_f32 v4, v4, v41
	v_cmp_ngt_f32_e64 s[10:11], s23, v24
	v_cndmask_b32_e64 v18, v8, v18, s[6:7]
	v_fmac_f32_e32 v7, v16, v19
	s_waitcnt vmcnt(2)
	v_fmac_f32_e32 v6, v42, v16
	v_cndmask_b32_e64 v4, 0, v4, s[10:11]
	v_cmp_nlt_f32_e64 s[10:11], s24, v24
	v_cndmask_b32_e64 v20, v8, v20, s[8:9]
	v_fmac_f32_e32 v7, v18, v21
	s_waitcnt vmcnt(1)
	v_fmac_f32_e32 v6, v26, v18
	s_add_i32 s25, s25, 8
	s_add_i32 s21, s21, 64
	v_cndmask_b32_e64 v4, v8, v4, s[10:11]
	v_fmac_f32_e32 v7, v20, v23
	s_waitcnt vmcnt(0)
	v_fmac_f32_e32 v6, v30, v20
	s_cmp_eq_u32 s20, s25
	v_add_u32_e32 v2, 0x800, v2
	v_fmac_f32_e32 v7, v4, v25
	v_fmac_f32_e32 v6, v28, v4
	s_cbranch_scc0 .LBB4_24
; %bb.25:
	s_and_b32 s0, s17, 7
	s_cmp_eq_u32 s0, 0
	s_cbranch_scc0 .LBB4_28
	s_branch .LBB4_30
.LBB4_26:
	s_waitcnt lgkmcnt(0)
	v_mov_b32_e32 v1, 0x7fc00000
	s_branch .LBB4_31
.LBB4_27:
	s_mov_b32 s20, 0
	v_mov_b32_e32 v7, 0
	s_and_b32 s0, s17, 7
	s_cmp_eq_u32 s0, 0
	s_cbranch_scc1 .LBB4_30
.LBB4_28:
	s_lshl_b32 s1, s20, 3
	v_lshl_or_b32 v2, s20, 8, v0
	s_add_i32 s1, s1, 0
	s_mov_b32 s2, 0x3fb8aa3b
	s_mov_b32 s3, 0xc2ce8ed0
	;; [unrolled: 1-line block ×3, first 2 shown]
	v_mov_b32_e32 v4, 0x7f800000
	v_mov_b32_e32 v3, 0
	;; [unrolled: 1-line block ×3, first 2 shown]
.LBB4_29:                               ; =>This Inner Loop Header: Depth=1
	v_lshlrev_b64 v[8:9], 2, v[2:3]
	v_add_co_u32_e32 v8, vcc, s18, v8
	v_addc_co_u32_e32 v9, vcc, v5, v9, vcc
	global_load_dword v10, v[8:9], off
	v_mov_b32_e32 v8, s1
	ds_read_b64 v[8:9], v8
	s_add_i32 s1, s1, 8
	s_add_i32 s0, s0, -1
	v_add_u32_e32 v2, 0x100, v2
	s_cmp_lg_u32 s0, 0
	s_waitcnt lgkmcnt(0)
	v_sub_f32_e32 v8, v8, v1
	v_mul_f32_e32 v11, 0x3fb8aa3b, v8
	v_fma_f32 v12, v8, s2, -v11
	v_rndne_f32_e32 v13, v11
	v_fmac_f32_e32 v12, 0x32a5705f, v8
	v_sub_f32_e32 v11, v11, v13
	v_add_f32_e32 v11, v11, v12
	v_cvt_i32_f32_e32 v13, v13
	v_exp_f32_e32 v11, v11
	v_cmp_ngt_f32_e32 vcc, s3, v8
	v_ldexp_f32 v11, v11, v13
	v_cndmask_b32_e32 v11, 0, v11, vcc
	v_cmp_nlt_f32_e32 vcc, s4, v8
	v_cndmask_b32_e32 v8, v4, v11, vcc
	v_fmac_f32_e32 v7, v8, v9
	s_waitcnt vmcnt(0)
	v_fmac_f32_e32 v6, v10, v8
	s_cbranch_scc1 .LBB4_29
.LBB4_30:
	s_waitcnt lgkmcnt(0)
	v_div_scale_f32 v1, s[0:1], v7, v7, v6
	v_rcp_f32_e32 v2, v1
	v_div_scale_f32 v3, vcc, v6, v7, v6
	v_fma_f32 v4, -v1, v2, 1.0
	v_fmac_f32_e32 v2, v4, v2
	v_mul_f32_e32 v4, v3, v2
	v_fma_f32 v5, -v1, v4, v3
	v_fmac_f32_e32 v4, v5, v2
	v_fma_f32 v1, -v1, v4, v3
	v_div_fmas_f32 v1, v1, v2, v4
	v_div_fixup_f32 v1, v1, v7, v6
.LBB4_31:
	s_lshl_b32 s0, s16, 8
	s_ashr_i32 s1, s0, 31
	s_lshl_b64 s[0:1], s[0:1], 2
	s_add_u32 s0, s14, s0
	s_addc_u32 s1, s15, s1
	v_lshlrev_b32_e32 v0, 2, v0
	global_store_dword v0, v1, s[0:1]
	s_endpgm
	.section	.rodata,"a",@progbits
	.p2align	6, 0x0
	.amdhsa_kernel _ZL26flash_attn_combine_resultsILi256EEvPKfPK15HIP_vector_typeIfLj2EEPfi
		.amdhsa_group_segment_fixed_size 0
		.amdhsa_private_segment_fixed_size 0
		.amdhsa_kernarg_size 288
		.amdhsa_user_sgpr_count 6
		.amdhsa_user_sgpr_private_segment_buffer 1
		.amdhsa_user_sgpr_dispatch_ptr 0
		.amdhsa_user_sgpr_queue_ptr 0
		.amdhsa_user_sgpr_kernarg_segment_ptr 1
		.amdhsa_user_sgpr_dispatch_id 0
		.amdhsa_user_sgpr_flat_scratch_init 0
		.amdhsa_user_sgpr_kernarg_preload_length 0
		.amdhsa_user_sgpr_kernarg_preload_offset 0
		.amdhsa_user_sgpr_private_segment_size 0
		.amdhsa_uses_dynamic_stack 0
		.amdhsa_system_sgpr_private_segment_wavefront_offset 0
		.amdhsa_system_sgpr_workgroup_id_x 1
		.amdhsa_system_sgpr_workgroup_id_y 1
		.amdhsa_system_sgpr_workgroup_id_z 1
		.amdhsa_system_sgpr_workgroup_info 0
		.amdhsa_system_vgpr_workitem_id 0
		.amdhsa_next_free_vgpr 51
		.amdhsa_next_free_sgpr 26
		.amdhsa_accum_offset 52
		.amdhsa_reserve_vcc 1
		.amdhsa_reserve_flat_scratch 0
		.amdhsa_float_round_mode_32 0
		.amdhsa_float_round_mode_16_64 0
		.amdhsa_float_denorm_mode_32 3
		.amdhsa_float_denorm_mode_16_64 3
		.amdhsa_dx10_clamp 1
		.amdhsa_ieee_mode 1
		.amdhsa_fp16_overflow 0
		.amdhsa_tg_split 0
		.amdhsa_exception_fp_ieee_invalid_op 0
		.amdhsa_exception_fp_denorm_src 0
		.amdhsa_exception_fp_ieee_div_zero 0
		.amdhsa_exception_fp_ieee_overflow 0
		.amdhsa_exception_fp_ieee_underflow 0
		.amdhsa_exception_fp_ieee_inexact 0
		.amdhsa_exception_int_div_zero 0
	.end_amdhsa_kernel
	.section	.text._ZL26flash_attn_combine_resultsILi256EEvPKfPK15HIP_vector_typeIfLj2EEPfi,"axG",@progbits,_ZL26flash_attn_combine_resultsILi256EEvPKfPK15HIP_vector_typeIfLj2EEPfi,comdat
.Lfunc_end4:
	.size	_ZL26flash_attn_combine_resultsILi256EEvPKfPK15HIP_vector_typeIfLj2EEPfi, .Lfunc_end4-_ZL26flash_attn_combine_resultsILi256EEvPKfPK15HIP_vector_typeIfLj2EEPfi
                                        ; -- End function
	.section	.AMDGPU.csdata,"",@progbits
; Kernel info:
; codeLenInByte = 3048
; NumSgprs: 30
; NumVgprs: 51
; NumAgprs: 0
; TotalNumVgprs: 51
; ScratchSize: 0
; MemoryBound: 0
; FloatMode: 240
; IeeeMode: 1
; LDSByteSize: 0 bytes/workgroup (compile time only)
; SGPRBlocks: 3
; VGPRBlocks: 6
; NumSGPRsForWavesPerEU: 30
; NumVGPRsForWavesPerEU: 51
; AccumOffset: 52
; Occupancy: 8
; WaveLimiterHint : 0
; COMPUTE_PGM_RSRC2:SCRATCH_EN: 0
; COMPUTE_PGM_RSRC2:USER_SGPR: 6
; COMPUTE_PGM_RSRC2:TRAP_HANDLER: 0
; COMPUTE_PGM_RSRC2:TGID_X_EN: 1
; COMPUTE_PGM_RSRC2:TGID_Y_EN: 1
; COMPUTE_PGM_RSRC2:TGID_Z_EN: 1
; COMPUTE_PGM_RSRC2:TIDIG_COMP_CNT: 0
; COMPUTE_PGM_RSRC3_GFX90A:ACCUM_OFFSET: 12
; COMPUTE_PGM_RSRC3_GFX90A:TG_SPLIT: 0
	.section	.text._ZL15flash_attn_tileILi256ELi256ELi2ELi8ELb0EEvPKcS1_S1_S1_S1_PKiPfP15HIP_vector_typeIfLj2EEffffjfiS5_IjLj3EEiiiiiiiiiiiliiliiiiil,"axG",@progbits,_ZL15flash_attn_tileILi256ELi256ELi2ELi8ELb0EEvPKcS1_S1_S1_S1_PKiPfP15HIP_vector_typeIfLj2EEffffjfiS5_IjLj3EEiiiiiiiiiiiliiliiiiil,comdat
	.globl	_ZL15flash_attn_tileILi256ELi256ELi2ELi8ELb0EEvPKcS1_S1_S1_S1_PKiPfP15HIP_vector_typeIfLj2EEffffjfiS5_IjLj3EEiiiiiiiiiiiliiliiiiil ; -- Begin function _ZL15flash_attn_tileILi256ELi256ELi2ELi8ELb0EEvPKcS1_S1_S1_S1_PKiPfP15HIP_vector_typeIfLj2EEffffjfiS5_IjLj3EEiiiiiiiiiiiliiliiiiil
	.p2align	8
	.type	_ZL15flash_attn_tileILi256ELi256ELi2ELi8ELb0EEvPKcS1_S1_S1_S1_PKiPfP15HIP_vector_typeIfLj2EEffffjfiS5_IjLj3EEiiiiiiiiiiiliiliiiiil,@function
_ZL15flash_attn_tileILi256ELi256ELi2ELi8ELb0EEvPKcS1_S1_S1_S1_PKiPfP15HIP_vector_typeIfLj2EEffffjfiS5_IjLj3EEiiiiiiiiiiiliiliiiiil: ; @_ZL15flash_attn_tileILi256ELi256ELi2ELi8ELb0EEvPKcS1_S1_S1_S1_PKiPfP15HIP_vector_typeIfLj2EEffffjfiS5_IjLj3EEiiiiiiiiiiiliiliiiiil
; %bb.0:
	s_load_dwordx4 s[24:27], s[4:5], 0x5c
	s_load_dwordx2 s[28:29], s[4:5], 0x80
	s_load_dwordx2 s[34:35], s[4:5], 0xb8
	s_mov_b64 s[30:31], 0
	s_waitcnt lgkmcnt(0)
	s_ashr_i32 s0, s27, 31
	s_lshr_b32 s0, s0, 29
	s_add_i32 s0, s27, s0
	s_ashr_i32 s0, s0, 3
	v_cvt_f32_u32_e32 v1, s0
	s_sub_i32 s1, 0, s0
	v_rcp_iflag_f32_e32 v1, v1
	v_mul_f32_e32 v1, 0x4f7ffffe, v1
	v_cvt_u32_f32_e32 v1, v1
	v_readfirstlane_b32 s2, v1
	s_mul_i32 s1, s1, s2
	s_mul_hi_u32 s1, s2, s1
	s_add_i32 s2, s2, s1
	s_mul_hi_u32 s1, s8, s2
	s_mul_i32 s2, s1, s0
	s_sub_i32 s2, s8, s2
	s_add_i32 s3, s1, 1
	s_sub_i32 s9, s2, s0
	s_cmp_ge_u32 s2, s0
	s_cselect_b32 s1, s3, s1
	s_cselect_b32 s2, s9, s2
	s_add_i32 s3, s1, 1
	s_cmp_ge_u32 s2, s0
	s_cselect_b32 s33, s3, s1
	s_abs_i32 s0, s29
	v_cvt_f32_u32_e32 v1, s0
	s_lshl_b32 s1, s8, 3
	s_mul_i32 s8, s33, s27
	s_xor_b32 s2, s27, s29
	v_rcp_iflag_f32_e32 v1, v1
	s_sub_i32 s9, 0, s0
	s_sub_i32 s29, s1, s8
	s_abs_i32 s3, s27
	v_mul_f32_e32 v1, 0x4f7ffffe, v1
	v_cvt_u32_f32_e32 v1, v1
	s_ashr_i32 s2, s2, 31
	v_readfirstlane_b32 s1, v1
	s_mul_i32 s9, s9, s1
	s_mul_hi_u32 s8, s1, s9
	s_add_i32 s1, s1, s8
	s_mul_hi_u32 s1, s3, s1
	s_mul_i32 s8, s1, s0
	s_sub_i32 s3, s3, s8
	s_add_i32 s9, s1, 1
	s_sub_i32 s8, s3, s0
	s_cmp_ge_u32 s3, s0
	s_cselect_b32 s1, s9, s1
	s_cselect_b32 s3, s8, s3
	s_add_i32 s8, s1, 1
	s_cmp_ge_u32 s3, s0
	s_cselect_b32 s0, s8, s1
	s_xor_b32 s0, s0, s2
	s_sub_i32 s37, s0, s2
	s_abs_i32 s36, s37
	v_cvt_f32_u32_e32 v1, s36
	s_load_dwordx16 s[8:23], s[4:5], 0x0
	v_rcp_iflag_f32_e32 v1, v1
	s_waitcnt lgkmcnt(0)
	s_cmp_eq_u64 s[14:15], 0
	v_mul_f32_e32 v1, 0x4f7ffffe, v1
	v_cvt_u32_f32_e32 v1, v1
	v_readfirstlane_b32 s38, v1
	s_cbranch_scc1 .LBB5_2
; %bb.1:
	s_abs_i32 s2, s34
	v_cvt_f32_u32_e32 v1, s2
	s_sub_i32 s31, 0, s2
	s_abs_i32 s30, s33
	s_ashr_i32 s3, s33, 31
	v_rcp_iflag_f32_e32 v1, v1
	s_load_dwordx2 s[0:1], s[4:5], 0xc8
	v_mul_f32_e32 v1, 0x4f7ffffe, v1
	v_cvt_u32_f32_e32 v1, v1
	v_readfirstlane_b32 s34, v1
	s_mul_i32 s31, s31, s34
	s_mul_hi_u32 s31, s34, s31
	s_add_i32 s34, s34, s31
	s_mul_hi_u32 s31, s30, s34
	s_mul_i32 s31, s31, s2
	s_sub_i32 s30, s30, s31
	s_sub_i32 s31, s30, s2
	s_cmp_ge_u32 s30, s2
	s_cselect_b32 s30, s31, s30
	s_sub_i32 s31, s30, s2
	s_cmp_ge_u32 s30, s2
	s_cselect_b32 s2, s31, s30
	s_xor_b32 s2, s2, s3
	s_sub_i32 s2, s2, s3
	s_ashr_i32 s3, s2, 31
	s_waitcnt lgkmcnt(0)
	s_mul_i32 s1, s2, s1
	s_mul_hi_u32 s30, s2, s0
	s_add_i32 s1, s30, s1
	s_mul_i32 s3, s3, s0
	s_add_i32 s1, s1, s3
	s_mul_i32 s2, s2, s0
	s_add_u32 s30, s14, s2
	s_addc_u32 s31, s15, s1
.LBB5_2:
	s_load_dwordx4 s[0:3], s[4:5], 0x70
	v_bfe_u32 v1, v0, 10, 10
	v_lshrrev_b32_e32 v2, 2, v1
	v_lshl_add_u32 v9, s6, 1, v2
	v_mul_hi_u32 v2, s24, v9
	s_waitcnt lgkmcnt(0)
	s_mul_i32 s2, s33, s2
	s_ashr_i32 s14, s2, 31
	s_mul_i32 s3, s29, s1
	s_add_u32 s2, s8, s2
	s_addc_u32 s8, s9, s14
	s_ashr_i32 s9, s3, 31
	v_add_u32_e32 v2, v9, v2
	s_add_u32 s14, s2, s3
	v_lshrrev_b32_e32 v2, s25, v2
	s_addc_u32 s8, s8, s9
	v_mul_lo_u32 v2, v2, s26
	s_ashr_i32 s15, s0, 31
	v_mov_b32_e32 v4, s0
	v_sub_u32_e32 v2, v9, v2
	v_alignbit_b32 v4, s15, v4, 2
	v_mad_u64_u32 v[4:5], s[2:3], v4, v2, 0
	v_mov_b32_e32 v6, v5
	s_lshr_b32 s0, s15, 2
	v_mad_u64_u32 v[6:7], s[2:3], s0, v2, v[6:7]
	v_mov_b32_e32 v5, v6
	v_lshlrev_b64 v[4:5], 2, v[4:5]
	v_and_b32_e32 v8, 0x3ff, v0
	v_mov_b32_e32 v0, s8
	v_add_co_u32_e32 v4, vcc, s14, v4
	v_addc_co_u32_e32 v0, vcc, v0, v5, vcc
	v_lshlrev_b32_e32 v5, 4, v8
	v_add_co_u32_e32 v10, vcc, v4, v5
	v_lshlrev_b32_e32 v3, 1, v1
	s_ashr_i32 s9, s1, 31
	v_addc_co_u32_e32 v20, vcc, 0, v0, vcc
	v_mov_b32_e32 v0, s1
	v_and_b32_e32 v11, 6, v3
	v_alignbit_b32 v18, s9, v0, 2
	v_mad_u64_u32 v[4:5], s[0:1], v18, v11, 0
	v_mov_b32_e32 v0, v5
	s_lshr_b32 s2, s9, 2
	v_mad_u64_u32 v[6:7], s[0:1], s2, v11, v[0:1]
	v_mov_b32_e32 v5, v6
	v_lshlrev_b64 v[4:5], 2, v[4:5]
	v_add_co_u32_e32 v16, vcc, v10, v4
	v_or_b32_e32 v26, 1, v3
	v_addc_co_u32_e32 v17, vcc, v20, v5, vcc
	v_and_b32_e32 v19, 7, v26
	global_load_dwordx4 v[4:7], v[16:17], off
	global_load_dwordx4 v[12:15], v[16:17], off offset:512
	v_mad_u64_u32 v[16:17], s[0:1], v18, v19, 0
	v_mov_b32_e32 v0, v17
	v_mad_u64_u32 v[18:19], s[0:1], s2, v19, v[0:1]
	v_mov_b32_e32 v17, v18
	v_lshlrev_b64 v[16:17], 2, v[16:17]
	v_add_co_u32_e32 v24, vcc, v10, v16
	v_addc_co_u32_e32 v25, vcc, v20, v17, vcc
	global_load_dwordx4 v[16:19], v[24:25], off
	global_load_dwordx4 v[20:23], v[24:25], off offset:512
	s_load_dword s0, s[4:5], 0x40
	s_mov_b32 s1, 0
	v_lshlrev_b32_e32 v0, 1, v8
	v_lshlrev_b32_e32 v10, 8, v1
	v_add_lshl_u32 v10, v10, v0, 2
	v_add_u32_e32 v10, 0x2000, v10
	v_lshlrev_b32_e32 v24, 7, v26
	v_add_lshl_u32 v24, v24, v0, 2
	s_cmp_eq_u64 s[18:19], 0
	s_waitcnt vmcnt(3) lgkmcnt(0)
	v_pk_mul_f32 v[4:5], v[4:5], s[0:1] op_sel_hi:[1,0]
	v_pk_mul_f32 v[6:7], v[6:7], s[0:1] op_sel_hi:[1,0]
	s_waitcnt vmcnt(2)
	v_pk_mul_f32 v[12:13], v[12:13], s[0:1] op_sel_hi:[1,0]
	v_pk_mul_f32 v[14:15], v[14:15], s[0:1] op_sel_hi:[1,0]
	v_cvt_f16_f32_e32 v25, v5
	v_cvt_f16_f32_e32 v4, v4
	;; [unrolled: 1-line block ×8, first 2 shown]
	s_waitcnt vmcnt(1)
	v_pk_mul_f32 v[16:17], v[16:17], s[0:1] op_sel_hi:[1,0]
	v_pk_mul_f32 v[18:19], v[18:19], s[0:1] op_sel_hi:[1,0]
	s_waitcnt vmcnt(0)
	v_pk_mul_f32 v[20:21], v[20:21], s[0:1] op_sel_hi:[1,0]
	v_pk_mul_f32 v[22:23], v[22:23], s[0:1] op_sel_hi:[1,0]
	v_pack_b32_f16 v5, v6, v5
	v_pack_b32_f16 v4, v4, v25
	;; [unrolled: 1-line block ×4, first 2 shown]
	v_cvt_f16_f32_e32 v15, v17
	v_cvt_f16_f32_e32 v16, v16
	;; [unrolled: 1-line block ×5, first 2 shown]
	ds_write2_b64 v10, v[4:5], v[6:7] offset0:64 offset1:96
	v_cvt_f16_f32_e32 v6, v23
	v_cvt_f16_f32_e32 v7, v22
	v_cvt_f16_f32_e32 v10, v20
	v_pack_b32_f16 v5, v18, v17
	v_pack_b32_f16 v4, v16, v15
	;; [unrolled: 1-line block ×4, first 2 shown]
	v_add_u32_e32 v10, 0x2000, v24
	ds_write2_b64 v10, v[4:5], v[6:7] offset0:64 offset1:96
	s_waitcnt lgkmcnt(0)
	s_barrier
	s_cbranch_scc1 .LBB5_4
; %bb.3:
	s_load_dword s0, s[4:5], 0xd0
	s_waitcnt lgkmcnt(0)
	s_mul_i32 s0, s0, s33
	s_add_i32 s0, s0, s6
	s_lshl_b64 s[0:1], s[0:1], 2
	s_add_u32 s0, s18, s0
	s_addc_u32 s1, s19, s1
	s_load_dword s28, s[0:1], 0x0
.LBB5_4:
	s_lshl_b32 s14, s7, 5
	v_lshlrev_b32_e32 v13, 2, v8
	s_waitcnt lgkmcnt(0)
	s_cmp_lt_i32 s14, s28
	v_mbcnt_lo_u32_b32 v4, -1, 0
	s_cbranch_scc1 .LBB5_6
; %bb.5:
	v_mbcnt_hi_u32_b32 v41, -1, v4
	v_and_b32_e32 v5, 0x60, v41
	s_mov_b32 s0, 0xfeffffff
	s_mov_b32 s6, 0
	v_add_u32_e32 v42, 32, v5
	v_xor_b32_e32 v47, 16, v41
	v_xor_b32_e32 v46, 8, v41
	;; [unrolled: 1-line block ×5, first 2 shown]
	s_mov_b32 s1, s0
	s_mov_b64 s[2:3], 0
	s_branch .LBB5_7
.LBB5_6:
	s_mov_b64 s[2:3], -1
                                        ; implicit-def: $sgpr6
                                        ; implicit-def: $sgpr0_sgpr1
                                        ; implicit-def: $vgpr41
                                        ; implicit-def: $vgpr42
                                        ; implicit-def: $vgpr47
                                        ; implicit-def: $vgpr46
                                        ; implicit-def: $vgpr45
                                        ; implicit-def: $vgpr44
                                        ; implicit-def: $vgpr43
.LBB5_7:
	s_andn2_b64 vcc, exec, s[2:3]
	v_mov_b32_e32 v17, s6
	v_mov_b32_e32 v49, s6
	v_pk_mov_b32 v[30:31], s[0:1], s[0:1] op_sel:[0,1]
	v_mov_b32_e32 v48, s6
	v_mov_b32_e32 v16, s6
	;; [unrolled: 1-line block ×8, first 2 shown]
	s_cbranch_vccnz .LBB5_10
; %bb.8:
	s_sub_i32 s0, 0, s36
	s_mul_i32 s0, s0, s38
	s_mul_hi_u32 s0, s38, s0
	s_add_i32 s38, s38, s0
	s_load_dwordx2 s[8:9], s[4:5], 0x8c
	s_load_dwordx4 s[0:3], s[4:5], 0x98
	s_abs_i32 s6, s29
	s_ashr_i32 s24, s29, 31
	s_ashr_i32 s25, s37, 31
	s_waitcnt lgkmcnt(0)
	s_ashr_i32 s18, s8, 2
	s_ashr_i32 s8, s33, 31
	s_mul_i32 s1, s33, s1
	s_mul_hi_u32 s34, s33, s0
	s_add_i32 s1, s34, s1
	s_mul_i32 s34, s8, s0
	s_ashr_i32 s15, s2, 2
	s_ashr_i32 s2, s35, 1
	s_add_i32 s1, s1, s34
	s_mul_i32 s0, s33, s0
	s_mul_hi_u32 s19, s6, s38
	s_add_u32 s0, s10, s0
	s_addc_u32 s1, s11, s1
	s_mul_i32 s11, s19, s36
	s_sub_i32 s6, s6, s11
	s_xor_b32 s10, s24, s25
	s_add_i32 s11, s19, 1
	s_sub_i32 s24, s6, s36
	s_cmp_ge_u32 s6, s36
	s_cselect_b32 s11, s11, s19
	s_cselect_b32 s6, s24, s6
	s_add_i32 s19, s11, 1
	s_cmp_ge_u32 s6, s36
	s_cselect_b32 s6, s19, s11
	s_load_dwordx2 s[38:39], s[4:5], 0xa8
	s_xor_b32 s6, s6, s10
	s_sub_i32 s6, s6, s10
	s_mul_i32 s9, s6, s9
	s_ashr_i32 s10, s9, 31
	s_add_u32 s19, s0, s9
	s_addc_u32 s24, s1, s10
	s_waitcnt lgkmcnt(0)
	s_mul_i32 s0, s33, s39
	s_mul_hi_u32 s1, s33, s38
	s_add_i32 s0, s1, s0
	s_mul_i32 s8, s8, s38
	s_add_i32 s0, s0, s8
	s_mul_i32 s1, s33, s38
	s_add_u32 s1, s12, s1
	s_mul_i32 s6, s6, s3
	s_addc_u32 s0, s13, s0
	s_ashr_i32 s3, s6, 31
	s_add_u32 s12, s1, s6
	v_lshrrev_b32_e32 v5, 4, v8
	v_and_b32_e32 v6, 60, v13
	s_addc_u32 s13, s0, s3
	v_add_u32_e32 v3, v5, v3
	v_lshlrev_b32_e32 v5, 2, v6
	s_movk_i32 s0, 0x110
	v_mad_u32_u24 v50, v3, s0, v5
	v_mad_u64_u32 v[18:19], s[0:1], v2, s2, v[8:9]
	v_mov_b32_e32 v2, 0x4200
	v_mul_lo_u32 v16, s18, v3
	v_lshl_add_u32 v54, v1, 7, v2
	v_mul_lo_u32 v2, s15, v1
	v_lshl_add_u32 v22, s18, 4, v16
	v_mov_b32_e32 v3, 0x2200
	v_lshlrev_b32_e32 v56, 2, v13
	v_lshl_add_u32 v26, s15, 3, v2
	v_mbcnt_hi_u32_b32 v41, -1, v4
	v_mov_b32_e32 v15, 0
	v_ashrrev_i32_e32 v17, 31, v16
	v_ashrrev_i32_e32 v23, 31, v22
	v_lshl_add_u32 v53, v1, 10, v3
	v_lshl_add_u32 v55, v0, 1, v54
	;; [unrolled: 1-line block ×3, first 2 shown]
	v_ashrrev_i32_e32 v3, 31, v2
	v_ashrrev_i32_e32 v27, 31, v26
	v_lshlrev_b32_e32 v59, 2, v0
	s_add_u32 s10, s4, 0xd0
	v_mov_b32_e32 v28, 0xfeffffff
	v_and_b32_e32 v0, 0x60, v41
	v_add_u32_e32 v51, 0x1100, v50
	v_mul_u32_u24_e32 v52, 0x110, v8
	v_add_u32_e32 v58, 0x1000, v57
	s_addc_u32 s11, s5, 0
	v_lshlrev_b64 v[20:21], 2, v[16:17]
	v_lshlrev_b32_e32 v60, 2, v6
	v_lshlrev_b64 v[22:23], 2, v[22:23]
	v_mov_b32_e32 v61, s31
	v_add_u32_e32 v42, 32, v0
	v_xor_b32_e32 v47, 16, v41
	v_xor_b32_e32 v46, 8, v41
	;; [unrolled: 1-line block ×5, first 2 shown]
	s_mov_b32 s6, 0x40051340
	s_mov_b32 s25, 0x3fb8aa3b
	;; [unrolled: 1-line block ×4, first 2 shown]
	v_mov_b32_e32 v62, 0x7f800000
	v_lshlrev_b64 v[24:25], 2, v[2:3]
	v_lshlrev_b64 v[26:27], 2, v[26:27]
	v_add_u32_e32 v63, 0x800, v59
	v_add_u32_e32 v64, 0x1000, v59
	;; [unrolled: 1-line block ×3, first 2 shown]
	v_mov_b32_e32 v48, 0
	v_mov_b32_e32 v10, 0
	;; [unrolled: 1-line block ×10, first 2 shown]
.LBB5_9:                                ; =>This Inner Loop Header: Depth=1
	v_cmp_lt_i32_e32 vcc, v47, v42
	v_cndmask_b32_e32 v2, v41, v47, vcc
	v_cmp_lt_i32_e32 vcc, v46, v42
	v_add_u32_e32 v0, s14, v18
	v_cndmask_b32_e32 v3, v41, v46, vcc
	v_cmp_lt_i32_e32 vcc, v45, v42
	s_mul_hi_i32 s1, s14, s18
	s_mul_i32 s0, s14, s18
	v_cndmask_b32_e32 v4, v41, v45, vcc
	v_cmp_lt_i32_e32 vcc, v44, v42
	v_ashrrev_i32_e32 v1, 31, v0
	v_cndmask_b32_e32 v5, v41, v44, vcc
	v_cmp_lt_i32_e32 vcc, v43, v42
	s_lshl_b64 s[0:1], s[0:1], 2
	v_lshlrev_b64 v[0:1], 1, v[0:1]
	v_cndmask_b32_e32 v6, v41, v43, vcc
	s_add_u32 s0, s19, s0
	v_add_co_u32_e32 v0, vcc, s30, v0
	s_addc_u32 s1, s24, s1
	v_addc_co_u32_e32 v1, vcc, v61, v1, vcc
	v_lshlrev_b32_e32 v72, 2, v2
	v_lshlrev_b32_e32 v71, 2, v3
	;; [unrolled: 1-line block ×4, first 2 shown]
	v_mov_b32_e32 v2, s1
	v_mov_b32_e32 v3, s1
	v_add_co_u32_e32 v4, vcc, s0, v22
	v_add_co_u32_e64 v5, s[0:1], s0, v20
	v_lshlrev_b32_e32 v68, 2, v6
	v_addc_co_u32_e64 v6, s[0:1], v2, v21, s[0:1]
	v_addc_co_u32_e32 v3, vcc, v3, v23, vcc
	v_add_co_u32_e64 v82, s[0:1], v5, v60
	v_add_co_u32_e32 v2, vcc, v4, v60
	v_addc_co_u32_e64 v83, s[0:1], 0, v6, s[0:1]
	v_addc_co_u32_e32 v3, vcc, 0, v3, vcc
	global_load_dwordx4 v[4:7], v[82:83], off
	global_load_dwordx4 v[74:77], v[2:3], off
	v_mov_b32_e32 v30, 0
	v_mov_b32_e32 v31, 0
	s_mul_hi_i32 s3, s14, s15
	s_mul_i32 s2, s14, s15
	s_lshl_b64 s[2:3], s[2:3], 2
	s_add_u32 s2, s12, s2
	s_addc_u32 s3, s13, s3
	s_or_b32 s8, s14, 16
	v_mov_b32_e32 v32, s3
	v_add_co_u32_e32 v33, vcc, s2, v24
	v_mov_b32_e32 v34, s3
	v_add_co_u32_e64 v35, s[0:1], s2, v26
	s_mul_hi_i32 s3, s8, s15
	s_mul_i32 s2, s8, s15
	v_addc_co_u32_e32 v32, vcc, v32, v25, vcc
	v_addc_co_u32_e64 v34, vcc, v34, v27, s[0:1]
	v_add_co_u32_e64 v38, s[0:1], v33, v56
	s_lshl_b64 s[2:3], s[2:3], 2
	v_addc_co_u32_e64 v39, s[0:1], 0, v32, s[0:1]
	v_add_co_u32_e32 v36, vcc, v35, v56
	s_add_u32 s0, s12, s2
	v_addc_co_u32_e32 v37, vcc, 0, v34, vcc
	s_addc_u32 s1, s13, s3
	v_mov_b32_e32 v32, s1
	v_mov_b32_e32 v33, s1
	v_add_co_u32_e32 v34, vcc, s0, v26
	v_add_co_u32_e64 v35, s[0:1], s0, v24
	v_addc_co_u32_e64 v73, s[0:1], v32, v25, s[0:1]
	v_addc_co_u32_e32 v33, vcc, v33, v27, vcc
	v_add_co_u32_e32 v32, vcc, v34, v56
	v_add_co_u32_e64 v34, s[0:1], v35, v56
	s_waitcnt vmcnt(1)
	ds_write_b128 v50, v[4:7]
	s_waitcnt vmcnt(0)
	ds_write_b128 v51, v[74:77]
	s_waitcnt lgkmcnt(0)
	s_barrier
	ds_read_b128 v[4:7], v52
	ds_read_b128 v[74:77], v53
	ds_read_b128 v[78:81], v53 offset:512
	s_waitcnt lgkmcnt(1)
	;;#ASMSTART
	v_dot2_f32_f16 v30, v4, v74, v30
	;;#ASMEND
	;;#ASMSTART
	v_dot2_f32_f16 v30, v5, v75, v30
	;;#ASMEND
	;;#ASMSTART
	v_dot2_f32_f16 v30, v6, v76, v30
	;;#ASMEND
	;;#ASMSTART
	v_dot2_f32_f16 v30, v7, v77, v30
	;;#ASMEND
	s_waitcnt lgkmcnt(0)
	;;#ASMSTART
	v_dot2_f32_f16 v31, v4, v78, v31
	;;#ASMEND
	;;#ASMSTART
	v_dot2_f32_f16 v31, v5, v79, v31
	;;#ASMEND
	;;#ASMSTART
	v_dot2_f32_f16 v31, v6, v80, v31
	;;#ASMEND
	;;#ASMSTART
	v_dot2_f32_f16 v31, v7, v81, v31
	;;#ASMEND
	ds_read_b128 v[4:7], v52 offset:16
	ds_read_b128 v[74:77], v53 offset:16
	ds_read_b128 v[78:81], v53 offset:528
	s_waitcnt lgkmcnt(1)
	;;#ASMSTART
	v_dot2_f32_f16 v30, v4, v74, v30
	;;#ASMEND
	;;#ASMSTART
	v_dot2_f32_f16 v30, v5, v75, v30
	;;#ASMEND
	;;#ASMSTART
	v_dot2_f32_f16 v30, v6, v76, v30
	;;#ASMEND
	;;#ASMSTART
	v_dot2_f32_f16 v30, v7, v77, v30
	;;#ASMEND
	s_waitcnt lgkmcnt(0)
	;;#ASMSTART
	v_dot2_f32_f16 v31, v4, v78, v31
	;;#ASMEND
	;;#ASMSTART
	v_dot2_f32_f16 v31, v5, v79, v31
	;;#ASMEND
	;;#ASMSTART
	v_dot2_f32_f16 v31, v6, v80, v31
	;;#ASMEND
	;;#ASMSTART
	v_dot2_f32_f16 v31, v7, v81, v31
	;;#ASMEND
	ds_read_b128 v[4:7], v52 offset:32
	ds_read_b128 v[74:77], v53 offset:32
	;; [unrolled: 29-line block ×15, first 2 shown]
	ds_read_b128 v[78:81], v53 offset:752
	s_waitcnt lgkmcnt(1)
	;;#ASMSTART
	v_dot2_f32_f16 v30, v4, v74, v30
	;;#ASMEND
	;;#ASMSTART
	v_dot2_f32_f16 v30, v5, v75, v30
	;;#ASMEND
	;; [unrolled: 3-line block ×4, first 2 shown]
	s_waitcnt lgkmcnt(0)
	;;#ASMSTART
	v_dot2_f32_f16 v31, v4, v78, v31
	;;#ASMEND
	;;#ASMSTART
	v_dot2_f32_f16 v31, v5, v79, v31
	;;#ASMEND
	;; [unrolled: 3-line block ×4, first 2 shown]
	s_barrier
	global_load_dwordx4 v[4:7], v[82:83], off offset:256
	global_load_dwordx4 v[74:77], v[2:3], off offset:256
	v_addc_co_u32_e64 v35, s[0:1], 0, v73, s[0:1]
	v_max_f32_e32 v66, v29, v29
	v_max_f32_e32 v67, v28, v28
	v_addc_co_u32_e32 v33, vcc, 0, v33, vcc
	s_waitcnt vmcnt(1)
	ds_write_b128 v50, v[4:7]
	s_waitcnt vmcnt(0)
	ds_write_b128 v51, v[74:77]
	s_waitcnt lgkmcnt(0)
	s_barrier
	ds_read_b128 v[2:5], v52
	ds_read_b128 v[74:77], v53 offset:256
	ds_read_b128 v[78:81], v53 offset:768
	s_waitcnt lgkmcnt(1)
	;;#ASMSTART
	v_dot2_f32_f16 v30, v2, v74, v30
	;;#ASMEND
	;;#ASMSTART
	v_dot2_f32_f16 v30, v3, v75, v30
	;;#ASMEND
	;;#ASMSTART
	v_dot2_f32_f16 v30, v4, v76, v30
	;;#ASMEND
	;;#ASMSTART
	v_dot2_f32_f16 v30, v5, v77, v30
	;;#ASMEND
	s_waitcnt lgkmcnt(0)
	;;#ASMSTART
	v_dot2_f32_f16 v31, v2, v78, v31
	;;#ASMEND
	;;#ASMSTART
	v_dot2_f32_f16 v31, v3, v79, v31
	;;#ASMEND
	;;#ASMSTART
	v_dot2_f32_f16 v31, v4, v80, v31
	;;#ASMEND
	;;#ASMSTART
	v_dot2_f32_f16 v31, v5, v81, v31
	;;#ASMEND
	ds_read_b128 v[2:5], v52 offset:16
	ds_read_b128 v[74:77], v53 offset:272
	ds_read_b128 v[78:81], v53 offset:784
	s_waitcnt lgkmcnt(1)
	;;#ASMSTART
	v_dot2_f32_f16 v30, v2, v74, v30
	;;#ASMEND
	;;#ASMSTART
	v_dot2_f32_f16 v30, v3, v75, v30
	;;#ASMEND
	;;#ASMSTART
	v_dot2_f32_f16 v30, v4, v76, v30
	;;#ASMEND
	;;#ASMSTART
	v_dot2_f32_f16 v30, v5, v77, v30
	;;#ASMEND
	s_waitcnt lgkmcnt(0)
	;;#ASMSTART
	v_dot2_f32_f16 v31, v2, v78, v31
	;;#ASMEND
	;;#ASMSTART
	v_dot2_f32_f16 v31, v3, v79, v31
	;;#ASMEND
	;;#ASMSTART
	v_dot2_f32_f16 v31, v4, v80, v31
	;;#ASMEND
	;;#ASMSTART
	v_dot2_f32_f16 v31, v5, v81, v31
	;;#ASMEND
	ds_read_b128 v[2:5], v52 offset:32
	;; [unrolled: 29-line block ×15, first 2 shown]
	ds_read_b128 v[74:77], v53 offset:496
	ds_read_b128 v[78:81], v53 offset:1008
	s_waitcnt lgkmcnt(1)
	;;#ASMSTART
	v_dot2_f32_f16 v30, v2, v74, v30
	;;#ASMEND
	;;#ASMSTART
	v_dot2_f32_f16 v30, v3, v75, v30
	;;#ASMEND
	;;#ASMSTART
	v_dot2_f32_f16 v30, v4, v76, v30
	;;#ASMEND
	;;#ASMSTART
	v_dot2_f32_f16 v30, v5, v77, v30
	;;#ASMEND
	s_waitcnt lgkmcnt(0)
	;;#ASMSTART
	v_dot2_f32_f16 v31, v2, v78, v31
	;;#ASMEND
	;;#ASMSTART
	v_dot2_f32_f16 v31, v3, v79, v31
	;;#ASMEND
	;; [unrolled: 3-line block ×4, first 2 shown]
	flat_load_ushort v73, v[0:1]
	s_waitcnt lgkmcnt(0)
	s_barrier
	global_load_dwordx4 v[0:3], v[38:39], off
	global_load_dwordx4 v[4:7], v[36:37], off
	s_waitcnt vmcnt(0)
	v_cvt_f32_f16_e32 v36, v73
	v_pk_add_f32 v[36:37], v[30:31], v[36:37] op_sel_hi:[1,0]
	v_pk_add_f32 v[30:31], v[36:37], s[6:7] op_sel_hi:[1,0]
	v_max_f32_e32 v31, v66, v31
	v_max_f32_e32 v30, v67, v30
	ds_bpermute_b32 v38, v72, v31
	ds_bpermute_b32 v39, v72, v30
	s_waitcnt lgkmcnt(1)
	v_max_f32_e32 v38, v38, v38
	s_waitcnt lgkmcnt(0)
	v_max_f32_e32 v39, v39, v39
	v_max_f32_e32 v31, v31, v38
	v_max_f32_e32 v30, v30, v39
	ds_bpermute_b32 v38, v71, v31
	ds_bpermute_b32 v39, v71, v30
	s_waitcnt lgkmcnt(1)
	v_max_f32_e32 v38, v38, v38
	s_waitcnt lgkmcnt(0)
	v_max_f32_e32 v39, v39, v39
	;; [unrolled: 8-line block ×5, first 2 shown]
	v_max_f32_e32 v31, v31, v38
	v_max_f32_e32 v30, v30, v39
	v_pk_add_f32 v[36:37], v[36:37], v[30:31] neg_lo:[0,1] neg_hi:[0,1]
	v_mul_f32_e32 v66, 0x3fb8aa3b, v37
	v_mul_f32_e32 v67, 0x3fb8aa3b, v36
	v_fma_f32 v70, v37, s25, -v66
	v_rndne_f32_e32 v71, v66
	v_fma_f32 v72, v36, s25, -v67
	v_rndne_f32_e32 v73, v67
	v_fmac_f32_e32 v70, 0x32a5705f, v37
	v_sub_f32_e32 v66, v66, v71
	v_fmac_f32_e32 v72, 0x32a5705f, v36
	v_sub_f32_e32 v67, v67, v73
	v_pk_add_f32 v[38:39], v[28:29], v[30:31] neg_lo:[0,1] neg_hi:[0,1]
	v_add_f32_e32 v66, v66, v70
	v_add_f32_e32 v67, v67, v72
	v_mul_f32_e32 v68, 0x3fb8aa3b, v39
	v_mul_f32_e32 v69, 0x3fb8aa3b, v38
	v_cvt_i32_f32_e32 v71, v71
	v_cvt_i32_f32_e32 v73, v73
	v_exp_f32_e32 v66, v66
	v_exp_f32_e32 v67, v67
	v_fma_f32 v74, v39, s25, -v68
	v_rndne_f32_e32 v75, v68
	v_fma_f32 v76, v38, s25, -v69
	v_rndne_f32_e32 v77, v69
	v_fmac_f32_e32 v74, 0x32a5705f, v39
	v_sub_f32_e32 v68, v68, v75
	v_fmac_f32_e32 v76, 0x32a5705f, v38
	v_sub_f32_e32 v69, v69, v77
	v_add_f32_e32 v68, v68, v74
	v_add_f32_e32 v69, v69, v76
	v_cvt_i32_f32_e32 v75, v75
	v_cvt_i32_f32_e32 v77, v77
	v_exp_f32_e32 v68, v68
	v_exp_f32_e32 v69, v69
	v_ldexp_f32 v66, v66, v71
	v_ldexp_f32 v67, v67, v73
	v_cmp_ngt_f32_e32 vcc, s31, v36
	v_cmp_ngt_f32_e64 s[8:9], s31, v37
	v_cndmask_b32_e64 v66, 0, v66, s[8:9]
	v_cndmask_b32_e32 v67, 0, v67, vcc
	v_cmp_nlt_f32_e32 vcc, s34, v36
	v_cmp_nlt_f32_e64 s[8:9], s34, v37
	v_cndmask_b32_e64 v37, v62, v66, s[8:9]
	v_cndmask_b32_e32 v36, v62, v67, vcc
	v_cvt_f16_f32_e32 v66, v37
	v_cvt_f16_f32_e32 v67, v36
	v_ldexp_f32 v68, v68, v75
	v_cmp_ngt_f32_e64 s[0:1], s31, v39
	v_ldexp_f32 v69, v69, v77
	v_cmp_ngt_f32_e64 s[2:3], s31, v38
	v_cndmask_b32_e64 v68, 0, v68, s[0:1]
	v_cmp_nlt_f32_e64 s[0:1], s34, v39
	v_cndmask_b32_e64 v69, 0, v69, s[2:3]
	v_cmp_nlt_f32_e64 s[2:3], s34, v38
	v_cndmask_b32_e64 v39, v62, v68, s[0:1]
	v_cndmask_b32_e64 v38, v62, v69, s[2:3]
	v_pk_fma_f32 v[16:17], v[16:17], v[38:39], v[36:37]
	v_pack_b32_f16 v36, v67, v66
	v_cvt_f16_f32_e32 v138, v38
	v_cvt_f16_f32_e32 v139, v39
	ds_write_b32 v55, v36
	ds_write_b128 v57, v[0:3]
	ds_write_b128 v58, v[4:7]
	s_waitcnt lgkmcnt(0)
	s_barrier
	ds_read2_b64 v[0:3], v59 offset1:32
	ds_read_b128 v[4:7], v54
	ds_read_b128 v[36:39], v54 offset:16
	ds_read_b128 v[66:69], v54 offset:32
	;; [unrolled: 1-line block ×3, first 2 shown]
	ds_read2_b64 v[74:77], v59 offset0:64 offset1:96
	ds_read2_b64 v[78:81], v59 offset0:128 offset1:160
	ds_read2_b64 v[82:85], v59 offset0:192 offset1:224
	ds_read2_b64 v[86:89], v63 offset1:32
	ds_read2_b64 v[90:93], v63 offset0:64 offset1:96
	ds_read2_b64 v[94:97], v63 offset0:128 offset1:160
	ds_read2_b64 v[98:101], v63 offset0:192 offset1:224
	ds_read2_b64 v[102:105], v64 offset1:32
	;; [unrolled: 4-line block ×3, first 2 shown]
	ds_read2_b64 v[122:125], v65 offset0:64 offset1:96
	ds_read2_b64 v[126:129], v65 offset0:128 offset1:160
	;; [unrolled: 1-line block ×3, first 2 shown]
	s_waitcnt lgkmcnt(0)
	s_barrier
	global_load_dwordx4 v[134:137], v[34:35], off
	s_nop 0
	global_load_dwordx4 v[32:35], v[32:33], off
	v_pk_mul_f16 v49, v138, v49 op_sel_hi:[0,1]
	v_pk_mul_f16 v14, v138, v14 op_sel_hi:[0,1]
	;; [unrolled: 1-line block ×6, first 2 shown]
	v_pk_mul_f16 v0, v0, v4 op_sel:[0,1]
	v_pk_mul_f16 v141, v1, v4 op_sel_hi:[1,0]
	v_pk_fma_f16 v1, v1, v4, v10 op_sel:[0,1,0]
	v_pk_fma_f16 v10, v2, v4, v49 op_sel_hi:[1,0,1]
	v_pk_fma_f16 v2, v2, v4, v40 op_sel:[0,1,0]
	v_pk_fma_f16 v14, v3, v4, v14 op_sel_hi:[1,0,1]
	;; [unrolled: 2-line block ×3, first 2 shown]
	v_pk_fma_f16 v0, v139, v19, v0 op_sel_hi:[0,1,1]
	v_pk_fma_f16 v12, v138, v12, v141 op_sel_hi:[0,1,1]
	v_pk_fma_f16 v1, v75, v5, v1 op_sel:[0,1,0]
	v_pk_fma_f16 v10, v76, v5, v10 op_sel_hi:[1,0,1]
	v_pk_fma_f16 v2, v76, v5, v2 op_sel:[0,1,0]
	;; [unrolled: 2-line block ×60, first 2 shown]
	v_pk_fma_f16 v49, v131, v73, v5 op_sel_hi:[1,0,1]
	s_waitcnt vmcnt(1)
	ds_write_b128 v57, v[134:137]
	s_waitcnt vmcnt(0)
	ds_write_b128 v58, v[32:35]
	s_waitcnt lgkmcnt(0)
	s_barrier
	ds_read2_b64 v[0:3], v59 offset1:32
	ds_read_b128 v[4:7], v54 offset:64
	ds_read_b128 v[32:35], v54 offset:80
	;; [unrolled: 1-line block ×4, first 2 shown]
	ds_read2_b64 v[70:73], v59 offset0:64 offset1:96
	ds_read2_b64 v[74:77], v59 offset0:128 offset1:160
	ds_read2_b64 v[78:81], v59 offset0:192 offset1:224
	ds_read2_b64 v[82:85], v63 offset1:32
	ds_read2_b64 v[86:89], v63 offset0:64 offset1:96
	ds_read2_b64 v[90:93], v63 offset0:128 offset1:160
	ds_read2_b64 v[94:97], v63 offset0:192 offset1:224
	ds_read2_b64 v[98:101], v64 offset1:32
	;; [unrolled: 4-line block ×3, first 2 shown]
	ds_read2_b64 v[118:121], v65 offset0:64 offset1:96
	ds_read2_b64 v[122:125], v65 offset0:128 offset1:160
	;; [unrolled: 1-line block ×3, first 2 shown]
	s_waitcnt lgkmcnt(14)
	v_pk_fma_f16 v40, v0, v4, v40 op_sel_hi:[1,0,1]
	v_pk_fma_f16 v0, v0, v4, v48 op_sel:[0,1,0]
	v_pk_fma_f16 v48, v1, v4, v49 op_sel_hi:[1,0,1]
	v_pk_fma_f16 v1, v1, v4, v10 op_sel:[0,1,0]
	;; [unrolled: 2-line block ×8, first 2 shown]
	s_waitcnt lgkmcnt(13)
	v_pk_fma_f16 v4, v74, v6, v4 op_sel_hi:[1,0,1]
	v_pk_fma_f16 v0, v74, v6, v0 op_sel:[0,1,0]
	v_pk_fma_f16 v5, v75, v6, v14 op_sel_hi:[1,0,1]
	v_pk_fma_f16 v1, v75, v6, v1 op_sel:[0,1,0]
	v_pk_fma_f16 v10, v76, v6, v10 op_sel_hi:[1,0,1]
	v_pk_fma_f16 v2, v76, v6, v2 op_sel:[0,1,0]
	v_pk_fma_f16 v12, v77, v6, v12 op_sel_hi:[1,0,1]
	v_pk_fma_f16 v3, v77, v6, v3 op_sel:[0,1,0]
	s_waitcnt lgkmcnt(12)
	v_pk_fma_f16 v4, v78, v7, v4 op_sel_hi:[1,0,1]
	v_pk_fma_f16 v0, v78, v7, v0 op_sel:[0,1,0]
	v_pk_fma_f16 v5, v79, v7, v5 op_sel_hi:[1,0,1]
	v_pk_fma_f16 v1, v79, v7, v1 op_sel:[0,1,0]
	v_pk_fma_f16 v6, v80, v7, v10 op_sel_hi:[1,0,1]
	v_pk_fma_f16 v2, v80, v7, v2 op_sel:[0,1,0]
	v_pk_fma_f16 v10, v81, v7, v12 op_sel_hi:[1,0,1]
	v_pk_fma_f16 v3, v81, v7, v3 op_sel:[0,1,0]
	;; [unrolled: 9-line block ×6, first 2 shown]
	s_waitcnt lgkmcnt(0)
	s_barrier
	s_load_dword s0, s[10:11], 0x4
	v_pk_fma_f16 v4, v98, v36, v4 op_sel_hi:[1,0,1]
	v_pk_fma_f16 v0, v98, v36, v0 op_sel:[0,1,0]
	v_pk_fma_f16 v5, v99, v36, v5 op_sel_hi:[1,0,1]
	v_pk_fma_f16 v1, v99, v36, v1 op_sel:[0,1,0]
	;; [unrolled: 2-line block ×20, first 2 shown]
	s_waitcnt lgkmcnt(0)
	s_lshl_b32 s0, s0, 5
	v_pk_fma_f16 v4, v118, v67, v4 op_sel_hi:[1,0,1]
	v_pk_fma_f16 v0, v118, v67, v0 op_sel:[0,1,0]
	v_pk_fma_f16 v5, v119, v67, v5 op_sel_hi:[1,0,1]
	v_pk_fma_f16 v1, v119, v67, v1 op_sel:[0,1,0]
	;; [unrolled: 2-line block ×4, first 2 shown]
	s_add_i32 s14, s0, s14
	v_pk_fma_f16 v4, v122, v68, v4 op_sel_hi:[1,0,1]
	v_pk_fma_f16 v0, v122, v68, v0 op_sel:[0,1,0]
	v_pk_fma_f16 v5, v123, v68, v5 op_sel_hi:[1,0,1]
	v_pk_fma_f16 v1, v123, v68, v1 op_sel:[0,1,0]
	;; [unrolled: 2-line block ×4, first 2 shown]
	v_mov_b32_e32 v28, v30
	v_mov_b32_e32 v29, v31
	s_cmp_ge_i32 s14, s28
	v_pk_fma_f16 v48, v126, v69, v4 op_sel_hi:[1,0,1]
	v_pk_fma_f16 v19, v126, v69, v0 op_sel:[0,1,0]
	v_pk_fma_f16 v12, v127, v69, v5 op_sel_hi:[1,0,1]
	v_pk_fma_f16 v10, v127, v69, v1 op_sel:[0,1,0]
	;; [unrolled: 2-line block ×4, first 2 shown]
	s_cbranch_scc0 .LBB5_9
.LBB5_10:
	v_cmp_lt_i32_e32 vcc, v47, v42
	v_cndmask_b32_e32 v0, v41, v47, vcc
	v_lshlrev_b32_e32 v1, 2, v0
	ds_bpermute_b32 v0, v1, v16
	ds_bpermute_b32 v1, v1, v17
	v_cmp_lt_i32_e32 vcc, v46, v42
	v_cndmask_b32_e32 v2, v41, v46, vcc
	v_lshlrev_b32_e32 v3, 2, v2
	v_cmp_lt_i32_e32 vcc, v45, v42
	s_waitcnt lgkmcnt(0)
	v_pk_add_f32 v[0:1], v[16:17], v[0:1]
	ds_bpermute_b32 v2, v3, v0
	ds_bpermute_b32 v3, v3, v1
	v_cndmask_b32_e32 v4, v41, v45, vcc
	v_lshlrev_b32_e32 v4, 2, v4
	v_cmp_lt_i32_e32 vcc, v44, v42
	s_cmp_lg_u64 s[16:17], 0
	s_waitcnt lgkmcnt(0)
	v_pk_add_f32 v[0:1], v[0:1], v[2:3]
	ds_bpermute_b32 v2, v4, v0
	ds_bpermute_b32 v3, v4, v1
	v_cndmask_b32_e32 v4, v41, v44, vcc
	v_lshlrev_b32_e32 v4, 2, v4
	v_cmp_lt_i32_e32 vcc, v43, v42
	s_cselect_b64 s[0:1], -1, 0
	s_waitcnt lgkmcnt(0)
	v_pk_add_f32 v[0:1], v[0:1], v[2:3]
	ds_bpermute_b32 v2, v4, v0
	ds_bpermute_b32 v3, v4, v1
	v_cndmask_b32_e32 v4, v41, v43, vcc
	v_lshlrev_b32_e32 v4, 2, v4
	s_cmp_eq_u32 s7, 0
	s_cselect_b64 s[2:3], -1, 0
	s_waitcnt lgkmcnt(0)
	v_pk_add_f32 v[0:1], v[0:1], v[2:3]
	ds_bpermute_b32 v2, v4, v0
	ds_bpermute_b32 v3, v4, v1
	s_and_b64 s[0:1], s[2:3], s[0:1]
	s_and_b64 vcc, exec, s[0:1]
	s_waitcnt lgkmcnt(0)
	v_pk_add_f32 v[0:1], v[0:1], v[2:3]
	s_cbranch_vccz .LBB5_12
; %bb.11:
	v_add_u32_e32 v2, s29, v11
	v_ashrrev_i32_e32 v3, 31, v2
	v_lshlrev_b64 v[2:3], 2, v[2:3]
	v_mov_b32_e32 v4, s17
	v_add_co_u32_e32 v2, vcc, s16, v2
	v_addc_co_u32_e32 v3, vcc, v4, v3, vcc
	global_load_dwordx2 v[2:3], v[2:3], off
	v_max_f32_e32 v4, v31, v31
	v_max_f32_e32 v6, v30, v30
	s_mov_b32 s0, 0x3fb8aa3b
	s_mov_b32 s1, 0xc2ce8ed0
	;; [unrolled: 1-line block ×3, first 2 shown]
	v_mov_b32_e32 v16, 0x7f800000
	s_waitcnt vmcnt(0)
	v_max_f32_e32 v5, v3, v3
	v_max_f32_e32 v7, v2, v2
	;; [unrolled: 1-line block ×4, first 2 shown]
	v_pk_add_f32 v[6:7], v[30:31], v[4:5] neg_lo:[0,1] neg_hi:[0,1]
	v_mul_f32_e32 v17, 0x3fb8aa3b, v7
	v_pk_add_f32 v[2:3], v[2:3], v[4:5] neg_lo:[0,1] neg_hi:[0,1]
	v_mul_f32_e32 v18, 0x3fb8aa3b, v6
	v_fma_f32 v22, v7, s0, -v17
	v_rndne_f32_e32 v23, v17
	v_mul_f32_e32 v20, 0x3fb8aa3b, v3
	v_fma_f32 v24, v6, s0, -v18
	v_rndne_f32_e32 v25, v18
	v_fmac_f32_e32 v22, 0x32a5705f, v7
	v_sub_f32_e32 v17, v17, v23
	v_mul_f32_e32 v21, 0x3fb8aa3b, v2
	v_fma_f32 v26, v3, s0, -v20
	v_rndne_f32_e32 v27, v20
	v_fmac_f32_e32 v24, 0x32a5705f, v6
	v_sub_f32_e32 v18, v18, v25
	v_add_f32_e32 v17, v17, v22
	v_fma_f32 v28, v2, s0, -v21
	v_rndne_f32_e32 v29, v21
	v_cvt_i32_f32_e32 v23, v23
	v_fmac_f32_e32 v26, 0x32a5705f, v3
	v_sub_f32_e32 v20, v20, v27
	v_add_f32_e32 v18, v18, v24
	v_exp_f32_e32 v17, v17
	v_cvt_i32_f32_e32 v25, v25
	v_fmac_f32_e32 v28, 0x32a5705f, v2
	v_sub_f32_e32 v21, v21, v29
	v_add_f32_e32 v20, v20, v26
	v_exp_f32_e32 v18, v18
	v_cvt_i32_f32_e32 v27, v27
	v_add_f32_e32 v21, v21, v28
	v_exp_f32_e32 v20, v20
	v_cvt_i32_f32_e32 v29, v29
	v_exp_f32_e32 v21, v21
	v_ldexp_f32 v17, v17, v23
	v_cmp_ngt_f32_e32 vcc, s1, v7
	v_ldexp_f32 v18, v18, v25
	v_cndmask_b32_e32 v17, 0, v17, vcc
	v_cmp_ngt_f32_e32 vcc, s1, v6
	v_ldexp_f32 v20, v20, v27
	v_cndmask_b32_e32 v18, 0, v18, vcc
	v_cmp_ngt_f32_e32 vcc, s1, v3
	v_ldexp_f32 v21, v21, v29
	v_cndmask_b32_e32 v20, 0, v20, vcc
	v_cmp_ngt_f32_e32 vcc, s1, v2
	v_cndmask_b32_e32 v21, 0, v21, vcc
	v_cmp_nlt_f32_e32 vcc, s2, v7
	v_cndmask_b32_e32 v7, v16, v17, vcc
	v_cmp_nlt_f32_e32 vcc, s2, v6
	;; [unrolled: 2-line block ×4, first 2 shown]
	v_cndmask_b32_e32 v2, v16, v21, vcc
	v_cvt_f16_f32_e32 v17, v6
	v_pk_fma_f32 v[0:1], v[0:1], v[6:7], v[2:3]
	v_cvt_f16_f32_e32 v2, v7
	v_pk_mov_b32 v[30:31], v[4:5], v[4:5] op_sel:[0,1]
	v_pk_mul_f16 v48, v17, v48 op_sel_hi:[0,1]
	v_pk_mul_f16 v12, v17, v12 op_sel_hi:[0,1]
	;; [unrolled: 1-line block ×8, first 2 shown]
.LBB5_12:
	v_cmp_gt_i32_e32 vcc, s26, v9
	s_and_saveexec_b64 s[0:1], vcc
	s_cbranch_execz .LBB5_21
; %bb.13:
	s_load_dword s6, s[4:5], 0xd4
	v_mov_b32_e32 v4, 1.0
	s_waitcnt lgkmcnt(0)
	s_cmp_lg_u32 s6, 1
	s_cselect_b64 s[0:1], -1, 0
	s_cmp_eq_u32 s6, 1
	s_cselect_b64 s[2:3], -1, 0
	s_and_b64 vcc, exec, s[0:1]
	s_cbranch_vccnz .LBB5_15
; %bb.14:
	v_div_scale_f32 v2, s[4:5], v0, v0, 1.0
	v_rcp_f32_e32 v3, v2
	v_div_scale_f32 v4, vcc, 1.0, v0, 1.0
	v_fma_f32 v5, -v2, v3, 1.0
	v_fmac_f32_e32 v3, v5, v3
	v_mul_f32_e32 v5, v4, v3
	v_fma_f32 v6, -v2, v5, v4
	v_fmac_f32_e32 v5, v6, v3
	v_fma_f32 v2, -v2, v5, v4
	v_div_fmas_f32 v2, v2, v3, v5
	v_div_fixup_f32 v4, v2, v0, 1.0
.LBB5_15:
	s_mul_i32 s33, s33, s26
	v_add_u32_e32 v2, s33, v9
	v_mul_lo_u32 v2, v2, s27
	v_add3_u32 v2, s29, v11, v2
	v_mul_lo_u32 v2, s6, v2
	v_cmp_eq_u32_e32 vcc, 0, v8
	v_add_u32_e32 v2, s7, v2
	v_cvt_f32_f16_sdwa v9, v48 dst_sel:DWORD dst_unused:UNUSED_PAD src0_sel:WORD_1
	v_cvt_f32_f16_e32 v8, v48
	v_cvt_f32_f16_sdwa v21, v12 dst_sel:DWORD dst_unused:UNUSED_PAD src0_sel:WORD_1
	v_cvt_f32_f16_e32 v20, v12
	v_lshl_add_u32 v16, v2, 8, v13
	v_mov_b32_e32 v17, 0
	v_lshlrev_b64 v[6:7], 2, v[16:17]
	s_and_b64 s[0:1], vcc, s[0:1]
	v_mov_b32_e32 v3, s21
	v_add_co_u32_e32 v22, vcc, s20, v6
	v_addc_co_u32_e32 v23, vcc, v3, v7, vcc
	v_pk_mul_f32 v[6:7], v[4:5], v[8:9] op_sel_hi:[0,1]
	v_pk_mul_f32 v[8:9], v[4:5], v[20:21] op_sel_hi:[0,1]
	v_add_u32_e32 v16, 0x80, v16
	global_store_dwordx4 v[22:23], v[6:9], off
	s_nop 0
	v_lshlrev_b64 v[6:7], 2, v[16:17]
	v_cvt_f32_f16_sdwa v9, v49 dst_sel:DWORD dst_unused:UNUSED_PAD src0_sel:WORD_1
	v_cvt_f32_f16_e32 v8, v49
	v_cvt_f32_f16_sdwa v17, v14 dst_sel:DWORD dst_unused:UNUSED_PAD src0_sel:WORD_1
	v_cvt_f32_f16_e32 v16, v14
	v_add_co_u32_e32 v20, vcc, s20, v6
	v_addc_co_u32_e32 v21, vcc, v3, v7, vcc
	v_pk_mul_f32 v[6:7], v[4:5], v[8:9] op_sel_hi:[0,1]
	v_pk_mul_f32 v[8:9], v[4:5], v[16:17] op_sel_hi:[0,1]
	global_store_dwordx4 v[20:21], v[6:9], off
	s_and_saveexec_b64 s[4:5], s[0:1]
	s_cbranch_execz .LBB5_17
; %bb.16:
	v_ashrrev_i32_e32 v3, 31, v2
	v_lshlrev_b64 v[4:5], 3, v[2:3]
	v_mov_b32_e32 v3, s23
	v_add_co_u32_e32 v4, vcc, s22, v4
	v_addc_co_u32_e32 v5, vcc, v3, v5, vcc
	v_mov_b32_e32 v6, v30
	v_mov_b32_e32 v7, v0
	global_store_dwordx2 v[4:5], v[6:7], off
.LBB5_17:
	s_or_b64 exec, exec, s[4:5]
	s_andn2_b64 vcc, exec, s[2:3]
	v_mov_b32_e32 v0, 1.0
	s_cbranch_vccnz .LBB5_19
; %bb.18:
	v_div_scale_f32 v0, s[2:3], v1, v1, 1.0
	v_rcp_f32_e32 v3, v0
	v_div_scale_f32 v4, vcc, 1.0, v1, 1.0
	v_fma_f32 v5, -v0, v3, 1.0
	v_fmac_f32_e32 v3, v5, v3
	v_mul_f32_e32 v5, v4, v3
	v_fma_f32 v6, -v0, v5, v4
	v_fmac_f32_e32 v5, v6, v3
	v_fma_f32 v0, -v0, v5, v4
	v_div_fmas_f32 v0, v0, v3, v5
	v_div_fixup_f32 v0, v0, v1, 1.0
.LBB5_19:
	v_add_u32_e32 v2, s6, v2
	v_cvt_f32_f16_sdwa v7, v19 dst_sel:DWORD dst_unused:UNUSED_PAD src0_sel:WORD_1
	v_cvt_f32_f16_e32 v6, v19
	v_cvt_f32_f16_sdwa v11, v10 dst_sel:DWORD dst_unused:UNUSED_PAD src0_sel:WORD_1
	v_cvt_f32_f16_e32 v10, v10
	v_lshl_add_u32 v8, v2, 8, v13
	v_mov_b32_e32 v9, 0
	v_lshlrev_b64 v[4:5], 2, v[8:9]
	v_mov_b32_e32 v3, s21
	v_add_co_u32_e32 v12, vcc, s20, v4
	v_addc_co_u32_e32 v13, vcc, v3, v5, vcc
	v_pk_mul_f32 v[4:5], v[0:1], v[6:7] op_sel_hi:[0,1]
	v_pk_mul_f32 v[6:7], v[0:1], v[10:11] op_sel_hi:[0,1]
	v_add_u32_e32 v8, 0x80, v8
	global_store_dwordx4 v[12:13], v[4:7], off
	s_nop 0
	v_lshlrev_b64 v[4:5], 2, v[8:9]
	v_cvt_f32_f16_sdwa v7, v40 dst_sel:DWORD dst_unused:UNUSED_PAD src0_sel:WORD_1
	v_cvt_f32_f16_e32 v6, v40
	v_cvt_f32_f16_sdwa v9, v15 dst_sel:DWORD dst_unused:UNUSED_PAD src0_sel:WORD_1
	v_cvt_f32_f16_e32 v8, v15
	v_add_co_u32_e32 v10, vcc, s20, v4
	v_addc_co_u32_e32 v11, vcc, v3, v5, vcc
	v_pk_mul_f32 v[4:5], v[0:1], v[6:7] op_sel_hi:[0,1]
	v_pk_mul_f32 v[6:7], v[0:1], v[8:9] op_sel_hi:[0,1]
	global_store_dwordx4 v[10:11], v[4:7], off
	s_and_b64 exec, exec, s[0:1]
	s_cbranch_execz .LBB5_21
; %bb.20:
	v_ashrrev_i32_e32 v3, 31, v2
	v_lshlrev_b64 v[2:3], 3, v[2:3]
	v_mov_b32_e32 v0, s23
	v_add_co_u32_e32 v2, vcc, s22, v2
	v_addc_co_u32_e32 v3, vcc, v0, v3, vcc
	v_mov_b32_e32 v0, v31
	global_store_dwordx2 v[2:3], v[0:1], off
.LBB5_21:
	s_endpgm
	.section	.rodata,"a",@progbits
	.p2align	6, 0x0
	.amdhsa_kernel _ZL15flash_attn_tileILi256ELi256ELi2ELi8ELb0EEvPKcS1_S1_S1_S1_PKiPfP15HIP_vector_typeIfLj2EEffffjfiS5_IjLj3EEiiiiiiiiiiiliiliiiiil
		.amdhsa_group_segment_fixed_size 17920
		.amdhsa_private_segment_fixed_size 0
		.amdhsa_kernarg_size 464
		.amdhsa_user_sgpr_count 6
		.amdhsa_user_sgpr_private_segment_buffer 1
		.amdhsa_user_sgpr_dispatch_ptr 0
		.amdhsa_user_sgpr_queue_ptr 0
		.amdhsa_user_sgpr_kernarg_segment_ptr 1
		.amdhsa_user_sgpr_dispatch_id 0
		.amdhsa_user_sgpr_flat_scratch_init 0
		.amdhsa_user_sgpr_kernarg_preload_length 0
		.amdhsa_user_sgpr_kernarg_preload_offset 0
		.amdhsa_user_sgpr_private_segment_size 0
		.amdhsa_uses_dynamic_stack 0
		.amdhsa_system_sgpr_private_segment_wavefront_offset 0
		.amdhsa_system_sgpr_workgroup_id_x 1
		.amdhsa_system_sgpr_workgroup_id_y 1
		.amdhsa_system_sgpr_workgroup_id_z 1
		.amdhsa_system_sgpr_workgroup_info 0
		.amdhsa_system_vgpr_workitem_id 1
		.amdhsa_next_free_vgpr 142
		.amdhsa_next_free_sgpr 40
		.amdhsa_accum_offset 144
		.amdhsa_reserve_vcc 1
		.amdhsa_reserve_flat_scratch 0
		.amdhsa_float_round_mode_32 0
		.amdhsa_float_round_mode_16_64 0
		.amdhsa_float_denorm_mode_32 3
		.amdhsa_float_denorm_mode_16_64 3
		.amdhsa_dx10_clamp 1
		.amdhsa_ieee_mode 1
		.amdhsa_fp16_overflow 0
		.amdhsa_tg_split 0
		.amdhsa_exception_fp_ieee_invalid_op 0
		.amdhsa_exception_fp_denorm_src 0
		.amdhsa_exception_fp_ieee_div_zero 0
		.amdhsa_exception_fp_ieee_overflow 0
		.amdhsa_exception_fp_ieee_underflow 0
		.amdhsa_exception_fp_ieee_inexact 0
		.amdhsa_exception_int_div_zero 0
	.end_amdhsa_kernel
	.section	.text._ZL15flash_attn_tileILi256ELi256ELi2ELi8ELb0EEvPKcS1_S1_S1_S1_PKiPfP15HIP_vector_typeIfLj2EEffffjfiS5_IjLj3EEiiiiiiiiiiiliiliiiiil,"axG",@progbits,_ZL15flash_attn_tileILi256ELi256ELi2ELi8ELb0EEvPKcS1_S1_S1_S1_PKiPfP15HIP_vector_typeIfLj2EEffffjfiS5_IjLj3EEiiiiiiiiiiiliiliiiiil,comdat
.Lfunc_end5:
	.size	_ZL15flash_attn_tileILi256ELi256ELi2ELi8ELb0EEvPKcS1_S1_S1_S1_PKiPfP15HIP_vector_typeIfLj2EEffffjfiS5_IjLj3EEiiiiiiiiiiiliiliiiiil, .Lfunc_end5-_ZL15flash_attn_tileILi256ELi256ELi2ELi8ELb0EEvPKcS1_S1_S1_S1_PKiPfP15HIP_vector_typeIfLj2EEffffjfiS5_IjLj3EEiiiiiiiiiiiliiliiiiil
                                        ; -- End function
	.section	.AMDGPU.csdata,"",@progbits
; Kernel info:
; codeLenInByte = 9956
; NumSgprs: 44
; NumVgprs: 142
; NumAgprs: 0
; TotalNumVgprs: 142
; ScratchSize: 0
; MemoryBound: 0
; FloatMode: 240
; IeeeMode: 1
; LDSByteSize: 17920 bytes/workgroup (compile time only)
; SGPRBlocks: 5
; VGPRBlocks: 17
; NumSGPRsForWavesPerEU: 44
; NumVGPRsForWavesPerEU: 142
; AccumOffset: 144
; Occupancy: 3
; WaveLimiterHint : 1
; COMPUTE_PGM_RSRC2:SCRATCH_EN: 0
; COMPUTE_PGM_RSRC2:USER_SGPR: 6
; COMPUTE_PGM_RSRC2:TRAP_HANDLER: 0
; COMPUTE_PGM_RSRC2:TGID_X_EN: 1
; COMPUTE_PGM_RSRC2:TGID_Y_EN: 1
; COMPUTE_PGM_RSRC2:TGID_Z_EN: 1
; COMPUTE_PGM_RSRC2:TIDIG_COMP_CNT: 1
; COMPUTE_PGM_RSRC3_GFX90A:ACCUM_OFFSET: 35
; COMPUTE_PGM_RSRC3_GFX90A:TG_SPLIT: 0
	.section	.text._ZL25flash_attn_mask_to_KV_maxILi2EEvPK7__half2Piiii,"axG",@progbits,_ZL25flash_attn_mask_to_KV_maxILi2EEvPK7__half2Piiii,comdat
	.globl	_ZL25flash_attn_mask_to_KV_maxILi2EEvPK7__half2Piiii ; -- Begin function _ZL25flash_attn_mask_to_KV_maxILi2EEvPK7__half2Piiii
	.p2align	8
	.type	_ZL25flash_attn_mask_to_KV_maxILi2EEvPK7__half2Piiii,@function
_ZL25flash_attn_mask_to_KV_maxILi2EEvPK7__half2Piiii: ; @_ZL25flash_attn_mask_to_KV_maxILi2EEvPK7__half2Piiii
; %bb.0:
	s_load_dwordx4 s[8:11], s[4:5], 0x0
	v_cmp_gt_u32_e32 vcc, 32, v0
	s_and_saveexec_b64 s[0:1], vcc
	s_cbranch_execz .LBB6_2
; %bb.1:
	v_lshlrev_b32_e32 v1, 2, v0
	v_mov_b32_e32 v2, 1
	ds_write_b32 v1, v2
.LBB6_2:
	s_or_b64 exec, exec, s[0:1]
	s_load_dwordx4 s[12:15], s[4:5], 0x10
	s_load_dword s16, s[4:5], 0x20
	v_and_b32_e32 v2, 31, v0
	v_lshlrev_b32_e32 v4, 2, v2
	v_lshrrev_b32_e32 v1, 3, v0
	s_waitcnt lgkmcnt(0)
	s_mul_i32 s1, s6, s13
	s_mul_i32 s0, s7, s14
	s_lshl_b32 s1, s1, 1
	s_add_i32 s0, s0, s1
	s_ashr_i32 s1, s0, 31
	s_lshl_b64 s[0:1], s[0:1], 2
	s_add_u32 s17, s8, s0
	s_addc_u32 s18, s9, s1
	v_cmp_eq_u32_e64 s[0:1], 0, v2
	v_mbcnt_lo_u32_b32 v2, -1, 0
	v_mbcnt_hi_u32_b32 v5, -1, v2
	v_and_b32_e32 v2, 0x60, v5
	s_lshl_b32 s12, s12, 8
	s_mov_b64 s[4:5], 0
	v_mov_b32_e32 v3, 0
	s_movk_i32 s19, 0x204
	s_movk_i32 s20, 0x7fff
	;; [unrolled: 1-line block ×3, first 2 shown]
	v_add_u32_e32 v6, 32, v2
	v_xor_b32_e32 v7, 16, v5
	v_xor_b32_e32 v8, 8, v5
	;; [unrolled: 1-line block ×5, first 2 shown]
	s_barrier
	s_waitcnt lgkmcnt(0)
                                        ; implicit-def: $sgpr2_sgpr3
	s_branch .LBB6_5
.LBB6_3:                                ;   in Loop: Header=BB6_5 Depth=1
	s_or_b64 exec, exec, s[8:9]
	s_waitcnt lgkmcnt(0)
	s_barrier
	ds_read_b32 v16, v4
	s_waitcnt lgkmcnt(0)
	s_barrier
	ds_bpermute_b32 v2, v2, v16
	v_cmp_ne_u32_e32 vcc, 0, v16
	s_waitcnt lgkmcnt(0)
	v_cmp_ne_u32_e64 s[2:3], 0, v2
	s_and_b64 s[2:3], vcc, s[2:3]
	v_cndmask_b32_e64 v2, 0, 1, s[2:3]
	ds_bpermute_b32 v2, v12, v2
	s_waitcnt lgkmcnt(0)
	v_cmp_ne_u32_e32 vcc, 0, v2
	s_and_b64 s[2:3], vcc, s[2:3]
	v_cndmask_b32_e64 v2, 0, 1, s[2:3]
	ds_bpermute_b32 v2, v13, v2
	s_waitcnt lgkmcnt(0)
	v_cmp_ne_u32_e32 vcc, 0, v2
	;; [unrolled: 5-line block ×3, first 2 shown]
	s_and_b64 s[2:3], vcc, s[2:3]
	v_cndmask_b32_e64 v2, 0, 1, s[2:3]
	ds_bpermute_b32 v2, v15, v2
	s_xor_b64 s[2:3], s[2:3], -1
	s_waitcnt lgkmcnt(0)
	v_cmp_eq_u32_e32 vcc, 0, v2
	s_or_b64 s[2:3], vcc, s[2:3]
.LBB6_4:                                ;   in Loop: Header=BB6_5 Depth=1
	s_and_b64 s[8:9], exec, s[2:3]
	s_or_b64 s[4:5], s[8:9], s[4:5]
	v_mov_b32_e32 v2, s12
	s_mov_b32 s12, s22
	s_andn2_b64 exec, exec, s[4:5]
	s_cbranch_execz .LBB6_12
.LBB6_5:                                ; =>This Inner Loop Header: Depth=1
	s_add_i32 s22, s12, 0xffffff00
	s_or_b64 s[2:3], s[2:3], exec
	s_cmp_lt_i32 s22, 0
	s_cbranch_scc1 .LBB6_4
; %bb.6:                                ;   in Loop: Header=BB6_5 Depth=1
	s_lshr_b32 s2, s22, 1
	v_add_u32_e32 v2, s2, v0
	v_lshlrev_b64 v[12:13], 2, v[2:3]
	v_mov_b32_e32 v14, s18
	v_add_co_u32_e32 v12, vcc, s17, v12
	v_addc_co_u32_e32 v13, vcc, v14, v13, vcc
	global_load_dword v12, v[12:13], off
	s_mov_b64 s[8:9], 0
	s_waitcnt vmcnt(0)
	v_cmp_class_f16_e64 s[2:3], v12, s19
	v_and_b32_sdwa v12, s20, v12 dst_sel:DWORD dst_unused:UNUSED_PAD src0_sel:DWORD src1_sel:WORD_1
	v_cmp_eq_f16_e32 vcc, s21, v12
	s_and_b64 s[14:15], s[2:3], vcc
	s_and_saveexec_b64 s[2:3], s[14:15]
	s_cbranch_execz .LBB6_10
; %bb.7:                                ;   in Loop: Header=BB6_5 Depth=1
	v_add_u32_e32 v12, s13, v2
	v_ashrrev_i32_e32 v13, 31, v12
	v_lshlrev_b64 v[12:13], 2, v[12:13]
	v_mov_b32_e32 v2, s18
	v_add_co_u32_e32 v12, vcc, s17, v12
	v_addc_co_u32_e32 v13, vcc, v2, v13, vcc
	global_load_dword v2, v[12:13], off
	s_waitcnt vmcnt(0)
	v_cmp_class_f16_e64 s[24:25], v2, s19
	s_and_saveexec_b64 s[14:15], s[24:25]
; %bb.8:                                ;   in Loop: Header=BB6_5 Depth=1
	v_cmp_class_f16_sdwa s[8:9], v2, s19 src0_sel:WORD_1 src1_sel:DWORD
	s_and_b64 s[8:9], s[8:9], exec
; %bb.9:                                ;   in Loop: Header=BB6_5 Depth=1
	s_or_b64 exec, exec, s[14:15]
	s_and_b64 s[8:9], s[8:9], exec
.LBB6_10:                               ;   in Loop: Header=BB6_5 Depth=1
	s_or_b64 exec, exec, s[2:3]
	v_cmp_lt_i32_e32 vcc, v7, v6
	v_cndmask_b32_e32 v2, v5, v7, vcc
	v_cndmask_b32_e64 v12, 0, 1, s[8:9]
	v_lshlrev_b32_e32 v2, 2, v2
	ds_bpermute_b32 v12, v2, v12
	s_waitcnt lgkmcnt(0)
	v_cmp_ne_u32_e32 vcc, 0, v12
	s_and_b64 s[2:3], s[8:9], vcc
	v_cmp_lt_i32_e32 vcc, v8, v6
	v_cndmask_b32_e32 v12, v5, v8, vcc
	v_cndmask_b32_e64 v13, 0, 1, s[2:3]
	v_lshlrev_b32_e32 v12, 2, v12
	ds_bpermute_b32 v13, v12, v13
	s_waitcnt lgkmcnt(0)
	v_cmp_ne_u32_e32 vcc, 0, v13
	s_and_b64 s[2:3], vcc, s[2:3]
	v_cmp_lt_i32_e32 vcc, v9, v6
	v_cndmask_b32_e32 v13, v5, v9, vcc
	v_cndmask_b32_e64 v14, 0, 1, s[2:3]
	v_lshlrev_b32_e32 v13, 2, v13
	ds_bpermute_b32 v14, v13, v14
	s_waitcnt lgkmcnt(0)
	v_cmp_ne_u32_e32 vcc, 0, v14
	s_and_b64 s[2:3], vcc, s[2:3]
	;; [unrolled: 8-line block ×3, first 2 shown]
	v_cmp_lt_i32_e32 vcc, v11, v6
	v_cndmask_b32_e32 v15, v5, v11, vcc
	v_cndmask_b32_e64 v16, 0, 1, s[2:3]
	v_lshlrev_b32_e32 v15, 2, v15
	ds_bpermute_b32 v16, v15, v16
	s_and_saveexec_b64 s[8:9], s[0:1]
	s_cbranch_execz .LBB6_3
; %bb.11:                               ;   in Loop: Header=BB6_5 Depth=1
	s_waitcnt lgkmcnt(0)
	v_cmp_ne_u32_e32 vcc, 0, v16
	s_and_b64 s[2:3], vcc, s[2:3]
	v_cndmask_b32_e64 v16, 0, 1, s[2:3]
	ds_write_b32 v1, v16
	s_branch .LBB6_3
.LBB6_12:
	s_or_b64 exec, exec, s[4:5]
	v_cmp_eq_u32_e32 vcc, 0, v0
	s_and_saveexec_b64 s[0:1], vcc
	s_cbranch_execz .LBB6_14
; %bb.13:
	s_mul_i32 s0, s16, s7
	s_add_i32 s0, s0, s6
	s_ashr_i32 s1, s0, 31
	s_lshl_b64 s[0:1], s[0:1], 2
	s_add_u32 s0, s10, s0
	s_addc_u32 s1, s11, s1
	v_mov_b32_e32 v0, 0
	global_store_dword v0, v2, s[0:1]
.LBB6_14:
	s_endpgm
	.section	.rodata,"a",@progbits
	.p2align	6, 0x0
	.amdhsa_kernel _ZL25flash_attn_mask_to_KV_maxILi2EEvPK7__half2Piiii
		.amdhsa_group_segment_fixed_size 128
		.amdhsa_private_segment_fixed_size 0
		.amdhsa_kernarg_size 288
		.amdhsa_user_sgpr_count 6
		.amdhsa_user_sgpr_private_segment_buffer 1
		.amdhsa_user_sgpr_dispatch_ptr 0
		.amdhsa_user_sgpr_queue_ptr 0
		.amdhsa_user_sgpr_kernarg_segment_ptr 1
		.amdhsa_user_sgpr_dispatch_id 0
		.amdhsa_user_sgpr_flat_scratch_init 0
		.amdhsa_user_sgpr_kernarg_preload_length 0
		.amdhsa_user_sgpr_kernarg_preload_offset 0
		.amdhsa_user_sgpr_private_segment_size 0
		.amdhsa_uses_dynamic_stack 0
		.amdhsa_system_sgpr_private_segment_wavefront_offset 0
		.amdhsa_system_sgpr_workgroup_id_x 1
		.amdhsa_system_sgpr_workgroup_id_y 1
		.amdhsa_system_sgpr_workgroup_id_z 0
		.amdhsa_system_sgpr_workgroup_info 0
		.amdhsa_system_vgpr_workitem_id 0
		.amdhsa_next_free_vgpr 17
		.amdhsa_next_free_sgpr 26
		.amdhsa_accum_offset 20
		.amdhsa_reserve_vcc 1
		.amdhsa_reserve_flat_scratch 0
		.amdhsa_float_round_mode_32 0
		.amdhsa_float_round_mode_16_64 0
		.amdhsa_float_denorm_mode_32 3
		.amdhsa_float_denorm_mode_16_64 3
		.amdhsa_dx10_clamp 1
		.amdhsa_ieee_mode 1
		.amdhsa_fp16_overflow 0
		.amdhsa_tg_split 0
		.amdhsa_exception_fp_ieee_invalid_op 0
		.amdhsa_exception_fp_denorm_src 0
		.amdhsa_exception_fp_ieee_div_zero 0
		.amdhsa_exception_fp_ieee_overflow 0
		.amdhsa_exception_fp_ieee_underflow 0
		.amdhsa_exception_fp_ieee_inexact 0
		.amdhsa_exception_int_div_zero 0
	.end_amdhsa_kernel
	.section	.text._ZL25flash_attn_mask_to_KV_maxILi2EEvPK7__half2Piiii,"axG",@progbits,_ZL25flash_attn_mask_to_KV_maxILi2EEvPK7__half2Piiii,comdat
.Lfunc_end6:
	.size	_ZL25flash_attn_mask_to_KV_maxILi2EEvPK7__half2Piiii, .Lfunc_end6-_ZL25flash_attn_mask_to_KV_maxILi2EEvPK7__half2Piiii
                                        ; -- End function
	.section	.AMDGPU.csdata,"",@progbits
; Kernel info:
; codeLenInByte = 848
; NumSgprs: 30
; NumVgprs: 17
; NumAgprs: 0
; TotalNumVgprs: 17
; ScratchSize: 0
; MemoryBound: 0
; FloatMode: 240
; IeeeMode: 1
; LDSByteSize: 128 bytes/workgroup (compile time only)
; SGPRBlocks: 3
; VGPRBlocks: 2
; NumSGPRsForWavesPerEU: 30
; NumVGPRsForWavesPerEU: 17
; AccumOffset: 20
; Occupancy: 8
; WaveLimiterHint : 0
; COMPUTE_PGM_RSRC2:SCRATCH_EN: 0
; COMPUTE_PGM_RSRC2:USER_SGPR: 6
; COMPUTE_PGM_RSRC2:TRAP_HANDLER: 0
; COMPUTE_PGM_RSRC2:TGID_X_EN: 1
; COMPUTE_PGM_RSRC2:TGID_Y_EN: 1
; COMPUTE_PGM_RSRC2:TGID_Z_EN: 0
; COMPUTE_PGM_RSRC2:TIDIG_COMP_CNT: 0
; COMPUTE_PGM_RSRC3_GFX90A:ACCUM_OFFSET: 4
; COMPUTE_PGM_RSRC3_GFX90A:TG_SPLIT: 0
	.section	.text._ZL33flash_attn_stream_k_fixup_uniformILi256ELi2ELi8EEvPfPK15HIP_vector_typeIfLj2EEiiiiiiS1_IjLj3EES5_S5_,"axG",@progbits,_ZL33flash_attn_stream_k_fixup_uniformILi256ELi2ELi8EEvPfPK15HIP_vector_typeIfLj2EEiiiiiiS1_IjLj3EES5_S5_,comdat
	.globl	_ZL33flash_attn_stream_k_fixup_uniformILi256ELi2ELi8EEvPfPK15HIP_vector_typeIfLj2EEiiiiiiS1_IjLj3EES5_S5_ ; -- Begin function _ZL33flash_attn_stream_k_fixup_uniformILi256ELi2ELi8EEvPfPK15HIP_vector_typeIfLj2EEiiiiiiS1_IjLj3EES5_S5_
	.p2align	8
	.type	_ZL33flash_attn_stream_k_fixup_uniformILi256ELi2ELi8EEvPfPK15HIP_vector_typeIfLj2EEiiiiiiS1_IjLj3EES5_S5_,@function
_ZL33flash_attn_stream_k_fixup_uniformILi256ELi2ELi8EEvPfPK15HIP_vector_typeIfLj2EEiiiiiiS1_IjLj3EES5_S5_: ; @_ZL33flash_attn_stream_k_fixup_uniformILi256ELi2ELi8EEvPfPK15HIP_vector_typeIfLj2EEiiiiiiS1_IjLj3EES5_S5_
; %bb.0:
	s_load_dwordx8 s[12:19], s[4:5], 0x1c
	s_load_dwordx2 s[10:11], s[4:5], 0x10
	s_load_dwordx4 s[0:3], s[4:5], 0x3c
	s_waitcnt lgkmcnt(0)
	s_mul_hi_u32 s9, s15, s6
	s_add_i32 s9, s6, s9
	s_lshr_b32 s9, s9, s16
	s_mul_i32 s15, s9, s17
	s_sub_i32 s15, s6, s15
	s_mul_hi_u32 s16, s15, s18
	s_add_i32 s16, s15, s16
	s_lshr_b32 s16, s16, s19
	s_mul_i32 s0, s16, s0
	s_sub_i32 s0, s15, s0
	;; [unrolled: 5-line block ×3, first 2 shown]
	s_lshl_b32 s0, s17, 1
	s_lshl_b32 s15, s1, 3
	s_add_i32 s0, s0, s7
	s_cmp_lt_i32 s0, s10
	s_cselect_b64 s[0:1], -1, 0
	s_add_i32 s2, s15, s8
	s_cmp_lt_i32 s2, s13
	s_cselect_b64 s[2:3], -1, 0
	s_and_b64 s[0:1], s[0:1], s[2:3]
	s_andn2_b64 vcc, exec, s[0:1]
	s_cbranch_vccnz .LBB7_6
; %bb.1:
	s_load_dwordx4 s[0:3], s[4:5], 0x0
	s_mul_i32 s4, s9, s10
	s_add_i32 s4, s4, s7
	s_mul_i32 s4, s4, s11
	s_mul_i32 s16, s16, s13
	s_add_i32 s4, s4, s8
	s_add_i32 s4, s4, s16
	s_mul_i32 s5, s11, s17
	s_add_i32 s4, s4, s15
	s_lshl_b32 s5, s5, 9
	s_lshl_b32 s4, s4, 8
	s_add_i32 s5, s5, s4
	v_or_b32_e32 v2, s5, v0
	v_ashrrev_i32_e32 v3, 31, v2
	v_lshlrev_b64 v[2:3], 2, v[2:3]
	s_waitcnt lgkmcnt(0)
	v_mov_b32_e32 v1, s1
	v_add_co_u32_e32 v2, vcc, s0, v2
	v_addc_co_u32_e32 v3, vcc, v1, v3, vcc
	global_load_dword v8, v[2:3], off
	s_mul_i32 s9, s6, s14
	s_lshl_b32 s4, s7, 3
	s_add_i32 s11, s9, s14
	s_add_i32 s0, s4, s8
	s_lshl_b32 s1, s11, 4
	s_add_i32 s0, s0, s1
	s_add_i32 s0, s0, -16
	s_ashr_i32 s1, s0, 31
	s_lshl_b64 s[0:1], s[0:1], 3
	s_add_u32 s0, s2, s0
	s_addc_u32 s1, s3, s1
	s_load_dword s5, s[0:1], 0x4
	s_add_i32 s10, s11, -2
	s_cmp_lt_i32 s10, s9
	s_cbranch_scc1 .LBB7_4
; %bb.2:
	s_lshl_b32 s16, s12, 6
	s_ashr_i32 s17, s16, 31
	s_lshl_b64 s[16:17], s[16:17], 2
	s_add_u32 s10, s2, s16
	s_addc_u32 s13, s3, s17
	s_add_i32 s6, s6, 1
	s_load_dword s0, s[0:1], 0x0
	s_mul_i32 s1, s14, s6
	s_lshl_b32 s7, s7, 11
	s_lshl_b32 s14, s8, 8
	;; [unrolled: 1-line block ×3, first 2 shown]
	s_add_i32 s7, s14, s7
	s_lshl_b32 s1, s1, 4
	s_add_i32 s7, s7, s6
	s_add_i32 s1, s8, s1
	s_lshl_b32 s6, s12, 4
	s_add_i32 s1, s1, s6
	v_or_b32_e32 v0, s7, v0
	s_add_i32 s1, s1, s4
	s_add_i32 s11, s11, -1
	v_add_u32_e32 v0, 0xffffe000, v0
	s_sub_i32 s4, s1, 32
	s_waitcnt lgkmcnt(0)
	v_mov_b32_e32 v7, s5
	v_mov_b32_e32 v6, s0
	;; [unrolled: 1-line block ×3, first 2 shown]
	s_mov_b32 s6, 0x3fb8aa3b
	s_mov_b32 s7, 0xc2ce8ed0
	;; [unrolled: 1-line block ×3, first 2 shown]
	v_mov_b32_e32 v5, 0x7f800000
	s_mov_b32 s12, 0xc1a00000
.LBB7_3:                                ; =>This Inner Loop Header: Depth=1
	v_ashrrev_i32_e32 v1, 31, v0
	v_lshlrev_b64 v[10:11], 2, v[0:1]
	v_add_co_u32_e32 v10, vcc, s10, v10
	v_addc_co_u32_e32 v11, vcc, v4, v11, vcc
	global_load_dword v1, v[10:11], off
	s_ashr_i32 s5, s4, 31
	s_lshl_b64 s[0:1], s[4:5], 3
	s_add_u32 s0, s2, s0
	s_addc_u32 s1, s3, s1
	s_load_dwordx2 s[14:15], s[0:1], 0x0
	s_waitcnt vmcnt(1)
	v_mov_b32_e32 v9, v8
	v_max_f32_e32 v8, v6, v6
	v_mov_b32_e32 v10, v7
	s_add_i32 s11, s11, -1
	s_waitcnt lgkmcnt(0)
	v_max_f32_e64 v7, s14, s14
	v_max_f32_e32 v7, v8, v7
	v_sub_f32_e32 v11, s14, v7
	v_sub_f32_e32 v8, v6, v7
	v_mul_f32_e32 v12, 0x3fb8aa3b, v11
	v_mov_b32_e32 v6, v7
	v_mul_f32_e32 v7, 0x3fb8aa3b, v8
	v_fma_f32 v15, v11, s6, -v12
	v_rndne_f32_e32 v16, v12
	v_fma_f32 v13, v8, s6, -v7
	v_rndne_f32_e32 v14, v7
	v_fmac_f32_e32 v15, 0x32a5705f, v11
	v_sub_f32_e32 v12, v12, v16
	v_fmac_f32_e32 v13, 0x32a5705f, v8
	v_sub_f32_e32 v7, v7, v14
	v_add_f32_e32 v12, v12, v15
	v_cvt_i32_f32_e32 v16, v16
	v_add_f32_e32 v7, v7, v13
	v_exp_f32_e32 v12, v12
	v_cvt_i32_f32_e32 v14, v14
	v_exp_f32_e32 v7, v7
	v_cmp_ngt_f32_e32 vcc, s7, v11
	v_ldexp_f32 v12, v12, v16
	v_cmp_ngt_f32_e64 s[0:1], s7, v8
	v_ldexp_f32 v7, v7, v14
	v_cndmask_b32_e32 v12, 0, v12, vcc
	v_cmp_nlt_f32_e32 vcc, s8, v11
	v_cndmask_b32_e64 v7, 0, v7, s[0:1]
	v_cmp_nlt_f32_e64 s[0:1], s8, v8
	v_cndmask_b32_e32 v12, v5, v12, vcc
	v_cmp_le_f32_e32 vcc, s12, v11
	v_cndmask_b32_e64 v7, v5, v7, s[0:1]
	v_cmp_le_f32_e64 s[0:1], s12, v8
	v_cndmask_b32_e32 v8, 0, v12, vcc
	s_add_i32 s4, s4, -16
	v_cndmask_b32_e64 v11, 0, v7, s[0:1]
	v_mul_f32_e32 v7, s15, v8
	v_add_u32_e32 v0, 0xfffff000, v0
	s_cmp_le_i32 s11, s9
	v_fmac_f32_e32 v7, v10, v11
	s_waitcnt vmcnt(0)
	v_mul_f32_e32 v8, v1, v8
	v_fmac_f32_e32 v8, v9, v11
	s_cbranch_scc0 .LBB7_3
	s_branch .LBB7_5
.LBB7_4:
	s_waitcnt lgkmcnt(0)
	v_mov_b32_e32 v7, s5
.LBB7_5:
	s_waitcnt vmcnt(0)
	v_div_scale_f32 v0, s[0:1], v7, v7, v8
	v_rcp_f32_e32 v1, v0
	v_div_scale_f32 v4, vcc, v8, v7, v8
	v_fma_f32 v5, -v0, v1, 1.0
	v_fmac_f32_e32 v1, v5, v1
	v_mul_f32_e32 v5, v4, v1
	v_fma_f32 v6, -v0, v5, v4
	v_fmac_f32_e32 v5, v6, v1
	v_fma_f32 v0, -v0, v5, v4
	v_div_fmas_f32 v0, v0, v1, v5
	v_div_fixup_f32 v0, v0, v7, v8
	global_store_dword v[2:3], v0, off
.LBB7_6:
	s_endpgm
	.section	.rodata,"a",@progbits
	.p2align	6, 0x0
	.amdhsa_kernel _ZL33flash_attn_stream_k_fixup_uniformILi256ELi2ELi8EEvPfPK15HIP_vector_typeIfLj2EEiiiiiiS1_IjLj3EES5_S5_
		.amdhsa_group_segment_fixed_size 0
		.amdhsa_private_segment_fixed_size 0
		.amdhsa_kernarg_size 76
		.amdhsa_user_sgpr_count 6
		.amdhsa_user_sgpr_private_segment_buffer 1
		.amdhsa_user_sgpr_dispatch_ptr 0
		.amdhsa_user_sgpr_queue_ptr 0
		.amdhsa_user_sgpr_kernarg_segment_ptr 1
		.amdhsa_user_sgpr_dispatch_id 0
		.amdhsa_user_sgpr_flat_scratch_init 0
		.amdhsa_user_sgpr_kernarg_preload_length 0
		.amdhsa_user_sgpr_kernarg_preload_offset 0
		.amdhsa_user_sgpr_private_segment_size 0
		.amdhsa_uses_dynamic_stack 0
		.amdhsa_system_sgpr_private_segment_wavefront_offset 0
		.amdhsa_system_sgpr_workgroup_id_x 1
		.amdhsa_system_sgpr_workgroup_id_y 1
		.amdhsa_system_sgpr_workgroup_id_z 1
		.amdhsa_system_sgpr_workgroup_info 0
		.amdhsa_system_vgpr_workitem_id 0
		.amdhsa_next_free_vgpr 17
		.amdhsa_next_free_sgpr 20
		.amdhsa_accum_offset 20
		.amdhsa_reserve_vcc 1
		.amdhsa_reserve_flat_scratch 0
		.amdhsa_float_round_mode_32 0
		.amdhsa_float_round_mode_16_64 0
		.amdhsa_float_denorm_mode_32 3
		.amdhsa_float_denorm_mode_16_64 3
		.amdhsa_dx10_clamp 1
		.amdhsa_ieee_mode 1
		.amdhsa_fp16_overflow 0
		.amdhsa_tg_split 0
		.amdhsa_exception_fp_ieee_invalid_op 0
		.amdhsa_exception_fp_denorm_src 0
		.amdhsa_exception_fp_ieee_div_zero 0
		.amdhsa_exception_fp_ieee_overflow 0
		.amdhsa_exception_fp_ieee_underflow 0
		.amdhsa_exception_fp_ieee_inexact 0
		.amdhsa_exception_int_div_zero 0
	.end_amdhsa_kernel
	.section	.text._ZL33flash_attn_stream_k_fixup_uniformILi256ELi2ELi8EEvPfPK15HIP_vector_typeIfLj2EEiiiiiiS1_IjLj3EES5_S5_,"axG",@progbits,_ZL33flash_attn_stream_k_fixup_uniformILi256ELi2ELi8EEvPfPK15HIP_vector_typeIfLj2EEiiiiiiS1_IjLj3EES5_S5_,comdat
.Lfunc_end7:
	.size	_ZL33flash_attn_stream_k_fixup_uniformILi256ELi2ELi8EEvPfPK15HIP_vector_typeIfLj2EEiiiiiiS1_IjLj3EES5_S5_, .Lfunc_end7-_ZL33flash_attn_stream_k_fixup_uniformILi256ELi2ELi8EEvPfPK15HIP_vector_typeIfLj2EEiiiiiiS1_IjLj3EES5_S5_
                                        ; -- End function
	.section	.AMDGPU.csdata,"",@progbits
; Kernel info:
; codeLenInByte = 856
; NumSgprs: 24
; NumVgprs: 17
; NumAgprs: 0
; TotalNumVgprs: 17
; ScratchSize: 0
; MemoryBound: 0
; FloatMode: 240
; IeeeMode: 1
; LDSByteSize: 0 bytes/workgroup (compile time only)
; SGPRBlocks: 2
; VGPRBlocks: 2
; NumSGPRsForWavesPerEU: 24
; NumVGPRsForWavesPerEU: 17
; AccumOffset: 20
; Occupancy: 8
; WaveLimiterHint : 0
; COMPUTE_PGM_RSRC2:SCRATCH_EN: 0
; COMPUTE_PGM_RSRC2:USER_SGPR: 6
; COMPUTE_PGM_RSRC2:TRAP_HANDLER: 0
; COMPUTE_PGM_RSRC2:TGID_X_EN: 1
; COMPUTE_PGM_RSRC2:TGID_Y_EN: 1
; COMPUTE_PGM_RSRC2:TGID_Z_EN: 1
; COMPUTE_PGM_RSRC2:TIDIG_COMP_CNT: 0
; COMPUTE_PGM_RSRC3_GFX90A:ACCUM_OFFSET: 4
; COMPUTE_PGM_RSRC3_GFX90A:TG_SPLIT: 0
	.section	.text._ZL33flash_attn_stream_k_fixup_generalILi256ELi2ELi8EEvPfPK15HIP_vector_typeIfLj2EEiiiiS1_IjLj3EES5_S5_S5_,"axG",@progbits,_ZL33flash_attn_stream_k_fixup_generalILi256ELi2ELi8EEvPfPK15HIP_vector_typeIfLj2EEiiiiS1_IjLj3EES5_S5_S5_,comdat
	.globl	_ZL33flash_attn_stream_k_fixup_generalILi256ELi2ELi8EEvPfPK15HIP_vector_typeIfLj2EEiiiiS1_IjLj3EES5_S5_S5_ ; -- Begin function _ZL33flash_attn_stream_k_fixup_generalILi256ELi2ELi8EEvPfPK15HIP_vector_typeIfLj2EEiiiiS1_IjLj3EES5_S5_S5_
	.p2align	8
	.type	_ZL33flash_attn_stream_k_fixup_generalILi256ELi2ELi8EEvPfPK15HIP_vector_typeIfLj2EEiiiiS1_IjLj3EES5_S5_S5_,@function
_ZL33flash_attn_stream_k_fixup_generalILi256ELi2ELi8EEvPfPK15HIP_vector_typeIfLj2EEiiiiS1_IjLj3EES5_S5_S5_: ; @_ZL33flash_attn_stream_k_fixup_generalILi256ELi2ELi8EEvPfPK15HIP_vector_typeIfLj2EEiiiiS1_IjLj3EES5_S5_S5_
; %bb.0:
	s_load_dwordx4 s[12:15], s[4:5], 0x10
	s_load_dword s9, s[4:5], 0x50
	s_mov_b32 s2, 0
	s_waitcnt lgkmcnt(0)
	s_mul_hi_i32 s3, s15, s6
	s_cmp_lg_u64 s[2:3], 0
	s_mul_i32 s2, s15, s6
	s_cbranch_scc0 .LBB8_21
; %bb.1:
	v_cvt_f32_u32_e32 v1, s9
	v_cvt_f32_ubyte0_e32 v2, 0
	s_sub_u32 s10, 0, s9
	s_subb_u32 s11, 0, 0
	v_madmk_f32 v1, v2, 0x4f800000, v1
	v_rcp_f32_e32 v1, v1
	v_mul_f32_e32 v1, 0x5f7ffffc, v1
	v_mul_f32_e32 v2, 0x2f800000, v1
	v_trunc_f32_e32 v2, v2
	v_madmk_f32 v1, v2, 0xcf800000, v1
	v_cvt_u32_f32_e32 v2, v2
	v_cvt_u32_f32_e32 v1, v1
	v_readfirstlane_b32 s16, v2
	v_readfirstlane_b32 s17, v1
	s_mul_i32 s18, s10, s16
	s_mul_hi_u32 s20, s10, s17
	s_mul_i32 s19, s11, s17
	s_add_i32 s18, s20, s18
	s_add_i32 s18, s18, s19
	s_mul_i32 s21, s10, s17
	s_mul_hi_u32 s19, s17, s18
	s_mul_i32 s20, s17, s18
	s_mul_hi_u32 s17, s17, s21
	s_add_u32 s17, s17, s20
	s_addc_u32 s19, 0, s19
	s_mul_hi_u32 s22, s16, s21
	s_mul_i32 s21, s16, s21
	s_add_u32 s17, s17, s21
	s_mul_hi_u32 s20, s16, s18
	s_addc_u32 s17, s19, s22
	s_addc_u32 s19, s20, 0
	s_mul_i32 s18, s16, s18
	s_add_u32 s17, s17, s18
	s_addc_u32 s18, 0, s19
	v_add_co_u32_e32 v1, vcc, s17, v1
	s_cmp_lg_u64 vcc, 0
	s_addc_u32 s16, s16, s18
	v_readfirstlane_b32 s18, v1
	s_mul_i32 s17, s10, s16
	s_mul_hi_u32 s19, s10, s18
	s_add_i32 s17, s19, s17
	s_mul_i32 s11, s11, s18
	s_add_i32 s17, s17, s11
	s_mul_i32 s10, s10, s18
	s_mul_hi_u32 s19, s16, s10
	s_mul_i32 s20, s16, s10
	s_mul_i32 s22, s18, s17
	s_mul_hi_u32 s10, s18, s10
	s_mul_hi_u32 s21, s18, s17
	s_add_u32 s10, s10, s22
	s_addc_u32 s18, 0, s21
	s_add_u32 s10, s10, s20
	s_mul_hi_u32 s11, s16, s17
	s_addc_u32 s10, s18, s19
	s_addc_u32 s11, s11, 0
	s_mul_i32 s17, s16, s17
	s_add_u32 s10, s10, s17
	s_addc_u32 s11, 0, s11
	v_add_co_u32_e32 v1, vcc, s10, v1
	s_cmp_lg_u64 vcc, 0
	s_addc_u32 s18, s16, s11
	s_ashr_i32 s10, s3, 31
	s_add_u32 s16, s2, s10
	s_mov_b32 s11, s10
	s_addc_u32 s17, s3, s10
	s_xor_b64 s[16:17], s[16:17], s[10:11]
	v_readfirstlane_b32 s20, v1
	s_mul_i32 s19, s16, s18
	s_mul_hi_u32 s21, s16, s20
	s_mul_hi_u32 s3, s16, s18
	s_add_u32 s19, s21, s19
	s_addc_u32 s3, 0, s3
	s_mul_hi_u32 s22, s17, s20
	s_mul_i32 s20, s17, s20
	s_add_u32 s19, s19, s20
	s_mul_hi_u32 s21, s17, s18
	s_addc_u32 s3, s3, s22
	s_addc_u32 s19, s21, 0
	s_mul_i32 s18, s17, s18
	s_add_u32 s3, s3, s18
	s_addc_u32 s18, 0, s19
	s_add_u32 s19, s3, 1
	s_addc_u32 s20, s18, 0
	s_add_u32 s21, s3, 2
	s_mul_i32 s23, s9, s18
	s_mul_hi_u32 s24, s9, s3
	s_addc_u32 s22, s18, 0
	s_add_i32 s24, s24, s23
	s_mul_i32 s23, s9, s3
	v_mov_b32_e32 v1, s23
	v_sub_co_u32_e32 v1, vcc, s16, v1
	s_cmp_lg_u64 vcc, 0
	s_subb_u32 s16, s17, s24
	v_subrev_co_u32_e32 v2, vcc, s9, v1
	s_cmp_lg_u64 vcc, 0
	s_subb_u32 s17, s16, 0
	v_readfirstlane_b32 s23, v2
	s_cmp_ge_u32 s23, s9
	s_cselect_b32 s23, -1, 0
	s_cmp_eq_u32 s17, 0
	s_cselect_b32 s17, s23, -1
	s_cmp_lg_u32 s17, 0
	s_cselect_b32 s17, s22, s20
	v_readfirstlane_b32 s20, v1
	s_cselect_b32 s19, s21, s19
	s_cmp_ge_u32 s20, s9
	s_cselect_b32 s20, -1, 0
	s_cmp_eq_u32 s16, 0
	s_cselect_b32 s16, s20, -1
	s_cmp_lg_u32 s16, 0
	s_cselect_b32 s17, s17, s18
	s_cselect_b32 s16, s19, s3
	s_xor_b64 s[16:17], s[16:17], s[10:11]
	s_sub_u32 s20, s16, s10
	s_load_dwordx4 s[16:19], s[4:5], 0x44
	s_cbranch_execnz .LBB8_3
.LBB8_2:
	v_cvt_f32_u32_e32 v1, s9
	s_sub_i32 s0, 0, s9
	v_rcp_iflag_f32_e32 v1, v1
	v_mul_f32_e32 v1, 0x4f7ffffe, v1
	v_cvt_u32_f32_e32 v1, v1
	v_readfirstlane_b32 s1, v1
	s_mul_i32 s0, s0, s1
	s_mul_hi_u32 s0, s1, s0
	s_add_i32 s1, s1, s0
	s_mul_hi_u32 s0, s2, s1
	s_mul_i32 s3, s0, s9
	s_sub_i32 s2, s2, s3
	s_add_i32 s1, s0, 1
	s_sub_i32 s3, s2, s9
	s_cmp_ge_u32 s2, s9
	s_cselect_b32 s0, s1, s0
	s_cselect_b32 s2, s3, s2
	s_add_i32 s1, s0, 1
	s_cmp_ge_u32 s2, s9
	s_cselect_b32 s20, s1, s0
.LBB8_3:
	s_add_i32 s0, s6, 1
	s_mul_hi_i32 s3, s15, s0
	s_mov_b32 s2, 0
	s_cmp_lg_u64 s[2:3], 0
	s_mul_i32 s2, s15, s0
	s_cbranch_scc0 .LBB8_22
; %bb.4:
	v_cvt_f32_u32_e32 v1, s9
	v_cvt_f32_ubyte0_e32 v2, 0
	s_sub_u32 s10, 0, s9
	s_subb_u32 s11, 0, 0
	v_madmk_f32 v1, v2, 0x4f800000, v1
	v_rcp_f32_e32 v1, v1
	v_mul_f32_e32 v1, 0x5f7ffffc, v1
	v_mul_f32_e32 v2, 0x2f800000, v1
	v_trunc_f32_e32 v2, v2
	v_madmk_f32 v1, v2, 0xcf800000, v1
	v_cvt_u32_f32_e32 v2, v2
	v_cvt_u32_f32_e32 v1, v1
	s_waitcnt lgkmcnt(0)
	v_readfirstlane_b32 s19, v2
	v_readfirstlane_b32 s21, v1
	s_mul_i32 s22, s10, s19
	s_mul_hi_u32 s24, s10, s21
	s_mul_i32 s23, s11, s21
	s_add_i32 s22, s24, s22
	s_add_i32 s22, s22, s23
	s_mul_i32 s25, s10, s21
	s_mul_hi_u32 s23, s21, s22
	s_mul_i32 s24, s21, s22
	s_mul_hi_u32 s21, s21, s25
	s_add_u32 s21, s21, s24
	s_addc_u32 s23, 0, s23
	s_mul_hi_u32 s26, s19, s25
	s_mul_i32 s25, s19, s25
	s_add_u32 s21, s21, s25
	s_mul_hi_u32 s24, s19, s22
	s_addc_u32 s21, s23, s26
	s_addc_u32 s23, s24, 0
	s_mul_i32 s22, s19, s22
	s_add_u32 s21, s21, s22
	s_addc_u32 s22, 0, s23
	v_add_co_u32_e32 v1, vcc, s21, v1
	s_cmp_lg_u64 vcc, 0
	s_addc_u32 s19, s19, s22
	v_readfirstlane_b32 s22, v1
	s_mul_i32 s21, s10, s19
	s_mul_hi_u32 s23, s10, s22
	s_add_i32 s21, s23, s21
	s_mul_i32 s11, s11, s22
	s_add_i32 s21, s21, s11
	s_mul_i32 s10, s10, s22
	s_mul_hi_u32 s23, s19, s10
	s_mul_i32 s24, s19, s10
	s_mul_i32 s26, s22, s21
	s_mul_hi_u32 s10, s22, s10
	s_mul_hi_u32 s25, s22, s21
	s_add_u32 s10, s10, s26
	s_addc_u32 s22, 0, s25
	s_add_u32 s10, s10, s24
	s_mul_hi_u32 s11, s19, s21
	s_addc_u32 s10, s22, s23
	s_addc_u32 s11, s11, 0
	s_mul_i32 s21, s19, s21
	s_add_u32 s10, s10, s21
	s_addc_u32 s11, 0, s11
	v_add_co_u32_e32 v1, vcc, s10, v1
	s_cmp_lg_u64 vcc, 0
	s_addc_u32 s19, s19, s11
	s_ashr_i32 s10, s3, 31
	s_add_u32 s22, s2, s10
	s_mov_b32 s11, s10
	s_addc_u32 s23, s3, s10
	s_xor_b64 s[22:23], s[22:23], s[10:11]
	v_readfirstlane_b32 s21, v1
	s_mul_i32 s11, s22, s19
	s_mul_hi_u32 s24, s22, s21
	s_mul_hi_u32 s3, s22, s19
	s_add_u32 s11, s24, s11
	s_addc_u32 s3, 0, s3
	s_mul_hi_u32 s25, s23, s21
	s_mul_i32 s21, s23, s21
	s_add_u32 s11, s11, s21
	s_mul_hi_u32 s24, s23, s19
	s_addc_u32 s3, s3, s25
	s_addc_u32 s11, s24, 0
	s_mul_i32 s19, s23, s19
	s_add_u32 s3, s3, s19
	s_addc_u32 s11, 0, s11
	s_mul_i32 s11, s9, s11
	s_mul_hi_u32 s24, s9, s3
	s_add_i32 s24, s24, s11
	s_mul_i32 s11, s9, s3
	v_mov_b32_e32 v1, s11
	s_add_u32 s19, s3, 1
	s_add_u32 s21, s3, 2
	v_sub_co_u32_e32 v1, vcc, s22, v1
	s_cmp_lg_u64 vcc, 0
	s_subb_u32 s11, s23, s24
	v_subrev_co_u32_e32 v2, vcc, s9, v1
	s_cmp_lg_u64 vcc, 0
	s_subb_u32 s22, s11, 0
	v_cmp_le_u32_e32 vcc, s9, v2
	s_cmp_eq_u32 s22, 0
	v_cndmask_b32_e64 v2, 0, -1, vcc
	s_cselect_b64 vcc, -1, 0
	v_cndmask_b32_e32 v2, -1, v2, vcc
	v_mov_b32_e32 v3, s19
	v_mov_b32_e32 v4, s21
	v_cmp_ne_u32_e32 vcc, 0, v2
	v_cndmask_b32_e32 v2, v3, v4, vcc
	v_cmp_le_u32_e32 vcc, s9, v1
	s_cmp_eq_u32 s11, 0
	v_cndmask_b32_e64 v1, 0, -1, vcc
	s_cselect_b64 vcc, -1, 0
	v_cndmask_b32_e32 v1, -1, v1, vcc
	v_mov_b32_e32 v3, s3
	v_cmp_ne_u32_e32 vcc, 0, v1
	v_cndmask_b32_e32 v1, v3, v2, vcc
	v_xor_b32_e32 v1, s10, v1
	v_subrev_co_u32_e32 v2, vcc, s10, v1
	s_cbranch_execnz .LBB8_6
.LBB8_5:
	v_cvt_f32_u32_e32 v1, s9
	s_sub_i32 s0, 0, s9
	s_mov_b32 s1, 0
	v_rcp_iflag_f32_e32 v1, v1
	v_mul_f32_e32 v1, 0x4f7ffffe, v1
	v_cvt_u32_f32_e32 v1, v1
	v_readfirstlane_b32 s3, v1
	s_mul_i32 s0, s0, s3
	s_mul_hi_u32 s0, s3, s0
	s_add_i32 s3, s3, s0
	s_mul_hi_u32 s0, s2, s3
	s_mul_i32 s10, s0, s9
	s_sub_i32 s2, s2, s10
	s_add_i32 s3, s0, 1
	s_sub_i32 s10, s2, s9
	s_cmp_ge_u32 s2, s9
	s_cselect_b32 s0, s3, s0
	s_cselect_b32 s2, s10, s2
	s_add_i32 s3, s0, 1
	s_cmp_ge_u32 s2, s9
	s_cselect_b32 s0, s3, s0
	v_pk_mov_b32 v[2:3], s[0:1], s[0:1] op_sel:[0,1]
.LBB8_6:
	s_waitcnt lgkmcnt(0)
	s_mul_hi_u32 s0, s20, s16
	s_add_i32 s0, s0, s20
	v_mul_hi_u32 v1, v2, s16
	s_lshr_b32 s19, s0, s17
	v_add_u32_e32 v1, v1, v2
	s_mul_i32 s0, s19, s18
	v_lshrrev_b32_e32 v1, s17, v1
	s_cmp_eq_u32 s0, s20
	v_cmp_eq_u32_e64 s[0:1], s19, v1
	v_mul_lo_u32 v1, v1, s18
	v_cmp_eq_u32_e32 vcc, s20, v2
	s_cselect_b64 s[10:11], -1, 0
	v_cmp_ne_u32_e64 s[2:3], v1, v2
	s_and_b64 s[0:1], s[0:1], s[2:3]
	s_or_b64 s[2:3], vcc, s[10:11]
	s_or_b64 s[0:1], s[2:3], s[0:1]
	s_and_b64 vcc, exec, s[0:1]
	s_cbranch_vccnz .LBB8_24
; %bb.7:
	s_load_dwordx8 s[24:31], s[4:5], 0x20
	s_load_dword s0, s[4:5], 0x40
	s_mov_b32 s10, 0
	s_waitcnt lgkmcnt(0)
	s_mul_hi_u32 s1, s20, s24
	s_add_i32 s1, s1, s20
	s_lshr_b32 s11, s1, s25
	s_mul_i32 s1, s11, s26
	s_sub_i32 s1, s20, s1
	s_mul_hi_u32 s2, s1, s27
	s_add_i32 s2, s1, s2
	s_lshr_b32 s24, s2, s28
	s_mul_i32 s2, s24, s29
	s_sub_i32 s1, s1, s2
	;; [unrolled: 5-line block ×3, first 2 shown]
	s_mul_hi_u32 s1, s0, s16
	s_add_i32 s0, s0, s1
	s_lshr_b32 s26, s0, s17
	s_lshl_b32 s0, s26, 1
	s_lshl_b32 s25, s2, 3
	s_add_i32 s0, s0, s7
	s_cmp_lt_i32 s0, s12
	s_cselect_b64 s[0:1], -1, 0
	s_add_i32 s2, s25, s8
	s_cmp_lt_i32 s2, s14
	s_cselect_b64 s[2:3], -1, 0
	s_and_b64 s[0:1], s[0:1], s[2:3]
	s_andn2_b64 vcc, exec, s[0:1]
	s_cbranch_vccnz .LBB8_24
; %bb.8:
	s_load_dwordx4 s[0:3], s[4:5], 0x0
	s_lshl_b32 s21, s7, 3
	s_lshl_b32 s4, s9, 6
	s_mov_b32 s5, s10
	s_add_i32 s21, s21, s8
	s_lshl_b64 s[4:5], s[4:5], 2
	s_waitcnt lgkmcnt(0)
	s_add_u32 s22, s2, s4
	s_mul_i32 s4, s11, s12
	s_addc_u32 s23, s3, s5
	s_add_i32 s4, s4, s7
	s_mul_i32 s4, s4, s13
	s_mul_i32 s24, s24, s14
	s_add_i32 s4, s4, s8
	s_add_i32 s4, s4, s24
	s_mul_i32 s5, s13, s26
	s_add_i32 s4, s4, s25
	s_lshl_b32 s5, s5, 9
	s_lshl_b32 s4, s4, 8
	s_add_i32 s5, s5, s4
	v_or_b32_e32 v2, s5, v0
	v_ashrrev_i32_e32 v3, 31, v2
	v_lshlrev_b64 v[2:3], 2, v[2:3]
	v_mov_b32_e32 v1, s1
	v_add_co_u32_e32 v2, vcc, s0, v2
	v_addc_co_u32_e32 v3, vcc, v1, v3, vcc
	global_load_dword v5, v[2:3], off
	v_lshl_or_b32 v4, s21, 8, v0
	v_cvt_f32_u32_e32 v0, s9
	v_cvt_f32_ubyte0_e32 v1, 0
	s_lshl_b32 s0, s6, 4
	s_add_i32 s0, s21, s0
	v_mac_f32_e32 v0, 0x4f800000, v1
	v_rcp_f32_e32 v0, v0
	v_cvt_f32_u32_e32 v1, s9
	s_ashr_i32 s1, s0, 31
	s_lshl_b64 s[0:1], s[0:1], 3
	v_mul_f32_e32 v0, 0x5f7ffffc, v0
	v_rcp_iflag_f32_e32 v1, v1
	s_add_u32 s0, s2, s0
	v_mul_f32_e32 v9, 0x2f800000, v0
	s_addc_u32 s1, s3, s1
	v_trunc_f32_e32 v10, v9
	s_load_dwordx2 s[0:1], s[0:1], 0x0
	v_mac_f32_e32 v0, 0xcf800000, v10
	v_cvt_u32_f32_e32 v9, v0
	v_mul_f32_e32 v0, 0x4f7ffffe, v1
	v_cvt_u32_f32_e32 v10, v10
	v_cvt_u32_f32_e32 v11, v0
	s_add_i32 s8, s6, -1
	s_waitcnt lgkmcnt(0)
	v_mov_b32_e32 v6, s1
	v_mov_b32_e32 v7, s0
	;; [unrolled: 1-line block ×3, first 2 shown]
	s_mov_b32 s6, 0x3fb8aa3b
	s_mov_b32 s7, 0xc2ce8ed0
	;; [unrolled: 1-line block ×4, first 2 shown]
	v_mov_b32_e32 v12, 0x7f800000
	s_mul_hi_i32 s11, s8, s15
	s_cmp_lg_u64 s[10:11], 0
	s_mul_i32 s4, s8, s15
	s_cbranch_scc0 .LBB8_15
.LBB8_9:
	s_sub_u32 s0, 0, s9
	v_readfirstlane_b32 s5, v9
	v_readfirstlane_b32 s24, v10
	s_subb_u32 s1, 0, 0
	s_mul_hi_u32 s20, s0, s5
	s_mul_i32 s25, s0, s24
	s_mul_i32 s14, s1, s5
	s_add_i32 s20, s20, s25
	s_add_i32 s20, s20, s14
	s_mul_i32 s26, s0, s5
	s_mul_hi_u32 s14, s5, s20
	s_mul_i32 s25, s5, s20
	s_mul_hi_u32 s5, s5, s26
	s_add_u32 s5, s5, s25
	s_addc_u32 s14, 0, s14
	s_mul_hi_u32 s27, s24, s26
	s_mul_i32 s26, s24, s26
	s_add_u32 s5, s5, s26
	s_mul_hi_u32 s25, s24, s20
	s_addc_u32 s5, s14, s27
	s_addc_u32 s14, s25, 0
	s_mul_i32 s20, s24, s20
	s_add_u32 s5, s5, s20
	s_addc_u32 s14, 0, s14
	v_add_co_u32_e32 v0, vcc, s5, v9
	s_cmp_lg_u64 vcc, 0
	s_addc_u32 s5, s24, s14
	v_readfirstlane_b32 s20, v0
	s_mul_i32 s14, s0, s5
	s_mul_hi_u32 s24, s0, s20
	s_add_i32 s14, s24, s14
	s_mul_i32 s1, s1, s20
	s_add_i32 s14, s14, s1
	s_mul_i32 s0, s0, s20
	s_mul_hi_u32 s24, s5, s0
	s_mul_i32 s25, s5, s0
	s_mul_i32 s27, s20, s14
	s_mul_hi_u32 s0, s20, s0
	s_mul_hi_u32 s26, s20, s14
	s_add_u32 s0, s0, s27
	s_addc_u32 s20, 0, s26
	s_add_u32 s0, s0, s25
	s_mul_hi_u32 s1, s5, s14
	s_addc_u32 s0, s20, s24
	s_addc_u32 s1, s1, 0
	s_mul_i32 s14, s5, s14
	s_add_u32 s0, s0, s14
	s_addc_u32 s1, 0, s1
	v_add_co_u32_e32 v0, vcc, s0, v0
	s_cmp_lg_u64 vcc, 0
	s_addc_u32 s5, s5, s1
	s_ashr_i32 s0, s11, 31
	s_add_u32 s24, s4, s0
	s_mov_b32 s1, s0
	s_addc_u32 s25, s11, s0
	s_xor_b64 s[24:25], s[24:25], s[0:1]
	v_readfirstlane_b32 s14, v0
	s_mul_i32 s11, s24, s5
	s_mul_hi_u32 s20, s24, s14
	s_mul_hi_u32 s1, s24, s5
	s_add_u32 s11, s20, s11
	s_addc_u32 s1, 0, s1
	s_mul_hi_u32 s26, s25, s14
	s_mul_i32 s14, s25, s14
	s_add_u32 s11, s11, s14
	s_mul_hi_u32 s20, s25, s5
	s_addc_u32 s1, s1, s26
	s_addc_u32 s11, s20, 0
	s_mul_i32 s5, s25, s5
	s_add_u32 s1, s1, s5
	s_addc_u32 s5, 0, s11
	s_mul_i32 s5, s9, s5
	s_mul_hi_u32 s20, s9, s1
	s_add_i32 s20, s20, s5
	s_mul_i32 s5, s9, s1
	v_mov_b32_e32 v0, s5
	s_add_u32 s11, s1, 1
	s_add_u32 s14, s1, 2
	v_sub_co_u32_e32 v0, vcc, s24, v0
	s_cmp_lg_u64 vcc, 0
	s_subb_u32 s5, s25, s20
	v_subrev_co_u32_e32 v1, vcc, s9, v0
	s_cmp_lg_u64 vcc, 0
	s_subb_u32 s20, s5, 0
	v_cmp_le_u32_e32 vcc, s9, v1
	s_cmp_eq_u32 s20, 0
	v_cndmask_b32_e64 v1, 0, -1, vcc
	s_cselect_b64 vcc, -1, 0
	v_cndmask_b32_e32 v1, -1, v1, vcc
	v_mov_b32_e32 v13, s11
	v_mov_b32_e32 v14, s14
	v_cmp_ne_u32_e32 vcc, 0, v1
	v_cndmask_b32_e32 v1, v13, v14, vcc
	v_cmp_le_u32_e32 vcc, s9, v0
	s_cmp_eq_u32 s5, 0
	v_cndmask_b32_e64 v0, 0, -1, vcc
	s_cselect_b64 vcc, -1, 0
	v_cndmask_b32_e32 v0, -1, v0, vcc
	v_mov_b32_e32 v13, s1
	v_cmp_ne_u32_e32 vcc, 0, v0
	v_cndmask_b32_e32 v0, v13, v1, vcc
	v_xor_b32_e32 v0, s0, v0
	v_subrev_co_u32_e32 v0, vcc, s0, v0
	s_cbranch_execnz .LBB8_11
.LBB8_10:
	s_sub_i32 s0, 0, s9
	v_mul_lo_u32 v0, s0, v11
	v_mul_hi_u32 v0, v11, v0
	v_add_u32_e32 v0, v11, v0
	v_mul_hi_u32 v0, s4, v0
	v_mul_lo_u32 v13, v0, s9
	v_sub_u32_e32 v13, s4, v13
	v_add_u32_e32 v1, 1, v0
	v_subrev_u32_e32 v14, s9, v13
	v_cmp_le_u32_e32 vcc, s9, v13
	v_cndmask_b32_e32 v13, v13, v14, vcc
	v_cndmask_b32_e32 v0, v0, v1, vcc
	v_add_u32_e32 v1, 1, v0
	v_cmp_le_u32_e32 vcc, s9, v13
	v_cndmask_b32_e32 v0, v0, v1, vcc
.LBB8_11:
	v_cmp_ne_u32_e32 vcc, v8, v0
	s_cbranch_vccz .LBB8_14
; %bb.12:
	s_add_i32 s0, s8, s9
	s_lshl_b32 s0, s0, 4
	v_mul_hi_u32 v1, v0, s16
	s_add_i32 s0, s0, s21
	s_mov_b32 s1, s10
	v_add_u32_e32 v1, v1, v0
	s_lshl_b64 s[0:1], s[0:1], 3
	v_lshrrev_b32_e32 v1, s17, v1
	s_add_u32 s4, s2, s0
	v_mul_lo_u32 v13, v1, s18
	s_addc_u32 s5, s3, s1
	v_cmp_eq_u32_e32 vcc, v13, v0
	v_cmp_gt_u32_e64 s[0:1], s19, v1
	s_or_b64 s[0:1], s[0:1], vcc
	s_and_b64 vcc, exec, s[0:1]
	s_cbranch_vccnz .LBB8_16
; %bb.13:
	s_add_i32 s11, s8, -1
	s_mov_b64 s[0:1], 0
	s_branch .LBB8_17
.LBB8_14:
                                        ; implicit-def: $sgpr0_sgpr1
                                        ; implicit-def: $vgpr14
                                        ; implicit-def: $vgpr1
                                        ; implicit-def: $vgpr13
                                        ; implicit-def: $sgpr11
                                        ; implicit-def: $vgpr0
	s_branch .LBB8_18
.LBB8_15:
                                        ; implicit-def: $vgpr0_vgpr1
	s_branch .LBB8_10
.LBB8_16:
	s_mov_b64 s[0:1], -1
	s_mov_b32 s11, s8
	v_mov_b32_e32 v0, v8
.LBB8_17:
	v_lshl_add_u32 v14, s8, 12, v4
	v_ashrrev_i32_e32 v15, 31, v14
	v_lshlrev_b64 v[14:15], 2, v[14:15]
	v_mov_b32_e32 v1, s23
	v_add_co_u32_e32 v14, vcc, s22, v14
	v_addc_co_u32_e32 v15, vcc, v1, v15, vcc
	global_load_dword v14, v[14:15], off
	s_load_dwordx2 s[4:5], s[4:5], 0x0
	v_max_f32_e32 v1, v7, v7
	s_waitcnt lgkmcnt(0)
	v_max_f32_e64 v13, s4, s4
	v_max_f32_e32 v1, v1, v13
	v_sub_f32_e32 v13, v7, v1
	v_sub_f32_e32 v15, s4, v1
	v_mul_f32_e32 v16, 0x3fb8aa3b, v13
	v_mul_f32_e32 v17, 0x3fb8aa3b, v15
	v_fma_f32 v18, v13, s6, -v16
	v_rndne_f32_e32 v19, v16
	v_fma_f32 v20, v15, s6, -v17
	v_rndne_f32_e32 v21, v17
	v_fmac_f32_e32 v18, 0x32a5705f, v13
	v_sub_f32_e32 v16, v16, v19
	v_fmac_f32_e32 v20, 0x32a5705f, v15
	v_sub_f32_e32 v17, v17, v21
	v_add_f32_e32 v16, v16, v18
	v_cvt_i32_f32_e32 v19, v19
	v_add_f32_e32 v17, v17, v20
	v_exp_f32_e32 v16, v16
	v_cvt_i32_f32_e32 v21, v21
	v_exp_f32_e32 v17, v17
	v_cmp_ngt_f32_e32 vcc, s7, v13
	v_ldexp_f32 v16, v16, v19
	v_cndmask_b32_e32 v16, 0, v16, vcc
	v_ldexp_f32 v17, v17, v21
	v_cmp_ngt_f32_e32 vcc, s7, v15
	v_cndmask_b32_e32 v17, 0, v17, vcc
	v_cmp_nlt_f32_e32 vcc, s12, v13
	v_cndmask_b32_e32 v16, v12, v16, vcc
	v_cmp_nlt_f32_e32 vcc, s12, v15
	v_cndmask_b32_e32 v17, v12, v17, vcc
	v_cmp_le_f32_e32 vcc, s13, v13
	v_cndmask_b32_e32 v16, 0, v16, vcc
	v_cmp_le_f32_e32 vcc, s13, v15
	v_cndmask_b32_e32 v15, 0, v17, vcc
	v_mul_f32_e32 v13, s5, v15
	v_fmac_f32_e32 v13, v6, v16
	s_waitcnt vmcnt(0)
	v_mul_f32_e32 v14, v14, v15
	v_fmac_f32_e32 v14, v5, v16
	s_cbranch_execnz .LBB8_19
.LBB8_18:
	s_add_i32 s11, s8, -1
	s_mov_b64 s[0:1], 0
	v_mov_b32_e32 v0, v8
	v_mov_b32_e32 v13, v6
	;; [unrolled: 1-line block ×3, first 2 shown]
	s_waitcnt vmcnt(0)
	v_mov_b32_e32 v14, v5
.LBB8_19:
	s_andn2_b64 vcc, exec, s[0:1]
	s_cbranch_vccz .LBB8_23
; %bb.20:
	v_mov_b32_e32 v8, v0
	s_mov_b32 s8, s11
	v_mov_b32_e32 v6, v13
	v_mov_b32_e32 v7, v1
	s_waitcnt vmcnt(0)
	v_mov_b32_e32 v5, v14
	s_mul_hi_i32 s11, s8, s15
	s_cmp_lg_u64 s[10:11], 0
	s_mul_i32 s4, s8, s15
	s_cbranch_scc1 .LBB8_9
	s_branch .LBB8_15
.LBB8_21:
                                        ; implicit-def: $sgpr20_sgpr21
	s_load_dwordx4 s[16:19], s[4:5], 0x44
	s_branch .LBB8_2
.LBB8_22:
                                        ; implicit-def: $vgpr2_vgpr3
	s_branch .LBB8_5
.LBB8_23:
	v_div_scale_f32 v0, s[0:1], v13, v13, v14
	v_rcp_f32_e32 v1, v0
	v_div_scale_f32 v4, vcc, v14, v13, v14
	s_waitcnt vmcnt(0)
	v_fma_f32 v5, -v0, v1, 1.0
	v_fmac_f32_e32 v1, v5, v1
	v_mul_f32_e32 v5, v4, v1
	v_fma_f32 v6, -v0, v5, v4
	v_fmac_f32_e32 v5, v6, v1
	v_fma_f32 v0, -v0, v5, v4
	v_div_fmas_f32 v0, v0, v1, v5
	v_div_fixup_f32 v0, v0, v13, v14
	global_store_dword v[2:3], v0, off
.LBB8_24:
	s_endpgm
	.section	.rodata,"a",@progbits
	.p2align	6, 0x0
	.amdhsa_kernel _ZL33flash_attn_stream_k_fixup_generalILi256ELi2ELi8EEvPfPK15HIP_vector_typeIfLj2EEiiiiS1_IjLj3EES5_S5_S5_
		.amdhsa_group_segment_fixed_size 0
		.amdhsa_private_segment_fixed_size 0
		.amdhsa_kernarg_size 336
		.amdhsa_user_sgpr_count 6
		.amdhsa_user_sgpr_private_segment_buffer 1
		.amdhsa_user_sgpr_dispatch_ptr 0
		.amdhsa_user_sgpr_queue_ptr 0
		.amdhsa_user_sgpr_kernarg_segment_ptr 1
		.amdhsa_user_sgpr_dispatch_id 0
		.amdhsa_user_sgpr_flat_scratch_init 0
		.amdhsa_user_sgpr_kernarg_preload_length 0
		.amdhsa_user_sgpr_kernarg_preload_offset 0
		.amdhsa_user_sgpr_private_segment_size 0
		.amdhsa_uses_dynamic_stack 0
		.amdhsa_system_sgpr_private_segment_wavefront_offset 0
		.amdhsa_system_sgpr_workgroup_id_x 1
		.amdhsa_system_sgpr_workgroup_id_y 1
		.amdhsa_system_sgpr_workgroup_id_z 1
		.amdhsa_system_sgpr_workgroup_info 0
		.amdhsa_system_vgpr_workitem_id 0
		.amdhsa_next_free_vgpr 22
		.amdhsa_next_free_sgpr 32
		.amdhsa_accum_offset 24
		.amdhsa_reserve_vcc 1
		.amdhsa_reserve_flat_scratch 0
		.amdhsa_float_round_mode_32 0
		.amdhsa_float_round_mode_16_64 0
		.amdhsa_float_denorm_mode_32 3
		.amdhsa_float_denorm_mode_16_64 3
		.amdhsa_dx10_clamp 1
		.amdhsa_ieee_mode 1
		.amdhsa_fp16_overflow 0
		.amdhsa_tg_split 0
		.amdhsa_exception_fp_ieee_invalid_op 0
		.amdhsa_exception_fp_denorm_src 0
		.amdhsa_exception_fp_ieee_div_zero 0
		.amdhsa_exception_fp_ieee_overflow 0
		.amdhsa_exception_fp_ieee_underflow 0
		.amdhsa_exception_fp_ieee_inexact 0
		.amdhsa_exception_int_div_zero 0
	.end_amdhsa_kernel
	.section	.text._ZL33flash_attn_stream_k_fixup_generalILi256ELi2ELi8EEvPfPK15HIP_vector_typeIfLj2EEiiiiS1_IjLj3EES5_S5_S5_,"axG",@progbits,_ZL33flash_attn_stream_k_fixup_generalILi256ELi2ELi8EEvPfPK15HIP_vector_typeIfLj2EEiiiiS1_IjLj3EES5_S5_S5_,comdat
.Lfunc_end8:
	.size	_ZL33flash_attn_stream_k_fixup_generalILi256ELi2ELi8EEvPfPK15HIP_vector_typeIfLj2EEiiiiS1_IjLj3EES5_S5_S5_, .Lfunc_end8-_ZL33flash_attn_stream_k_fixup_generalILi256ELi2ELi8EEvPfPK15HIP_vector_typeIfLj2EEiiiiS1_IjLj3EES5_S5_S5_
                                        ; -- End function
	.section	.AMDGPU.csdata,"",@progbits
; Kernel info:
; codeLenInByte = 2824
; NumSgprs: 36
; NumVgprs: 22
; NumAgprs: 0
; TotalNumVgprs: 22
; ScratchSize: 0
; MemoryBound: 0
; FloatMode: 240
; IeeeMode: 1
; LDSByteSize: 0 bytes/workgroup (compile time only)
; SGPRBlocks: 4
; VGPRBlocks: 2
; NumSGPRsForWavesPerEU: 36
; NumVGPRsForWavesPerEU: 22
; AccumOffset: 24
; Occupancy: 8
; WaveLimiterHint : 0
; COMPUTE_PGM_RSRC2:SCRATCH_EN: 0
; COMPUTE_PGM_RSRC2:USER_SGPR: 6
; COMPUTE_PGM_RSRC2:TRAP_HANDLER: 0
; COMPUTE_PGM_RSRC2:TGID_X_EN: 1
; COMPUTE_PGM_RSRC2:TGID_Y_EN: 1
; COMPUTE_PGM_RSRC2:TGID_Z_EN: 1
; COMPUTE_PGM_RSRC2:TIDIG_COMP_CNT: 0
; COMPUTE_PGM_RSRC3_GFX90A:ACCUM_OFFSET: 5
; COMPUTE_PGM_RSRC3_GFX90A:TG_SPLIT: 0
	.section	.text._ZL15flash_attn_tileILi256ELi256ELi1ELi8ELb0EEvPKcS1_S1_S1_S1_PKiPfP15HIP_vector_typeIfLj2EEffffjfiS5_IjLj3EEiiiiiiiiiiiliiliiiiil,"axG",@progbits,_ZL15flash_attn_tileILi256ELi256ELi1ELi8ELb0EEvPKcS1_S1_S1_S1_PKiPfP15HIP_vector_typeIfLj2EEffffjfiS5_IjLj3EEiiiiiiiiiiiliiliiiiil,comdat
	.globl	_ZL15flash_attn_tileILi256ELi256ELi1ELi8ELb0EEvPKcS1_S1_S1_S1_PKiPfP15HIP_vector_typeIfLj2EEffffjfiS5_IjLj3EEiiiiiiiiiiiliiliiiiil ; -- Begin function _ZL15flash_attn_tileILi256ELi256ELi1ELi8ELb0EEvPKcS1_S1_S1_S1_PKiPfP15HIP_vector_typeIfLj2EEffffjfiS5_IjLj3EEiiiiiiiiiiiliiliiiiil
	.p2align	8
	.type	_ZL15flash_attn_tileILi256ELi256ELi1ELi8ELb0EEvPKcS1_S1_S1_S1_PKiPfP15HIP_vector_typeIfLj2EEffffjfiS5_IjLj3EEiiiiiiiiiiiliiliiiiil,@function
_ZL15flash_attn_tileILi256ELi256ELi1ELi8ELb0EEvPKcS1_S1_S1_S1_PKiPfP15HIP_vector_typeIfLj2EEffffjfiS5_IjLj3EEiiiiiiiiiiiliiliiiiil: ; @_ZL15flash_attn_tileILi256ELi256ELi1ELi8ELb0EEvPKcS1_S1_S1_S1_PKiPfP15HIP_vector_typeIfLj2EEffffjfiS5_IjLj3EEiiiiiiiiiiiliiliiiiil
; %bb.0:
	s_load_dwordx4 s[24:27], s[4:5], 0x5c
	s_load_dwordx2 s[28:29], s[4:5], 0x80
	s_mov_b64 s[30:31], 0
	s_waitcnt lgkmcnt(0)
	s_ashr_i32 s0, s27, 31
	s_lshr_b32 s0, s0, 29
	s_add_i32 s0, s27, s0
	s_ashr_i32 s0, s0, 3
	v_cvt_f32_u32_e32 v1, s0
	s_sub_i32 s1, 0, s0
	v_rcp_iflag_f32_e32 v1, v1
	v_mul_f32_e32 v1, 0x4f7ffffe, v1
	v_cvt_u32_f32_e32 v1, v1
	v_readfirstlane_b32 s2, v1
	s_mul_i32 s1, s1, s2
	s_mul_hi_u32 s1, s2, s1
	s_add_i32 s2, s2, s1
	s_mul_hi_u32 s1, s8, s2
	s_mul_i32 s2, s1, s0
	s_sub_i32 s2, s8, s2
	s_add_i32 s3, s1, 1
	s_sub_i32 s9, s2, s0
	s_cmp_ge_u32 s2, s0
	s_cselect_b32 s1, s3, s1
	s_cselect_b32 s2, s9, s2
	s_add_i32 s3, s1, 1
	s_cmp_ge_u32 s2, s0
	s_cselect_b32 s33, s3, s1
	s_abs_i32 s0, s29
	v_cvt_f32_u32_e32 v1, s0
	s_lshl_b32 s1, s8, 3
	s_mul_i32 s8, s33, s27
	s_xor_b32 s2, s27, s29
	v_rcp_iflag_f32_e32 v1, v1
	s_sub_i32 s9, 0, s0
	s_sub_i32 s29, s1, s8
	s_abs_i32 s3, s27
	v_mul_f32_e32 v1, 0x4f7ffffe, v1
	v_cvt_u32_f32_e32 v1, v1
	s_ashr_i32 s2, s2, 31
	v_readfirstlane_b32 s1, v1
	s_mul_i32 s9, s9, s1
	s_mul_hi_u32 s8, s1, s9
	s_add_i32 s1, s1, s8
	s_mul_hi_u32 s1, s3, s1
	s_mul_i32 s8, s1, s0
	s_sub_i32 s3, s3, s8
	s_add_i32 s9, s1, 1
	s_sub_i32 s8, s3, s0
	s_cmp_ge_u32 s3, s0
	s_cselect_b32 s1, s9, s1
	s_cselect_b32 s3, s8, s3
	s_add_i32 s8, s1, 1
	s_cmp_ge_u32 s3, s0
	s_cselect_b32 s0, s8, s1
	s_xor_b32 s0, s0, s2
	s_sub_i32 s35, s0, s2
	s_abs_i32 s34, s35
	v_cvt_f32_u32_e32 v1, s34
	s_load_dwordx16 s[8:23], s[4:5], 0x0
	s_load_dwordx2 s[0:1], s[4:5], 0xb8
	v_rcp_iflag_f32_e32 v1, v1
	s_waitcnt lgkmcnt(0)
	s_cmp_eq_u64 s[14:15], 0
	v_mul_f32_e32 v1, 0x4f7ffffe, v1
	v_cvt_u32_f32_e32 v1, v1
	v_readfirstlane_b32 s36, v1
	s_cbranch_scc1 .LBB9_2
; %bb.1:
	s_abs_i32 s0, s0
	v_cvt_f32_u32_e32 v1, s0
	s_sub_i32 s37, 0, s0
	s_abs_i32 s31, s33
	s_ashr_i32 s30, s33, 31
	v_rcp_iflag_f32_e32 v1, v1
	s_load_dwordx2 s[2:3], s[4:5], 0xc8
	v_mul_f32_e32 v1, 0x4f7ffffe, v1
	v_cvt_u32_f32_e32 v1, v1
	v_readfirstlane_b32 s38, v1
	s_mul_i32 s37, s37, s38
	s_mul_hi_u32 s37, s38, s37
	s_add_i32 s38, s38, s37
	s_mul_hi_u32 s37, s31, s38
	s_mul_i32 s37, s37, s0
	s_sub_i32 s31, s31, s37
	s_sub_i32 s37, s31, s0
	s_cmp_ge_u32 s31, s0
	s_cselect_b32 s31, s37, s31
	s_sub_i32 s37, s31, s0
	s_cmp_ge_u32 s31, s0
	s_cselect_b32 s0, s37, s31
	s_xor_b32 s0, s0, s30
	s_sub_i32 s0, s0, s30
	s_ashr_i32 s30, s0, 31
	s_waitcnt lgkmcnt(0)
	s_mul_i32 s3, s0, s3
	s_mul_hi_u32 s31, s0, s2
	s_add_i32 s3, s31, s3
	s_mul_i32 s30, s30, s2
	s_add_i32 s3, s3, s30
	s_mul_i32 s0, s0, s2
	s_add_u32 s30, s14, s0
	s_addc_u32 s31, s15, s3
.LBB9_2:
	s_load_dwordx4 s[40:43], s[4:5], 0x70
	v_bfe_u32 v1, v0, 10, 10
	v_and_b32_e32 v49, 7, v1
	v_lshrrev_b32_e32 v6, 3, v1
	v_add_u32_e32 v17, s6, v6
	s_waitcnt lgkmcnt(0)
	s_mul_i32 s0, s33, s42
	s_ashr_i32 s3, s0, 31
	s_mul_i32 s2, s29, s41
	s_add_u32 s0, s8, s0
	s_addc_u32 s3, s9, s3
	s_ashr_i32 s8, s2, 31
	s_add_u32 s0, s0, s2
	s_addc_u32 s8, s3, s8
	s_ashr_i32 s9, s41, 31
	v_mov_b32_e32 v2, s41
	v_alignbit_b32 v2, s9, v2, 2
	v_mad_u64_u32 v[4:5], s[2:3], v2, v49, 0
	v_mov_b32_e32 v2, v5
	s_lshr_b32 s2, s9, 2
	v_mad_u64_u32 v[2:3], s[2:3], s2, v49, v[2:3]
	v_mov_b32_e32 v5, v2
	v_mul_hi_u32 v2, s24, v17
	v_add_u32_e32 v2, v17, v2
	v_lshrrev_b32_e32 v2, s25, v2
	v_mul_lo_u32 v2, v2, s26
	s_ashr_i32 s9, s40, 31
	v_mov_b32_e32 v3, s40
	v_sub_u32_e32 v2, v17, v2
	v_alignbit_b32 v3, s9, v3, 2
	v_mad_u64_u32 v[6:7], s[2:3], v3, v2, 0
	v_mov_b32_e32 v8, v7
	s_lshr_b32 s2, s9, 2
	v_mad_u64_u32 v[8:9], s[2:3], s2, v2, v[8:9]
	v_lshlrev_b64 v[4:5], 2, v[4:5]
	v_mov_b32_e32 v7, v8
	v_and_b32_e32 v16, 0x3ff, v0
	v_mov_b32_e32 v0, s8
	v_add_co_u32_e32 v3, vcc, s0, v4
	v_addc_co_u32_e32 v0, vcc, v0, v5, vcc
	v_lshlrev_b64 v[4:5], 2, v[6:7]
	v_add_co_u32_e32 v3, vcc, v3, v4
	v_addc_co_u32_e32 v0, vcc, v0, v5, vcc
	v_lshlrev_b32_e32 v4, 4, v16
	v_add_co_u32_e32 v12, vcc, v3, v4
	v_addc_co_u32_e32 v13, vcc, 0, v0, vcc
	global_load_dwordx4 v[4:7], v[12:13], off
	global_load_dwordx4 v[8:11], v[12:13], off offset:512
	s_load_dword s0, s[4:5], 0x40
	v_lshlrev_b32_e32 v0, 7, v1
	v_lshlrev_b32_e32 v3, 1, v16
	v_add_lshl_u32 v3, v3, v0, 2
	s_mov_b32 s3, 0
	v_add_u32_e32 v3, 0x4000, v3
	s_cmp_eq_u64 s[18:19], 0
	s_waitcnt vmcnt(1) lgkmcnt(0)
	v_pk_mul_f32 v[4:5], v[4:5], s[0:1] op_sel_hi:[1,0]
	v_pk_mul_f32 v[6:7], v[6:7], s[0:1] op_sel_hi:[1,0]
	s_waitcnt vmcnt(0)
	v_pk_mul_f32 v[8:9], v[8:9], s[0:1] op_sel_hi:[1,0]
	v_pk_mul_f32 v[10:11], v[10:11], s[0:1] op_sel_hi:[1,0]
	v_cvt_f16_f32_e32 v12, v5
	v_cvt_f16_f32_e32 v4, v4
	;; [unrolled: 1-line block ×8, first 2 shown]
	v_pack_b32_f16 v5, v6, v5
	v_pack_b32_f16 v4, v4, v12
	;; [unrolled: 1-line block ×4, first 2 shown]
	ds_write2_b64 v3, v[4:5], v[6:7] offset0:128 offset1:160
	s_waitcnt lgkmcnt(0)
	s_barrier
	s_cbranch_scc1 .LBB9_4
; %bb.3:
	s_load_dword s0, s[4:5], 0xd0
	s_waitcnt lgkmcnt(0)
	s_mul_i32 s0, s0, s33
	s_add_i32 s2, s0, s6
	s_lshl_b64 s[2:3], s[2:3], 2
	s_add_u32 s2, s18, s2
	s_addc_u32 s3, s19, s3
	s_load_dword s28, s[2:3], 0x0
.LBB9_4:
	s_lshl_b32 s6, s7, 6
	v_lshlrev_b32_e32 v48, 2, v16
	s_waitcnt lgkmcnt(0)
	s_cmp_lt_i32 s6, s28
	v_mbcnt_lo_u32_b32 v3, -1, 0
	s_cbranch_scc1 .LBB9_6
; %bb.5:
	v_mbcnt_hi_u32_b32 v19, -1, v3
	v_and_b32_e32 v4, 0x60, v19
	s_mov_b32 s0, 0
	v_add_u32_e32 v50, 32, v4
	v_xor_b32_e32 v55, 16, v19
	v_xor_b32_e32 v54, 8, v19
	;; [unrolled: 1-line block ×5, first 2 shown]
	s_mov_b64 s[2:3], 0
	s_mov_b32 s8, 0xfeffffff
	s_branch .LBB9_7
.LBB9_6:
	s_mov_b64 s[2:3], -1
                                        ; implicit-def: $sgpr8
                                        ; implicit-def: $sgpr0
                                        ; implicit-def: $vgpr19
                                        ; implicit-def: $vgpr50
                                        ; implicit-def: $vgpr55
                                        ; implicit-def: $vgpr54
                                        ; implicit-def: $vgpr53
                                        ; implicit-def: $vgpr52
                                        ; implicit-def: $vgpr51
.LBB9_7:
	s_andn2_b64 vcc, exec, s[2:3]
	v_mov_b32_e32 v36, s8
	v_mov_b32_e32 v37, s0
	v_mov_b32_e32 v82, s0
	v_mov_b32_e32 v81, s0
	v_mov_b32_e32 v83, s0
	v_mov_b32_e32 v80, s0
	s_cbranch_vccnz .LBB9_10
; %bb.8:
	s_sub_i32 s0, 0, s34
	s_mul_i32 s0, s0, s36
	s_mul_hi_u32 s0, s36, s0
	s_add_i32 s0, s36, s0
	s_load_dwordx2 s[2:3], s[4:5], 0x8c
	s_load_dwordx4 s[36:39], s[4:5], 0x98
	s_ashr_i32 s24, s35, 31
	s_abs_i32 s18, s29
	s_ashr_i32 s19, s29, 31
	s_waitcnt lgkmcnt(0)
	s_ashr_i32 s15, s2, 2
	s_ashr_i32 s2, s33, 31
	s_mul_i32 s25, s33, s37
	s_mul_hi_u32 s35, s33, s36
	s_add_i32 s25, s35, s25
	s_mul_i32 s35, s2, s36
	s_ashr_i32 s14, s38, 2
	s_ashr_i32 s1, s1, 1
	s_add_i32 s25, s25, s35
	s_mul_i32 s35, s33, s36
	s_mul_hi_u32 s0, s18, s0
	s_add_u32 s10, s10, s35
	s_addc_u32 s11, s11, s25
	s_xor_b32 s19, s19, s24
	s_mul_i32 s24, s0, s34
	s_sub_i32 s18, s18, s24
	s_add_i32 s24, s0, 1
	s_sub_i32 s25, s18, s34
	s_cmp_ge_u32 s18, s34
	s_cselect_b32 s0, s24, s0
	s_cselect_b32 s18, s25, s18
	s_add_i32 s24, s0, 1
	s_cmp_ge_u32 s18, s34
	s_load_dwordx2 s[8:9], s[4:5], 0xa8
	s_cselect_b32 s0, s24, s0
	s_xor_b32 s0, s0, s19
	s_sub_i32 s0, s0, s19
	s_mul_i32 s3, s0, s3
	s_ashr_i32 s19, s3, 31
	s_add_u32 s18, s10, s3
	s_waitcnt lgkmcnt(0)
	s_mul_i32 s3, s33, s9
	s_mul_hi_u32 s9, s33, s8
	s_addc_u32 s19, s11, s19
	s_add_i32 s3, s9, s3
	s_mul_i32 s2, s2, s8
	s_add_i32 s3, s3, s2
	s_mul_i32 s2, s33, s8
	s_add_u32 s2, s12, s2
	s_mul_i32 s0, s0, s39
	v_lshrrev_b32_e32 v4, 4, v16
	s_addc_u32 s3, s13, s3
	s_ashr_i32 s8, s0, 31
	v_lshl_add_u32 v5, v1, 1, v4
	v_and_b32_e32 v4, 60, v48
	s_add_u32 s12, s2, s0
	v_lshlrev_b32_e32 v6, 2, v4
	s_movk_i32 s0, 0x110
	s_addc_u32 s13, s3, s8
	v_mad_u32_u24 v56, v5, s0, v6
	v_mul_lo_u32 v6, s15, v5
	s_lshl_b32 s0, s15, 4
	v_add_u32_e32 v8, s0, v6
	v_add_u32_e32 v10, s0, v8
	;; [unrolled: 1-line block ×3, first 2 shown]
	v_mad_u64_u32 v[18:19], s[0:1], v2, s1, v[16:17]
	v_add_u32_e32 v62, 0x5400, v0
	v_mul_lo_u32 v0, s14, v1
	s_lshl_b32 s0, s14, 3
	v_add_u32_e32 v14, s0, v0
	v_add_u32_e32 v32, s0, v14
	v_lshlrev_b32_e32 v5, 9, v1
	v_add_u32_e32 v34, s0, v32
	v_mbcnt_hi_u32_b32 v19, -1, v3
	v_ashrrev_i32_e32 v7, 31, v6
	v_ashrrev_i32_e32 v9, 31, v8
	;; [unrolled: 1-line block ×4, first 2 shown]
	v_lshl_add_u32 v64, v48, 2, v5
	v_ashrrev_i32_e32 v1, 31, v0
	v_ashrrev_i32_e32 v15, 31, v14
	;; [unrolled: 1-line block ×4, first 2 shown]
	v_lshlrev_b32_e32 v68, 3, v16
	s_add_u32 s10, s4, 0xd0
	v_and_b32_e32 v2, 0x60, v19
	v_mov_b32_e32 v80, 0
	v_add_u32_e32 v57, 0x1100, v56
	v_add_u32_e32 v58, 0x2200, v56
	;; [unrolled: 1-line block ×4, first 2 shown]
	v_mul_u32_u24_e32 v61, 0x110, v16
	v_lshl_add_u32 v63, v16, 1, v62
	v_add_u32_e32 v65, 0x1000, v64
	v_add_u32_e32 v66, 0x2000, v64
	v_add_u32_e32 v67, 0x3000, v64
	s_addc_u32 s11, s5, 0
	v_mov_b32_e32 v36, 0xfeffffff
	v_lshlrev_b64 v[20:21], 2, v[6:7]
	v_lshlrev_b32_e32 v69, 2, v4
	v_lshlrev_b64 v[22:23], 2, v[8:9]
	v_lshlrev_b64 v[24:25], 2, v[10:11]
	;; [unrolled: 1-line block ×3, first 2 shown]
	v_mov_b32_e32 v70, s31
	v_add_u32_e32 v50, 32, v2
	v_xor_b32_e32 v55, 16, v19
	v_xor_b32_e32 v54, 8, v19
	v_xor_b32_e32 v53, 4, v19
	v_xor_b32_e32 v52, 2, v19
	v_xor_b32_e32 v51, 1, v19
	s_mov_b32 s24, 0x3fb8aa3b
	s_mov_b32 s25, 0xc2ce8ed0
	;; [unrolled: 1-line block ×3, first 2 shown]
	v_mov_b32_e32 v71, 0x7f800000
	v_lshlrev_b64 v[28:29], 2, v[0:1]
	v_lshlrev_b32_e32 v72, 2, v48
	v_lshlrev_b64 v[30:31], 2, v[14:15]
	v_lshlrev_b64 v[32:33], 2, v[32:33]
	;; [unrolled: 1-line block ×3, first 2 shown]
	v_add_u32_e32 v73, 0x800, v68
	v_add_u32_e32 v74, 0x1000, v68
	;; [unrolled: 1-line block ×7, first 2 shown]
	v_mov_b32_e32 v83, 0
	v_mov_b32_e32 v81, 0
	;; [unrolled: 1-line block ×4, first 2 shown]
.LBB9_9:                                ; =>This Inner Loop Header: Depth=1
	v_cmp_lt_i32_e32 vcc, v55, v50
	v_cndmask_b32_e32 v4, v19, v55, vcc
	v_cmp_lt_i32_e32 vcc, v54, v50
	v_add_u32_e32 v2, s6, v18
	v_cndmask_b32_e32 v5, v19, v54, vcc
	v_cmp_lt_i32_e32 vcc, v53, v50
	s_mul_hi_i32 s1, s6, s15
	s_mul_i32 s0, s6, s15
	v_cndmask_b32_e32 v6, v19, v53, vcc
	v_cmp_lt_i32_e32 vcc, v52, v50
	v_ashrrev_i32_e32 v3, 31, v2
	v_cndmask_b32_e32 v7, v19, v52, vcc
	v_cmp_lt_i32_e32 vcc, v51, v50
	s_lshl_b64 s[0:1], s[0:1], 2
	v_lshlrev_b64 v[2:3], 1, v[2:3]
	v_cndmask_b32_e32 v8, v19, v51, vcc
	s_add_u32 s8, s18, s0
	v_add_co_u32_e32 v2, vcc, s30, v2
	s_mul_hi_i32 s3, s6, s14
	s_mul_i32 s2, s6, s14
	s_addc_u32 s9, s19, s1
	v_addc_co_u32_e32 v3, vcc, v70, v3, vcc
	v_lshlrev_b32_e32 v90, 2, v4
	v_lshlrev_b32_e32 v89, 2, v5
	;; [unrolled: 1-line block ×5, first 2 shown]
	s_lshl_b64 s[34:35], s[2:3], 2
	v_mov_b32_e32 v4, s9
	v_mov_b32_e32 v5, s9
	v_add_co_u32_e32 v6, vcc, s8, v22
	v_mov_b32_e32 v7, s9
	v_add_co_u32_e64 v8, s[0:1], s8, v24
	v_mov_b32_e32 v9, s9
	v_add_co_u32_e64 v10, s[2:3], s8, v26
	v_add_co_u32_e64 v11, s[8:9], s8, v20
	v_addc_co_u32_e64 v12, s[8:9], v4, v21, s[8:9]
	v_addc_co_u32_e32 v5, vcc, v5, v23, vcc
	v_addc_co_u32_e64 v7, s[0:1], v7, v25, s[0:1]
	v_addc_co_u32_e64 v13, s[2:3], v9, v27, s[2:3]
	v_add_co_u32_e64 v46, s[8:9], v11, v69
	v_add_co_u32_e32 v4, vcc, v6, v69
	v_add_co_u32_e64 v8, s[0:1], v8, v69
	v_add_co_u32_e64 v6, s[2:3], v10, v69
	v_addc_co_u32_e64 v47, s[8:9], 0, v12, s[8:9]
	v_addc_co_u32_e32 v5, vcc, 0, v5, vcc
	v_addc_co_u32_e64 v9, vcc, 0, v7, s[0:1]
	v_addc_co_u32_e64 v7, vcc, 0, v13, s[2:3]
	global_load_dwordx4 v[92:95], v[46:47], off
	global_load_dwordx4 v[96:99], v[4:5], off
	global_load_dwordx4 v[100:103], v[8:9], off
	global_load_dwordx4 v[104:107], v[6:7], off
	v_mov_b32_e32 v0, 0
	v_mov_b32_e32 v1, 0
	s_add_u32 s34, s12, s34
	s_addc_u32 s35, s13, s35
	v_mov_b32_e32 v10, s35
	v_add_co_u32_e32 v11, vcc, s34, v28
	v_mov_b32_e32 v12, s35
	v_add_co_u32_e64 v13, s[0:1], s34, v30
	v_mov_b32_e32 v85, v37
	v_mov_b32_e32 v14, s35
	v_add_co_u32_e64 v15, s[2:3], s34, v32
	v_mov_b32_e32 v37, s35
	v_add_co_u32_e64 v38, s[8:9], s34, v34
	v_addc_co_u32_e32 v10, vcc, v10, v29, vcc
	v_addc_co_u32_e64 v12, vcc, v12, v31, s[0:1]
	v_mov_b32_e32 v84, v36
	v_add_co_u32_e32 v36, vcc, v13, v72
	s_waitcnt vmcnt(3)
	ds_write_b128 v56, v[92:95]
	s_waitcnt vmcnt(2)
	ds_write_b128 v57, v[96:99]
	;; [unrolled: 2-line block ×4, first 2 shown]
	s_waitcnt lgkmcnt(0)
	s_barrier
	ds_read_b128 v[92:95], v61
	ds_read_b128 v[96:99], v60
	ds_read_b128 v[100:103], v61 offset:8704
	s_waitcnt lgkmcnt(1)
	;;#ASMSTART
	v_dot2_f32_f16 v0, v92, v96, v0
	;;#ASMEND
	;;#ASMSTART
	v_dot2_f32_f16 v0, v93, v97, v0
	;;#ASMEND
	;;#ASMSTART
	v_dot2_f32_f16 v0, v94, v98, v0
	;;#ASMEND
	;;#ASMSTART
	v_dot2_f32_f16 v0, v95, v99, v0
	;;#ASMEND
	s_waitcnt lgkmcnt(0)
	;;#ASMSTART
	v_dot2_f32_f16 v1, v100, v96, v1
	;;#ASMEND
	;;#ASMSTART
	v_dot2_f32_f16 v1, v101, v97, v1
	;;#ASMEND
	;;#ASMSTART
	v_dot2_f32_f16 v1, v102, v98, v1
	;;#ASMEND
	;;#ASMSTART
	v_dot2_f32_f16 v1, v103, v99, v1
	;;#ASMEND
	ds_read_b128 v[92:95], v61 offset:16
	ds_read_b128 v[96:99], v60 offset:16
	ds_read_b128 v[100:103], v61 offset:8720
	s_waitcnt lgkmcnt(1)
	;;#ASMSTART
	v_dot2_f32_f16 v0, v92, v96, v0
	;;#ASMEND
	;;#ASMSTART
	v_dot2_f32_f16 v0, v93, v97, v0
	;;#ASMEND
	;;#ASMSTART
	v_dot2_f32_f16 v0, v94, v98, v0
	;;#ASMEND
	;;#ASMSTART
	v_dot2_f32_f16 v0, v95, v99, v0
	;;#ASMEND
	s_waitcnt lgkmcnt(0)
	;;#ASMSTART
	v_dot2_f32_f16 v1, v100, v96, v1
	;;#ASMEND
	;;#ASMSTART
	v_dot2_f32_f16 v1, v101, v97, v1
	;;#ASMEND
	;;#ASMSTART
	v_dot2_f32_f16 v1, v102, v98, v1
	;;#ASMEND
	;;#ASMSTART
	v_dot2_f32_f16 v1, v103, v99, v1
	;;#ASMEND
	ds_read_b128 v[92:95], v61 offset:32
	ds_read_b128 v[96:99], v60 offset:32
	;; [unrolled: 29-line block ×15, first 2 shown]
	ds_read_b128 v[100:103], v61 offset:8944
	s_waitcnt lgkmcnt(1)
	;;#ASMSTART
	v_dot2_f32_f16 v0, v92, v96, v0
	;;#ASMEND
	;;#ASMSTART
	v_dot2_f32_f16 v0, v93, v97, v0
	;;#ASMEND
	;; [unrolled: 3-line block ×4, first 2 shown]
	s_waitcnt lgkmcnt(0)
	;;#ASMSTART
	v_dot2_f32_f16 v1, v100, v96, v1
	;;#ASMEND
	;;#ASMSTART
	v_dot2_f32_f16 v1, v101, v97, v1
	;;#ASMEND
	;; [unrolled: 3-line block ×4, first 2 shown]
	s_barrier
	global_load_dwordx4 v[92:95], v[46:47], off offset:256
	global_load_dwordx4 v[96:99], v[4:5], off offset:256
	global_load_dwordx4 v[100:103], v[8:9], off offset:256
	global_load_dwordx4 v[104:107], v[6:7], off offset:256
	s_waitcnt vmcnt(3)
	ds_write_b128 v56, v[92:95]
	s_waitcnt vmcnt(2)
	ds_write_b128 v57, v[96:99]
	;; [unrolled: 2-line block ×4, first 2 shown]
	s_waitcnt lgkmcnt(0)
	s_barrier
	ds_read_b128 v[4:7], v61
	ds_read_b128 v[92:95], v60 offset:256
	ds_read_b128 v[96:99], v61 offset:8704
	s_waitcnt lgkmcnt(1)
	;;#ASMSTART
	v_dot2_f32_f16 v0, v4, v92, v0
	;;#ASMEND
	;;#ASMSTART
	v_dot2_f32_f16 v0, v5, v93, v0
	;;#ASMEND
	;;#ASMSTART
	v_dot2_f32_f16 v0, v6, v94, v0
	;;#ASMEND
	;;#ASMSTART
	v_dot2_f32_f16 v0, v7, v95, v0
	;;#ASMEND
	s_waitcnt lgkmcnt(0)
	;;#ASMSTART
	v_dot2_f32_f16 v1, v96, v92, v1
	;;#ASMEND
	;;#ASMSTART
	v_dot2_f32_f16 v1, v97, v93, v1
	;;#ASMEND
	;;#ASMSTART
	v_dot2_f32_f16 v1, v98, v94, v1
	;;#ASMEND
	;;#ASMSTART
	v_dot2_f32_f16 v1, v99, v95, v1
	;;#ASMEND
	ds_read_b128 v[4:7], v61 offset:16
	ds_read_b128 v[92:95], v60 offset:272
	ds_read_b128 v[96:99], v61 offset:8720
	s_waitcnt lgkmcnt(1)
	;;#ASMSTART
	v_dot2_f32_f16 v0, v4, v92, v0
	;;#ASMEND
	;;#ASMSTART
	v_dot2_f32_f16 v0, v5, v93, v0
	;;#ASMEND
	;;#ASMSTART
	v_dot2_f32_f16 v0, v6, v94, v0
	;;#ASMEND
	;;#ASMSTART
	v_dot2_f32_f16 v0, v7, v95, v0
	;;#ASMEND
	s_waitcnt lgkmcnt(0)
	;;#ASMSTART
	v_dot2_f32_f16 v1, v96, v92, v1
	;;#ASMEND
	;;#ASMSTART
	v_dot2_f32_f16 v1, v97, v93, v1
	;;#ASMEND
	;;#ASMSTART
	v_dot2_f32_f16 v1, v98, v94, v1
	;;#ASMEND
	;;#ASMSTART
	v_dot2_f32_f16 v1, v99, v95, v1
	;;#ASMEND
	ds_read_b128 v[4:7], v61 offset:32
	;; [unrolled: 29-line block ×15, first 2 shown]
	ds_read_b128 v[92:95], v60 offset:496
	ds_read_b128 v[96:99], v61 offset:8944
	s_waitcnt lgkmcnt(1)
	;;#ASMSTART
	v_dot2_f32_f16 v0, v4, v92, v0
	;;#ASMEND
	;;#ASMSTART
	v_dot2_f32_f16 v0, v5, v93, v0
	;;#ASMEND
	;; [unrolled: 3-line block ×4, first 2 shown]
	s_waitcnt lgkmcnt(0)
	;;#ASMSTART
	v_dot2_f32_f16 v1, v96, v92, v1
	;;#ASMEND
	;;#ASMSTART
	v_dot2_f32_f16 v1, v97, v93, v1
	;;#ASMEND
	;; [unrolled: 3-line block ×4, first 2 shown]
	flat_load_ushort v46, v[2:3] offset:64
	flat_load_ushort v47, v[2:3]
	v_addc_co_u32_e64 v13, s[0:1], v14, v33, s[2:3]
	v_addc_co_u32_e64 v14, s[2:3], v37, v35, s[8:9]
	v_add_co_u32_e64 v44, s[8:9], v11, v72
	v_add_co_u32_e64 v42, s[0:1], v15, v72
	;; [unrolled: 1-line block ×3, first 2 shown]
	v_addc_co_u32_e64 v45, s[8:9], 0, v10, s[8:9]
	v_addc_co_u32_e32 v37, vcc, 0, v12, vcc
	v_addc_co_u32_e64 v43, vcc, 0, v13, s[0:1]
	v_addc_co_u32_e64 v41, vcc, 0, v14, s[2:3]
	s_waitcnt lgkmcnt(0)
	s_barrier
	global_load_dwordx4 v[2:5], v[44:45], off
	global_load_dwordx4 v[6:9], v[36:37], off
	;; [unrolled: 1-line block ×4, first 2 shown]
	s_or_b32 s36, s6, 32
	s_mul_hi_i32 s35, s36, s14
	s_mul_i32 s34, s36, s14
	s_lshl_b64 s[34:35], s[34:35], 2
	s_add_u32 s8, s12, s34
	s_addc_u32 s2, s13, s35
	v_mov_b32_e32 v10, s2
	v_mov_b32_e32 v11, s2
	v_add_co_u32_e32 v12, vcc, s8, v30
	v_mov_b32_e32 v13, s2
	v_add_co_u32_e64 v14, s[0:1], s8, v32
	v_mov_b32_e32 v15, s2
	v_add_co_u32_e64 v38, s[2:3], s8, v34
	v_add_co_u32_e64 v39, s[8:9], s8, v28
	v_addc_co_u32_e32 v11, vcc, v11, v31, vcc
	v_addc_co_u32_e64 v13, s[0:1], v13, v33, s[0:1]
	v_addc_co_u32_e64 v108, s[2:3], v15, v35, s[2:3]
	;; [unrolled: 1-line block ×3, first 2 shown]
	v_add_co_u32_e32 v10, vcc, v12, v72
	v_add_co_u32_e64 v14, s[0:1], v14, v72
	v_add_co_u32_e64 v12, s[2:3], v38, v72
	v_addc_co_u32_e32 v11, vcc, 0, v11, vcc
	v_addc_co_u32_e64 v15, vcc, 0, v13, s[0:1]
	v_addc_co_u32_e64 v13, vcc, 0, v108, s[2:3]
	v_add_co_u32_e64 v38, s[8:9], v39, v72
	v_addc_co_u32_e64 v39, s[8:9], 0, v91, s[8:9]
	s_waitcnt vmcnt(0)
	v_cvt_f32_f16_e32 v37, v46
	v_cvt_f32_f16_e32 v36, v47
	v_pk_add_f32 v[0:1], v[0:1], v[36:37]
	v_add_f32_e32 v36, 0x40051340, v0
	v_add_f32_e32 v37, 0x40051340, v1
	v_max3_f32 v36, v84, v36, v37
	ds_bpermute_b32 v37, v90, v36
	s_waitcnt lgkmcnt(0)
	v_max_f32_e32 v37, v37, v37
	v_max_f32_e32 v36, v36, v37
	ds_bpermute_b32 v37, v89, v36
	s_waitcnt lgkmcnt(0)
	v_max_f32_e32 v37, v37, v37
	v_max_f32_e32 v36, v36, v37
	ds_bpermute_b32 v37, v88, v36
	s_waitcnt lgkmcnt(0)
	v_max_f32_e32 v37, v37, v37
	v_max_f32_e32 v36, v36, v37
	ds_bpermute_b32 v37, v87, v36
	s_waitcnt lgkmcnt(0)
	v_max_f32_e32 v37, v37, v37
	v_max_f32_e32 v36, v36, v37
	ds_bpermute_b32 v37, v86, v36
	s_waitcnt lgkmcnt(0)
	v_max_f32_e32 v37, v37, v37
	v_max_f32_e32 v36, v36, v37
	v_sub_f32_e32 v37, v84, v36
	v_pk_add_f32 v[0:1], v[0:1], v[36:37] op_sel_hi:[1,0] neg_lo:[0,1] neg_hi:[0,1]
	v_mul_f32_e32 v41, 0x3fb8aa3b, v0
	v_mul_f32_e32 v40, 0x3fb8aa3b, v1
	;; [unrolled: 1-line block ×3, first 2 shown]
	v_fma_f32 v45, v0, s24, -v41
	v_rndne_f32_e32 v46, v41
	v_fma_f32 v43, v1, s24, -v40
	v_rndne_f32_e32 v44, v40
	;; [unrolled: 2-line block ×3, first 2 shown]
	v_fmac_f32_e32 v45, 0x32a5705f, v0
	v_sub_f32_e32 v41, v41, v46
	v_fmac_f32_e32 v43, 0x32a5705f, v1
	v_sub_f32_e32 v40, v40, v44
	;; [unrolled: 2-line block ×3, first 2 shown]
	v_add_f32_e32 v41, v41, v45
	v_cvt_i32_f32_e32 v46, v46
	v_add_f32_e32 v40, v40, v43
	v_add_f32_e32 v42, v42, v47
	v_exp_f32_e32 v41, v41
	v_cvt_i32_f32_e32 v44, v44
	v_cvt_i32_f32_e32 v84, v84
	v_exp_f32_e32 v40, v40
	v_exp_f32_e32 v42, v42
	v_ldexp_f32 v41, v41, v46
	v_cmp_ngt_f32_e32 vcc, s25, v0
	v_ldexp_f32 v40, v40, v44
	v_ldexp_f32 v42, v42, v84
	v_cmp_ngt_f32_e64 s[0:1], s25, v37
	v_cmp_ngt_f32_e64 s[2:3], s25, v1
	v_cndmask_b32_e32 v41, 0, v41, vcc
	v_cmp_nlt_f32_e32 vcc, s31, v0
	v_cndmask_b32_e64 v40, 0, v40, s[2:3]
	v_cndmask_b32_e64 v0, 0, v42, s[0:1]
	v_cmp_nlt_f32_e64 s[0:1], s31, v37
	v_cmp_nlt_f32_e64 s[2:3], s31, v1
	v_cndmask_b32_e32 v37, v71, v41, vcc
	v_cndmask_b32_e64 v1, v71, v40, s[2:3]
	v_cvt_f16_f32_e32 v40, v37
	v_add_f32_e32 v37, v37, v1
	v_cvt_f16_f32_e32 v1, v1
	v_cndmask_b32_e64 v0, v71, v0, s[0:1]
	v_cvt_f16_f32_e32 v220, v0
	v_fmac_f32_e32 v37, v85, v0
	ds_write_b16 v63, v40
	ds_write_b16 v63, v1 offset:64
	ds_write_b128 v64, v[2:5]
	ds_write_b128 v65, v[6:9]
	;; [unrolled: 1-line block ×4, first 2 shown]
	s_waitcnt lgkmcnt(0)
	s_barrier
	ds_read2_b64 v[0:3], v68 offset1:32
	ds_read_b128 v[4:7], v62
	ds_read_b128 v[40:43], v62 offset:16
	ds_read_b128 v[44:47], v62 offset:32
	ds_read_b128 v[84:87], v62 offset:48
	ds_read2_b64 v[88:91], v68 offset0:64 offset1:96
	ds_read2_b64 v[92:95], v68 offset0:128 offset1:160
	ds_read2_b64 v[96:99], v68 offset0:192 offset1:224
	ds_read2_b64 v[100:103], v73 offset1:32
	ds_read2_b64 v[104:107], v73 offset0:64 offset1:96
	ds_read2_b64 v[108:111], v73 offset0:128 offset1:160
	ds_read2_b64 v[112:115], v73 offset0:192 offset1:224
	ds_read2_b64 v[116:119], v74 offset1:32
	;; [unrolled: 4-line block ×7, first 2 shown]
	ds_read2_b64 v[200:203], v79 offset0:64 offset1:96
	ds_read2_b64 v[204:207], v79 offset0:128 offset1:160
	;; [unrolled: 1-line block ×3, first 2 shown]
	s_waitcnt lgkmcnt(0)
	s_barrier
	global_load_dwordx4 v[212:215], v[38:39], off
	s_nop 0
	global_load_dwordx4 v[8:11], v[10:11], off
	s_nop 0
	;; [unrolled: 2-line block ×3, first 2 shown]
	global_load_dwordx4 v[12:15], v[12:13], off
	v_pk_mul_f16 v83, v220, v83 op_sel_hi:[0,1]
	v_pk_mul_f16 v80, v220, v80 op_sel_hi:[0,1]
	v_pk_mul_f16 v0, v0, v4 op_sel_hi:[1,0]
	v_pk_mul_f16 v1, v1, v4 op_sel_hi:[1,0]
	v_pk_fma_f16 v2, v2, v4, v83 op_sel_hi:[1,0,1]
	v_pk_fma_f16 v3, v3, v4, v80 op_sel_hi:[1,0,1]
	v_pk_fma_f16 v0, v82, v220, v0 op_sel_hi:[1,0,1]
	v_pk_fma_f16 v1, v81, v220, v1 op_sel_hi:[1,0,1]
	v_pk_fma_f16 v2, v90, v4, v2 op_sel:[0,1,0]
	v_pk_fma_f16 v3, v91, v4, v3 op_sel:[0,1,0]
	v_pk_fma_f16 v0, v88, v4, v0 op_sel:[0,1,0]
	v_pk_fma_f16 v1, v89, v4, v1 op_sel:[0,1,0]
	v_pk_fma_f16 v2, v94, v5, v2 op_sel_hi:[1,0,1]
	v_pk_fma_f16 v3, v95, v5, v3 op_sel_hi:[1,0,1]
	v_pk_fma_f16 v0, v92, v5, v0 op_sel_hi:[1,0,1]
	v_pk_fma_f16 v1, v93, v5, v1 op_sel_hi:[1,0,1]
	v_pk_fma_f16 v2, v98, v5, v2 op_sel:[0,1,0]
	v_pk_fma_f16 v3, v99, v5, v3 op_sel:[0,1,0]
	v_pk_fma_f16 v0, v96, v5, v0 op_sel:[0,1,0]
	v_pk_fma_f16 v1, v97, v5, v1 op_sel:[0,1,0]
	;; [unrolled: 8-line block ×16, first 2 shown]
	s_waitcnt vmcnt(3)
	ds_write_b128 v64, v[212:215]
	s_waitcnt vmcnt(2)
	ds_write_b128 v65, v[8:11]
	;; [unrolled: 2-line block ×4, first 2 shown]
	s_waitcnt lgkmcnt(0)
	s_barrier
	ds_read2_b64 v[38:41], v68 offset1:32
	ds_read_b128 v[12:15], v62 offset:64
	ds_read_b128 v[8:11], v62 offset:80
	;; [unrolled: 1-line block ×4, first 2 shown]
	ds_read2_b64 v[42:45], v68 offset0:64 offset1:96
	ds_read2_b64 v[80:83], v68 offset0:128 offset1:160
	ds_read2_b64 v[84:87], v68 offset0:192 offset1:224
	ds_read2_b64 v[88:91], v73 offset1:32
	ds_read2_b64 v[92:95], v73 offset0:64 offset1:96
	ds_read2_b64 v[96:99], v73 offset0:128 offset1:160
	ds_read2_b64 v[100:103], v73 offset0:192 offset1:224
	ds_read2_b64 v[104:107], v74 offset1:32
	;; [unrolled: 4-line block ×7, first 2 shown]
	ds_read2_b64 v[188:191], v79 offset0:64 offset1:96
	ds_read2_b64 v[192:195], v79 offset0:128 offset1:160
	;; [unrolled: 1-line block ×3, first 2 shown]
	s_waitcnt lgkmcnt(14)
	v_pk_fma_f16 v38, v38, v12, v200 op_sel_hi:[1,0,1]
	v_pk_fma_f16 v39, v39, v12, v201 op_sel_hi:[1,0,1]
	v_pk_fma_f16 v40, v40, v12, v46 op_sel_hi:[1,0,1]
	v_pk_fma_f16 v41, v41, v12, v47 op_sel_hi:[1,0,1]
	v_pk_fma_f16 v38, v42, v12, v38 op_sel:[0,1,0]
	v_pk_fma_f16 v39, v43, v12, v39 op_sel:[0,1,0]
	v_pk_fma_f16 v40, v44, v12, v40 op_sel:[0,1,0]
	v_pk_fma_f16 v12, v45, v12, v41 op_sel:[0,1,0]
	v_pk_fma_f16 v38, v80, v13, v38 op_sel_hi:[1,0,1]
	v_pk_fma_f16 v39, v81, v13, v39 op_sel_hi:[1,0,1]
	v_pk_fma_f16 v40, v82, v13, v40 op_sel_hi:[1,0,1]
	v_pk_fma_f16 v12, v83, v13, v12 op_sel_hi:[1,0,1]
	v_pk_fma_f16 v38, v84, v13, v38 op_sel:[0,1,0]
	v_pk_fma_f16 v39, v85, v13, v39 op_sel:[0,1,0]
	v_pk_fma_f16 v40, v86, v13, v40 op_sel:[0,1,0]
	v_pk_fma_f16 v12, v87, v13, v12 op_sel:[0,1,0]
	;; [unrolled: 8-line block ×9, first 2 shown]
	s_waitcnt lgkmcnt(13)
	v_pk_fma_f16 v8, v144, v5, v9 op_sel_hi:[1,0,1]
	v_pk_fma_f16 v9, v145, v5, v10 op_sel_hi:[1,0,1]
	v_pk_fma_f16 v10, v146, v5, v11 op_sel_hi:[1,0,1]
	v_pk_fma_f16 v4, v147, v5, v4 op_sel_hi:[1,0,1]
	s_waitcnt lgkmcnt(12)
	v_pk_fma_f16 v8, v148, v5, v8 op_sel:[0,1,0]
	v_pk_fma_f16 v9, v149, v5, v9 op_sel:[0,1,0]
	v_pk_fma_f16 v10, v150, v5, v10 op_sel:[0,1,0]
	v_pk_fma_f16 v4, v151, v5, v4 op_sel:[0,1,0]
	s_waitcnt lgkmcnt(11)
	v_pk_fma_f16 v5, v152, v6, v8 op_sel_hi:[1,0,1]
	v_pk_fma_f16 v8, v153, v6, v9 op_sel_hi:[1,0,1]
	v_pk_fma_f16 v9, v154, v6, v10 op_sel_hi:[1,0,1]
	v_pk_fma_f16 v4, v155, v6, v4 op_sel_hi:[1,0,1]
	s_waitcnt lgkmcnt(10)
	v_pk_fma_f16 v5, v156, v6, v5 op_sel:[0,1,0]
	v_pk_fma_f16 v8, v157, v6, v8 op_sel:[0,1,0]
	v_pk_fma_f16 v9, v158, v6, v9 op_sel:[0,1,0]
	v_pk_fma_f16 v4, v159, v6, v4 op_sel:[0,1,0]
	;; [unrolled: 10-line block ×3, first 2 shown]
	s_waitcnt lgkmcnt(0)
	s_barrier
	s_load_dword s0, s[10:11], 0x4
	v_pk_fma_f16 v5, v168, v0, v5 op_sel_hi:[1,0,1]
	v_pk_fma_f16 v6, v169, v0, v6 op_sel_hi:[1,0,1]
	;; [unrolled: 1-line block ×4, first 2 shown]
	v_pk_fma_f16 v5, v172, v0, v5 op_sel:[0,1,0]
	v_pk_fma_f16 v6, v173, v0, v6 op_sel:[0,1,0]
	;; [unrolled: 1-line block ×4, first 2 shown]
	v_pk_fma_f16 v4, v176, v1, v5 op_sel_hi:[1,0,1]
	v_pk_fma_f16 v5, v177, v1, v6 op_sel_hi:[1,0,1]
	;; [unrolled: 1-line block ×4, first 2 shown]
	v_pk_fma_f16 v4, v180, v1, v4 op_sel:[0,1,0]
	v_pk_fma_f16 v5, v181, v1, v5 op_sel:[0,1,0]
	;; [unrolled: 1-line block ×4, first 2 shown]
	v_pk_fma_f16 v1, v184, v2, v4 op_sel_hi:[1,0,1]
	v_pk_fma_f16 v4, v185, v2, v5 op_sel_hi:[1,0,1]
	;; [unrolled: 1-line block ×4, first 2 shown]
	s_waitcnt lgkmcnt(0)
	s_lshl_b32 s0, s0, 6
	v_pk_fma_f16 v1, v188, v2, v1 op_sel:[0,1,0]
	v_pk_fma_f16 v4, v189, v2, v4 op_sel:[0,1,0]
	v_pk_fma_f16 v5, v190, v2, v5 op_sel:[0,1,0]
	v_pk_fma_f16 v0, v191, v2, v0 op_sel:[0,1,0]
	s_add_i32 s6, s0, s6
	v_pk_fma_f16 v1, v192, v3, v1 op_sel_hi:[1,0,1]
	v_pk_fma_f16 v2, v193, v3, v4 op_sel_hi:[1,0,1]
	;; [unrolled: 1-line block ×4, first 2 shown]
	s_cmp_lt_i32 s6, s28
	v_pk_fma_f16 v82, v196, v3, v1 op_sel:[0,1,0]
	v_pk_fma_f16 v81, v197, v3, v2 op_sel:[0,1,0]
	;; [unrolled: 1-line block ×4, first 2 shown]
	s_cbranch_scc1 .LBB9_9
.LBB9_10:
	v_cmp_lt_i32_e32 vcc, v55, v50
	v_cndmask_b32_e32 v0, v19, v55, vcc
	v_lshlrev_b32_e32 v0, 2, v0
	ds_bpermute_b32 v0, v0, v37
	v_cmp_lt_i32_e32 vcc, v54, v50
	v_cndmask_b32_e32 v1, v19, v54, vcc
	v_lshlrev_b32_e32 v1, 2, v1
	v_cmp_lt_i32_e32 vcc, v53, v50
	s_waitcnt lgkmcnt(0)
	v_add_f32_e32 v0, v37, v0
	ds_bpermute_b32 v1, v1, v0
	v_cndmask_b32_e32 v2, v19, v53, vcc
	v_lshlrev_b32_e32 v2, 2, v2
	v_cmp_lt_i32_e32 vcc, v52, v50
	s_cmp_eq_u64 s[16:17], 0
	s_waitcnt lgkmcnt(0)
	v_add_f32_e32 v0, v0, v1
	ds_bpermute_b32 v1, v2, v0
	v_cndmask_b32_e32 v2, v19, v52, vcc
	v_lshlrev_b32_e32 v2, 2, v2
	v_cmp_lt_i32_e32 vcc, v51, v50
	v_cndmask_b32_e32 v3, v19, v51, vcc
	s_waitcnt lgkmcnt(0)
	v_add_f32_e32 v1, v0, v1
	ds_bpermute_b32 v2, v2, v1
	v_lshlrev_b32_e32 v3, 2, v3
	s_cselect_b64 s[0:1], -1, 0
	s_cmp_lg_u32 s7, 0
	s_cselect_b64 s[2:3], -1, 0
	s_waitcnt lgkmcnt(0)
	v_add_f32_e32 v1, v1, v2
	ds_bpermute_b32 v2, v3, v1
	s_or_b64 s[0:1], s[2:3], s[0:1]
	v_add_u32_e32 v0, s29, v49
	s_and_b64 vcc, exec, s[0:1]
	s_waitcnt lgkmcnt(0)
	v_add_f32_e32 v37, v1, v2
	s_cbranch_vccnz .LBB9_12
; %bb.11:
	v_ashrrev_i32_e32 v1, 31, v0
	v_lshlrev_b64 v[2:3], 2, v[0:1]
	v_mov_b32_e32 v1, s17
	v_add_co_u32_e32 v2, vcc, s16, v2
	v_addc_co_u32_e32 v3, vcc, v1, v3, vcc
	global_load_dword v1, v[2:3], off
	v_max_f32_e32 v2, v36, v36
	s_mov_b32 s0, 0x3fb8aa3b
	s_mov_b32 s1, 0xc2ce8ed0
	s_waitcnt vmcnt(0)
	v_max_f32_e32 v3, v1, v1
	v_max_f32_e32 v2, v2, v3
	v_sub_f32_e32 v3, v36, v2
	v_sub_f32_e32 v1, v1, v2
	v_mul_f32_e32 v4, 0x3fb8aa3b, v3
	v_mul_f32_e32 v5, 0x3fb8aa3b, v1
	v_fma_f32 v6, v3, s0, -v4
	v_rndne_f32_e32 v7, v4
	v_fma_f32 v8, v1, s0, -v5
	v_rndne_f32_e32 v9, v5
	v_fmac_f32_e32 v6, 0x32a5705f, v3
	v_sub_f32_e32 v4, v4, v7
	v_fmac_f32_e32 v8, 0x32a5705f, v1
	v_sub_f32_e32 v5, v5, v9
	v_add_f32_e32 v4, v4, v6
	v_cvt_i32_f32_e32 v7, v7
	v_add_f32_e32 v5, v5, v8
	v_exp_f32_e32 v4, v4
	v_cvt_i32_f32_e32 v9, v9
	v_exp_f32_e32 v5, v5
	v_cmp_ngt_f32_e32 vcc, s1, v3
	v_ldexp_f32 v4, v4, v7
	s_mov_b32 s0, 0x42b17218
	v_ldexp_f32 v5, v5, v9
	v_cndmask_b32_e32 v4, 0, v4, vcc
	v_cmp_ngt_f32_e32 vcc, s1, v1
	v_mov_b32_e32 v6, 0x7f800000
	v_cndmask_b32_e32 v5, 0, v5, vcc
	v_cmp_nlt_f32_e32 vcc, s0, v3
	v_cndmask_b32_e32 v4, v6, v4, vcc
	v_cvt_f16_f32_e32 v7, v4
	v_cmp_nlt_f32_e32 vcc, s0, v1
	v_cndmask_b32_e32 v3, v6, v5, vcc
	v_fmac_f32_e32 v3, v37, v4
	v_pk_mul_f16 v82, v7, v82 op_sel_hi:[0,1]
	v_pk_mul_f16 v81, v7, v81 op_sel_hi:[0,1]
	;; [unrolled: 1-line block ×4, first 2 shown]
	v_pk_mov_b32 v[36:37], v[2:3], v[2:3] op_sel:[0,1]
	s_branch .LBB9_13
.LBB9_12:
	v_mov_b32_e32 v3, v37
.LBB9_13:
	v_div_scale_f32 v1, s[0:1], v3, v3, 1.0
	v_rcp_f32_e32 v2, v1
	s_load_dword s4, s[4:5], 0xd4
	s_mul_i32 s33, s33, s26
	v_cvt_f32_f16_sdwa v11, v81 dst_sel:DWORD dst_unused:UNUSED_PAD src0_sel:WORD_1
	v_fma_f32 v4, -v1, v2, 1.0
	v_fmac_f32_e32 v2, v4, v2
	v_div_scale_f32 v4, vcc, 1.0, v3, 1.0
	v_mul_f32_e32 v5, v4, v2
	v_fma_f32 v6, -v1, v5, v4
	v_fmac_f32_e32 v5, v6, v2
	v_fma_f32 v1, -v1, v5, v4
	s_waitcnt lgkmcnt(0)
	s_cmp_lg_u32 s4, 1
	v_div_fmas_f32 v1, v1, v2, v5
	v_div_fixup_f32 v1, v1, v3, 1.0
	s_cselect_b64 s[0:1], -1, 0
	v_cndmask_b32_e64 v6, v1, 1.0, s[0:1]
	v_add_u32_e32 v1, s33, v17
	v_mad_u64_u32 v[0:1], s[2:3], v1, s27, v[0:1]
	v_mul_lo_u32 v0, s4, v0
	v_add_u32_e32 v0, s7, v0
	v_cvt_f32_f16_sdwa v5, v82 dst_sel:DWORD dst_unused:UNUSED_PAD src0_sel:WORD_1
	v_cvt_f32_f16_e32 v4, v82
	v_cvt_f32_f16_e32 v10, v81
	v_lshl_add_u32 v8, v0, 8, v48
	v_mov_b32_e32 v9, 0
	v_lshlrev_b64 v[2:3], 2, v[8:9]
	v_mov_b32_e32 v1, s21
	v_add_co_u32_e32 v12, vcc, s20, v2
	v_addc_co_u32_e32 v13, vcc, v1, v3, vcc
	v_pk_mul_f32 v[2:3], v[6:7], v[4:5] op_sel_hi:[0,1]
	v_pk_mul_f32 v[4:5], v[6:7], v[10:11] op_sel_hi:[0,1]
	v_add_u32_e32 v8, 0x80, v8
	global_store_dwordx4 v[12:13], v[2:5], off
	s_nop 0
	v_lshlrev_b64 v[2:3], 2, v[8:9]
	v_cvt_f32_f16_sdwa v5, v83 dst_sel:DWORD dst_unused:UNUSED_PAD src0_sel:WORD_1
	v_cvt_f32_f16_e32 v4, v83
	v_cvt_f32_f16_sdwa v9, v80 dst_sel:DWORD dst_unused:UNUSED_PAD src0_sel:WORD_1
	v_cvt_f32_f16_e32 v8, v80
	v_add_co_u32_e32 v10, vcc, s20, v2
	v_addc_co_u32_e32 v11, vcc, v1, v3, vcc
	v_cmp_eq_u32_e32 vcc, 0, v16
	v_pk_mul_f32 v[2:3], v[6:7], v[4:5] op_sel_hi:[0,1]
	v_pk_mul_f32 v[4:5], v[6:7], v[8:9] op_sel_hi:[0,1]
	s_and_b64 s[0:1], vcc, s[0:1]
	global_store_dwordx4 v[10:11], v[2:5], off
	s_and_saveexec_b64 s[2:3], s[0:1]
	s_cbranch_execz .LBB9_15
; %bb.14:
	v_ashrrev_i32_e32 v1, 31, v0
	v_lshlrev_b64 v[0:1], 3, v[0:1]
	v_mov_b32_e32 v2, s23
	v_add_co_u32_e32 v0, vcc, s22, v0
	v_addc_co_u32_e32 v1, vcc, v2, v1, vcc
	global_store_dwordx2 v[0:1], v[36:37], off
.LBB9_15:
	s_endpgm
	.section	.rodata,"a",@progbits
	.p2align	6, 0x0
	.amdhsa_kernel _ZL15flash_attn_tileILi256ELi256ELi1ELi8ELb0EEvPKcS1_S1_S1_S1_PKiPfP15HIP_vector_typeIfLj2EEffffjfiS5_IjLj3EEiiiiiiiiiiiliiliiiiil
		.amdhsa_group_segment_fixed_size 22528
		.amdhsa_private_segment_fixed_size 0
		.amdhsa_kernarg_size 464
		.amdhsa_user_sgpr_count 6
		.amdhsa_user_sgpr_private_segment_buffer 1
		.amdhsa_user_sgpr_dispatch_ptr 0
		.amdhsa_user_sgpr_queue_ptr 0
		.amdhsa_user_sgpr_kernarg_segment_ptr 1
		.amdhsa_user_sgpr_dispatch_id 0
		.amdhsa_user_sgpr_flat_scratch_init 0
		.amdhsa_user_sgpr_kernarg_preload_length 0
		.amdhsa_user_sgpr_kernarg_preload_offset 0
		.amdhsa_user_sgpr_private_segment_size 0
		.amdhsa_uses_dynamic_stack 0
		.amdhsa_system_sgpr_private_segment_wavefront_offset 0
		.amdhsa_system_sgpr_workgroup_id_x 1
		.amdhsa_system_sgpr_workgroup_id_y 1
		.amdhsa_system_sgpr_workgroup_id_z 1
		.amdhsa_system_sgpr_workgroup_info 0
		.amdhsa_system_vgpr_workitem_id 1
		.amdhsa_next_free_vgpr 221
		.amdhsa_next_free_sgpr 44
		.amdhsa_accum_offset 224
		.amdhsa_reserve_vcc 1
		.amdhsa_reserve_flat_scratch 0
		.amdhsa_float_round_mode_32 0
		.amdhsa_float_round_mode_16_64 0
		.amdhsa_float_denorm_mode_32 3
		.amdhsa_float_denorm_mode_16_64 3
		.amdhsa_dx10_clamp 1
		.amdhsa_ieee_mode 1
		.amdhsa_fp16_overflow 0
		.amdhsa_tg_split 0
		.amdhsa_exception_fp_ieee_invalid_op 0
		.amdhsa_exception_fp_denorm_src 0
		.amdhsa_exception_fp_ieee_div_zero 0
		.amdhsa_exception_fp_ieee_overflow 0
		.amdhsa_exception_fp_ieee_underflow 0
		.amdhsa_exception_fp_ieee_inexact 0
		.amdhsa_exception_int_div_zero 0
	.end_amdhsa_kernel
	.section	.text._ZL15flash_attn_tileILi256ELi256ELi1ELi8ELb0EEvPKcS1_S1_S1_S1_PKiPfP15HIP_vector_typeIfLj2EEffffjfiS5_IjLj3EEiiiiiiiiiiiliiliiiiil,"axG",@progbits,_ZL15flash_attn_tileILi256ELi256ELi1ELi8ELb0EEvPKcS1_S1_S1_S1_PKiPfP15HIP_vector_typeIfLj2EEffffjfiS5_IjLj3EEiiiiiiiiiiiliiliiiiil,comdat
.Lfunc_end9:
	.size	_ZL15flash_attn_tileILi256ELi256ELi1ELi8ELb0EEvPKcS1_S1_S1_S1_PKiPfP15HIP_vector_typeIfLj2EEffffjfiS5_IjLj3EEiiiiiiiiiiiliiliiiiil, .Lfunc_end9-_ZL15flash_attn_tileILi256ELi256ELi1ELi8ELb0EEvPKcS1_S1_S1_S1_PKiPfP15HIP_vector_typeIfLj2EEffffjfiS5_IjLj3EEiiiiiiiiiiiliiliiiiil
                                        ; -- End function
	.section	.AMDGPU.csdata,"",@progbits
; Kernel info:
; codeLenInByte = 9652
; NumSgprs: 48
; NumVgprs: 221
; NumAgprs: 0
; TotalNumVgprs: 221
; ScratchSize: 0
; MemoryBound: 0
; FloatMode: 240
; IeeeMode: 1
; LDSByteSize: 22528 bytes/workgroup (compile time only)
; SGPRBlocks: 5
; VGPRBlocks: 27
; NumSGPRsForWavesPerEU: 48
; NumVGPRsForWavesPerEU: 221
; AccumOffset: 224
; Occupancy: 2
; WaveLimiterHint : 1
; COMPUTE_PGM_RSRC2:SCRATCH_EN: 0
; COMPUTE_PGM_RSRC2:USER_SGPR: 6
; COMPUTE_PGM_RSRC2:TRAP_HANDLER: 0
; COMPUTE_PGM_RSRC2:TGID_X_EN: 1
; COMPUTE_PGM_RSRC2:TGID_Y_EN: 1
; COMPUTE_PGM_RSRC2:TGID_Z_EN: 1
; COMPUTE_PGM_RSRC2:TIDIG_COMP_CNT: 1
; COMPUTE_PGM_RSRC3_GFX90A:ACCUM_OFFSET: 55
; COMPUTE_PGM_RSRC3_GFX90A:TG_SPLIT: 0
	.section	.text._ZL25flash_attn_mask_to_KV_maxILi1EEvPK7__half2Piiii,"axG",@progbits,_ZL25flash_attn_mask_to_KV_maxILi1EEvPK7__half2Piiii,comdat
	.globl	_ZL25flash_attn_mask_to_KV_maxILi1EEvPK7__half2Piiii ; -- Begin function _ZL25flash_attn_mask_to_KV_maxILi1EEvPK7__half2Piiii
	.p2align	8
	.type	_ZL25flash_attn_mask_to_KV_maxILi1EEvPK7__half2Piiii,@function
_ZL25flash_attn_mask_to_KV_maxILi1EEvPK7__half2Piiii: ; @_ZL25flash_attn_mask_to_KV_maxILi1EEvPK7__half2Piiii
; %bb.0:
	s_load_dwordx4 s[8:11], s[4:5], 0x0
	v_cmp_gt_u32_e32 vcc, 32, v0
	s_and_saveexec_b64 s[0:1], vcc
	s_cbranch_execz .LBB10_2
; %bb.1:
	v_lshlrev_b32_e32 v1, 2, v0
	v_mov_b32_e32 v2, 1
	ds_write_b32 v1, v2
.LBB10_2:
	s_or_b64 exec, exec, s[0:1]
	s_load_dwordx4 s[0:3], s[4:5], 0x10
	s_load_dword s12, s[4:5], 0x20
	v_and_b32_e32 v2, 31, v0
	v_cmp_eq_u32_e32 vcc, 0, v2
	v_lshlrev_b32_e32 v4, 2, v2
	s_waitcnt lgkmcnt(0)
	s_mul_i32 s2, s7, s2
	s_mul_i32 s1, s6, s1
	s_add_i32 s2, s2, s1
	s_ashr_i32 s3, s2, 31
	v_mbcnt_lo_u32_b32 v2, -1, 0
	s_lshl_b64 s[2:3], s[2:3], 2
	v_mbcnt_hi_u32_b32 v5, -1, v2
	s_add_u32 s13, s8, s2
	v_and_b32_e32 v2, 0x60, v5
	s_addc_u32 s14, s9, s3
	s_lshl_b32 s15, s0, 8
	v_lshrrev_b32_e32 v1, 3, v0
	s_mov_b64 s[4:5], 0
	v_mov_b32_e32 v3, 0
	s_movk_i32 s16, 0x204
	s_movk_i32 s17, 0x7fff
	;; [unrolled: 1-line block ×3, first 2 shown]
	v_add_u32_e32 v6, 32, v2
	v_xor_b32_e32 v7, 16, v5
	v_xor_b32_e32 v8, 8, v5
	v_xor_b32_e32 v9, 4, v5
	v_xor_b32_e32 v10, 2, v5
	v_xor_b32_e32 v11, 1, v5
	s_barrier
	s_waitcnt lgkmcnt(0)
                                        ; implicit-def: $sgpr0_sgpr1
	s_branch .LBB10_5
.LBB10_3:                               ;   in Loop: Header=BB10_5 Depth=1
	s_or_b64 exec, exec, s[2:3]
	s_waitcnt lgkmcnt(0)
	s_barrier
	ds_read_b32 v16, v4
	s_waitcnt lgkmcnt(0)
	s_barrier
	ds_bpermute_b32 v2, v2, v16
	v_cmp_ne_u32_e64 s[0:1], 0, v16
	s_waitcnt lgkmcnt(0)
	v_cmp_ne_u32_e64 s[2:3], 0, v2
	s_and_b64 s[2:3], s[0:1], s[2:3]
	v_cndmask_b32_e64 v2, 0, 1, s[2:3]
	ds_bpermute_b32 v2, v12, v2
	s_waitcnt lgkmcnt(0)
	v_cmp_ne_u32_e64 s[0:1], 0, v2
	s_and_b64 s[2:3], s[0:1], s[2:3]
	v_cndmask_b32_e64 v2, 0, 1, s[2:3]
	ds_bpermute_b32 v2, v13, v2
	;; [unrolled: 5-line block ×4, first 2 shown]
	s_xor_b64 s[2:3], s[0:1], -1
	s_waitcnt lgkmcnt(0)
	v_cmp_eq_u32_e64 s[0:1], 0, v2
	s_or_b64 s[0:1], s[0:1], s[2:3]
.LBB10_4:                               ;   in Loop: Header=BB10_5 Depth=1
	s_and_b64 s[2:3], exec, s[0:1]
	s_or_b64 s[4:5], s[2:3], s[4:5]
	v_mov_b32_e32 v2, s15
	s_mov_b32 s15, s19
	s_andn2_b64 exec, exec, s[4:5]
	s_cbranch_execz .LBB10_8
.LBB10_5:                               ; =>This Inner Loop Header: Depth=1
	s_add_i32 s19, s15, 0xffffff00
	s_or_b64 s[0:1], s[0:1], exec
	s_cmp_lt_i32 s19, 0
	s_cbranch_scc1 .LBB10_4
; %bb.6:                                ;   in Loop: Header=BB10_5 Depth=1
	s_lshr_b32 s0, s19, 1
	v_add_u32_e32 v2, s0, v0
	v_lshlrev_b64 v[12:13], 2, v[2:3]
	v_mov_b32_e32 v2, s14
	v_add_co_u32_e64 v12, s[0:1], s13, v12
	v_addc_co_u32_e64 v13, s[0:1], v2, v13, s[0:1]
	global_load_dword v12, v[12:13], off
	v_cmp_lt_i32_e64 s[0:1], v7, v6
	v_cndmask_b32_e64 v2, v5, v7, s[0:1]
	v_lshlrev_b32_e32 v2, 2, v2
	s_waitcnt vmcnt(0)
	v_cmp_class_f16_e64 s[2:3], v12, s16
	v_and_b32_sdwa v12, s17, v12 dst_sel:DWORD dst_unused:UNUSED_PAD src0_sel:DWORD src1_sel:WORD_1
	v_cmp_eq_f16_e64 s[0:1], s18, v12
	s_and_b64 s[2:3], s[2:3], s[0:1]
	v_cndmask_b32_e64 v12, 0, 1, s[2:3]
	ds_bpermute_b32 v13, v2, v12
	v_cmp_lt_i32_e64 s[0:1], v8, v6
	v_cndmask_b32_e64 v12, v5, v8, s[0:1]
	v_lshlrev_b32_e32 v12, 2, v12
	s_waitcnt lgkmcnt(0)
	v_cmp_ne_u32_e64 s[0:1], 0, v13
	s_and_b64 s[2:3], s[2:3], s[0:1]
	v_cndmask_b32_e64 v13, 0, 1, s[2:3]
	ds_bpermute_b32 v14, v12, v13
	v_cmp_lt_i32_e64 s[0:1], v9, v6
	v_cndmask_b32_e64 v13, v5, v9, s[0:1]
	v_lshlrev_b32_e32 v13, 2, v13
	s_waitcnt lgkmcnt(0)
	v_cmp_ne_u32_e64 s[0:1], 0, v14
	s_and_b64 s[2:3], s[0:1], s[2:3]
	v_cndmask_b32_e64 v14, 0, 1, s[2:3]
	ds_bpermute_b32 v15, v13, v14
	v_cmp_lt_i32_e64 s[0:1], v10, v6
	v_cndmask_b32_e64 v14, v5, v10, s[0:1]
	v_lshlrev_b32_e32 v14, 2, v14
	s_waitcnt lgkmcnt(0)
	v_cmp_ne_u32_e64 s[0:1], 0, v15
	s_and_b64 s[2:3], s[0:1], s[2:3]
	v_cndmask_b32_e64 v15, 0, 1, s[2:3]
	ds_bpermute_b32 v15, v14, v15
	v_cmp_lt_i32_e64 s[0:1], v11, v6
	v_cndmask_b32_e64 v16, v5, v11, s[0:1]
	s_waitcnt lgkmcnt(0)
	v_cmp_ne_u32_e64 s[0:1], 0, v15
	s_and_b64 s[8:9], s[0:1], s[2:3]
	v_cndmask_b32_e64 v17, 0, 1, s[8:9]
	v_lshlrev_b32_e32 v15, 2, v16
	ds_bpermute_b32 v16, v15, v17
	s_and_saveexec_b64 s[2:3], vcc
	s_cbranch_execz .LBB10_3
; %bb.7:                                ;   in Loop: Header=BB10_5 Depth=1
	s_waitcnt lgkmcnt(0)
	v_cmp_ne_u32_e64 s[0:1], 0, v16
	s_and_b64 s[0:1], s[0:1], s[8:9]
	v_cndmask_b32_e64 v16, 0, 1, s[0:1]
	ds_write_b32 v1, v16
	s_branch .LBB10_3
.LBB10_8:
	s_or_b64 exec, exec, s[4:5]
	v_cmp_eq_u32_e32 vcc, 0, v0
	s_and_saveexec_b64 s[0:1], vcc
	s_cbranch_execz .LBB10_10
; %bb.9:
	s_mul_i32 s0, s12, s7
	s_add_i32 s0, s0, s6
	s_ashr_i32 s1, s0, 31
	s_lshl_b64 s[0:1], s[0:1], 2
	s_add_u32 s0, s10, s0
	s_addc_u32 s1, s11, s1
	v_mov_b32_e32 v0, 0
	global_store_dword v0, v2, s[0:1]
.LBB10_10:
	s_endpgm
	.section	.rodata,"a",@progbits
	.p2align	6, 0x0
	.amdhsa_kernel _ZL25flash_attn_mask_to_KV_maxILi1EEvPK7__half2Piiii
		.amdhsa_group_segment_fixed_size 128
		.amdhsa_private_segment_fixed_size 0
		.amdhsa_kernarg_size 288
		.amdhsa_user_sgpr_count 6
		.amdhsa_user_sgpr_private_segment_buffer 1
		.amdhsa_user_sgpr_dispatch_ptr 0
		.amdhsa_user_sgpr_queue_ptr 0
		.amdhsa_user_sgpr_kernarg_segment_ptr 1
		.amdhsa_user_sgpr_dispatch_id 0
		.amdhsa_user_sgpr_flat_scratch_init 0
		.amdhsa_user_sgpr_kernarg_preload_length 0
		.amdhsa_user_sgpr_kernarg_preload_offset 0
		.amdhsa_user_sgpr_private_segment_size 0
		.amdhsa_uses_dynamic_stack 0
		.amdhsa_system_sgpr_private_segment_wavefront_offset 0
		.amdhsa_system_sgpr_workgroup_id_x 1
		.amdhsa_system_sgpr_workgroup_id_y 1
		.amdhsa_system_sgpr_workgroup_id_z 0
		.amdhsa_system_sgpr_workgroup_info 0
		.amdhsa_system_vgpr_workitem_id 0
		.amdhsa_next_free_vgpr 18
		.amdhsa_next_free_sgpr 20
		.amdhsa_accum_offset 20
		.amdhsa_reserve_vcc 1
		.amdhsa_reserve_flat_scratch 0
		.amdhsa_float_round_mode_32 0
		.amdhsa_float_round_mode_16_64 0
		.amdhsa_float_denorm_mode_32 3
		.amdhsa_float_denorm_mode_16_64 3
		.amdhsa_dx10_clamp 1
		.amdhsa_ieee_mode 1
		.amdhsa_fp16_overflow 0
		.amdhsa_tg_split 0
		.amdhsa_exception_fp_ieee_invalid_op 0
		.amdhsa_exception_fp_denorm_src 0
		.amdhsa_exception_fp_ieee_div_zero 0
		.amdhsa_exception_fp_ieee_overflow 0
		.amdhsa_exception_fp_ieee_underflow 0
		.amdhsa_exception_fp_ieee_inexact 0
		.amdhsa_exception_int_div_zero 0
	.end_amdhsa_kernel
	.section	.text._ZL25flash_attn_mask_to_KV_maxILi1EEvPK7__half2Piiii,"axG",@progbits,_ZL25flash_attn_mask_to_KV_maxILi1EEvPK7__half2Piiii,comdat
.Lfunc_end10:
	.size	_ZL25flash_attn_mask_to_KV_maxILi1EEvPK7__half2Piiii, .Lfunc_end10-_ZL25flash_attn_mask_to_KV_maxILi1EEvPK7__half2Piiii
                                        ; -- End function
	.section	.AMDGPU.csdata,"",@progbits
; Kernel info:
; codeLenInByte = 844
; NumSgprs: 24
; NumVgprs: 18
; NumAgprs: 0
; TotalNumVgprs: 18
; ScratchSize: 0
; MemoryBound: 0
; FloatMode: 240
; IeeeMode: 1
; LDSByteSize: 128 bytes/workgroup (compile time only)
; SGPRBlocks: 2
; VGPRBlocks: 2
; NumSGPRsForWavesPerEU: 24
; NumVGPRsForWavesPerEU: 18
; AccumOffset: 20
; Occupancy: 8
; WaveLimiterHint : 0
; COMPUTE_PGM_RSRC2:SCRATCH_EN: 0
; COMPUTE_PGM_RSRC2:USER_SGPR: 6
; COMPUTE_PGM_RSRC2:TRAP_HANDLER: 0
; COMPUTE_PGM_RSRC2:TGID_X_EN: 1
; COMPUTE_PGM_RSRC2:TGID_Y_EN: 1
; COMPUTE_PGM_RSRC2:TGID_Z_EN: 0
; COMPUTE_PGM_RSRC2:TIDIG_COMP_CNT: 0
; COMPUTE_PGM_RSRC3_GFX90A:ACCUM_OFFSET: 4
; COMPUTE_PGM_RSRC3_GFX90A:TG_SPLIT: 0
	.section	.text._ZL33flash_attn_stream_k_fixup_uniformILi256ELi1ELi8EEvPfPK15HIP_vector_typeIfLj2EEiiiiiiS1_IjLj3EES5_S5_,"axG",@progbits,_ZL33flash_attn_stream_k_fixup_uniformILi256ELi1ELi8EEvPfPK15HIP_vector_typeIfLj2EEiiiiiiS1_IjLj3EES5_S5_,comdat
	.globl	_ZL33flash_attn_stream_k_fixup_uniformILi256ELi1ELi8EEvPfPK15HIP_vector_typeIfLj2EEiiiiiiS1_IjLj3EES5_S5_ ; -- Begin function _ZL33flash_attn_stream_k_fixup_uniformILi256ELi1ELi8EEvPfPK15HIP_vector_typeIfLj2EEiiiiiiS1_IjLj3EES5_S5_
	.p2align	8
	.type	_ZL33flash_attn_stream_k_fixup_uniformILi256ELi1ELi8EEvPfPK15HIP_vector_typeIfLj2EEiiiiiiS1_IjLj3EES5_S5_,@function
_ZL33flash_attn_stream_k_fixup_uniformILi256ELi1ELi8EEvPfPK15HIP_vector_typeIfLj2EEiiiiiiS1_IjLj3EES5_S5_: ; @_ZL33flash_attn_stream_k_fixup_uniformILi256ELi1ELi8EEvPfPK15HIP_vector_typeIfLj2EEiiiiiiS1_IjLj3EES5_S5_
; %bb.0:
	s_load_dwordx8 s[12:19], s[4:5], 0x1c
	s_load_dwordx2 s[10:11], s[4:5], 0x10
	s_load_dwordx4 s[0:3], s[4:5], 0x3c
	s_waitcnt lgkmcnt(0)
	s_mul_hi_u32 s9, s15, s6
	s_add_i32 s9, s6, s9
	s_lshr_b32 s9, s9, s16
	s_mul_i32 s15, s9, s17
	s_sub_i32 s16, s6, s15
	s_mul_hi_u32 s15, s16, s18
	s_add_i32 s15, s16, s15
	s_lshr_b32 s15, s15, s19
	s_mul_i32 s0, s15, s0
	s_sub_i32 s0, s16, s0
	;; [unrolled: 5-line block ×3, first 2 shown]
	s_lshl_b32 s17, s1, 3
	s_add_i32 s16, s16, s7
	s_cmp_lt_i32 s16, s10
	s_cselect_b64 s[0:1], -1, 0
	s_add_i32 s17, s17, s8
	s_cmp_lt_i32 s17, s13
	s_cselect_b64 s[2:3], -1, 0
	s_and_b64 s[0:1], s[0:1], s[2:3]
	s_andn2_b64 vcc, exec, s[0:1]
	s_cbranch_vccnz .LBB11_6
; %bb.1:
	s_mul_i32 s9, s9, s10
	s_load_dwordx4 s[0:3], s[4:5], 0x0
	s_mul_i32 s15, s15, s13
	s_add_i32 s4, s16, s9
	s_mul_i32 s4, s4, s11
	s_add_i32 s5, s17, s15
	s_add_i32 s5, s5, s4
	v_lshl_or_b32 v2, s5, 8, v0
	v_ashrrev_i32_e32 v3, 31, v2
	v_lshlrev_b64 v[2:3], 2, v[2:3]
	s_waitcnt lgkmcnt(0)
	v_mov_b32_e32 v1, s1
	v_add_co_u32_e32 v2, vcc, s0, v2
	v_addc_co_u32_e32 v3, vcc, v1, v3, vcc
	global_load_dword v8, v[2:3], off
	s_mul_i32 s9, s6, s14
	s_add_i32 s4, s9, s14
	s_add_i32 s0, s7, s4
	s_lshl_b32 s0, s0, 3
	s_add_i32 s0, s0, s8
	s_add_i32 s0, s0, -8
	s_ashr_i32 s1, s0, 31
	s_lshl_b64 s[0:1], s[0:1], 3
	s_add_u32 s0, s2, s0
	s_addc_u32 s1, s3, s1
	s_load_dword s5, s[0:1], 0x4
	s_add_i32 s10, s4, -2
	s_cmp_lt_i32 s10, s9
	s_cbranch_scc1 .LBB11_4
; %bb.2:
	s_lshl_b32 s10, s12, 5
	s_ashr_i32 s11, s10, 31
	s_lshl_b64 s[10:11], s[10:11], 2
	s_add_u32 s10, s2, s10
	s_addc_u32 s13, s3, s11
	s_load_dword s0, s[0:1], 0x0
	s_add_i32 s6, s6, 1
	s_lshl_b32 s1, s8, 8
	s_add_i32 s12, s7, s12
	s_mul_i32 s6, s14, s6
	s_lshl_b32 s7, s7, 11
	s_add_i32 s12, s12, s4
	s_lshl_b32 s6, s6, 11
	s_add_i32 s1, s1, s7
	s_add_i32 s11, s4, -1
	s_lshl_b32 s4, s12, 3
	s_add_i32 s1, s1, s6
	s_add_i32 s4, s8, s4
	v_or_b32_e32 v0, s1, v0
	s_add_i32 s4, s4, -16
	v_add_u32_e32 v0, 0xfffff000, v0
	s_waitcnt lgkmcnt(0)
	v_mov_b32_e32 v7, s5
	v_mov_b32_e32 v6, s0
	;; [unrolled: 1-line block ×3, first 2 shown]
	s_mov_b32 s6, 0x3fb8aa3b
	s_mov_b32 s7, 0xc2ce8ed0
	;; [unrolled: 1-line block ×3, first 2 shown]
	v_mov_b32_e32 v5, 0x7f800000
	s_mov_b32 s12, 0xc1a00000
.LBB11_3:                               ; =>This Inner Loop Header: Depth=1
	v_ashrrev_i32_e32 v1, 31, v0
	v_lshlrev_b64 v[10:11], 2, v[0:1]
	v_add_co_u32_e32 v10, vcc, s10, v10
	v_addc_co_u32_e32 v11, vcc, v4, v11, vcc
	global_load_dword v1, v[10:11], off
	s_ashr_i32 s5, s4, 31
	s_lshl_b64 s[0:1], s[4:5], 3
	s_add_u32 s0, s2, s0
	s_addc_u32 s1, s3, s1
	s_load_dwordx2 s[14:15], s[0:1], 0x0
	s_waitcnt vmcnt(1)
	v_mov_b32_e32 v9, v8
	v_max_f32_e32 v8, v6, v6
	v_mov_b32_e32 v10, v7
	s_add_i32 s11, s11, -1
	s_waitcnt lgkmcnt(0)
	v_max_f32_e64 v7, s14, s14
	v_max_f32_e32 v7, v8, v7
	v_sub_f32_e32 v11, s14, v7
	v_sub_f32_e32 v8, v6, v7
	v_mul_f32_e32 v12, 0x3fb8aa3b, v11
	v_mov_b32_e32 v6, v7
	v_mul_f32_e32 v7, 0x3fb8aa3b, v8
	v_fma_f32 v15, v11, s6, -v12
	v_rndne_f32_e32 v16, v12
	v_fma_f32 v13, v8, s6, -v7
	v_rndne_f32_e32 v14, v7
	v_fmac_f32_e32 v15, 0x32a5705f, v11
	v_sub_f32_e32 v12, v12, v16
	v_fmac_f32_e32 v13, 0x32a5705f, v8
	v_sub_f32_e32 v7, v7, v14
	v_add_f32_e32 v12, v12, v15
	v_cvt_i32_f32_e32 v16, v16
	v_add_f32_e32 v7, v7, v13
	v_exp_f32_e32 v12, v12
	v_cvt_i32_f32_e32 v14, v14
	v_exp_f32_e32 v7, v7
	v_cmp_ngt_f32_e32 vcc, s7, v11
	v_ldexp_f32 v12, v12, v16
	v_cmp_ngt_f32_e64 s[0:1], s7, v8
	v_ldexp_f32 v7, v7, v14
	v_cndmask_b32_e32 v12, 0, v12, vcc
	v_cmp_nlt_f32_e32 vcc, s8, v11
	v_cndmask_b32_e64 v7, 0, v7, s[0:1]
	v_cmp_nlt_f32_e64 s[0:1], s8, v8
	v_cndmask_b32_e32 v12, v5, v12, vcc
	v_cmp_le_f32_e32 vcc, s12, v11
	v_cndmask_b32_e64 v7, v5, v7, s[0:1]
	v_cmp_le_f32_e64 s[0:1], s12, v8
	v_cndmask_b32_e32 v8, 0, v12, vcc
	s_add_i32 s4, s4, -8
	v_cndmask_b32_e64 v11, 0, v7, s[0:1]
	v_mul_f32_e32 v7, s15, v8
	v_add_u32_e32 v0, 0xfffff800, v0
	s_cmp_le_i32 s11, s9
	v_fmac_f32_e32 v7, v10, v11
	s_waitcnt vmcnt(0)
	v_mul_f32_e32 v8, v1, v8
	v_fmac_f32_e32 v8, v9, v11
	s_cbranch_scc0 .LBB11_3
	s_branch .LBB11_5
.LBB11_4:
	s_waitcnt lgkmcnt(0)
	v_mov_b32_e32 v7, s5
.LBB11_5:
	s_waitcnt vmcnt(0)
	v_div_scale_f32 v0, s[0:1], v7, v7, v8
	v_rcp_f32_e32 v1, v0
	v_div_scale_f32 v4, vcc, v8, v7, v8
	v_fma_f32 v5, -v0, v1, 1.0
	v_fmac_f32_e32 v1, v5, v1
	v_mul_f32_e32 v5, v4, v1
	v_fma_f32 v6, -v0, v5, v4
	v_fmac_f32_e32 v5, v6, v1
	v_fma_f32 v0, -v0, v5, v4
	v_div_fmas_f32 v0, v0, v1, v5
	v_div_fixup_f32 v0, v0, v7, v8
	global_store_dword v[2:3], v0, off
.LBB11_6:
	s_endpgm
	.section	.rodata,"a",@progbits
	.p2align	6, 0x0
	.amdhsa_kernel _ZL33flash_attn_stream_k_fixup_uniformILi256ELi1ELi8EEvPfPK15HIP_vector_typeIfLj2EEiiiiiiS1_IjLj3EES5_S5_
		.amdhsa_group_segment_fixed_size 0
		.amdhsa_private_segment_fixed_size 0
		.amdhsa_kernarg_size 76
		.amdhsa_user_sgpr_count 6
		.amdhsa_user_sgpr_private_segment_buffer 1
		.amdhsa_user_sgpr_dispatch_ptr 0
		.amdhsa_user_sgpr_queue_ptr 0
		.amdhsa_user_sgpr_kernarg_segment_ptr 1
		.amdhsa_user_sgpr_dispatch_id 0
		.amdhsa_user_sgpr_flat_scratch_init 0
		.amdhsa_user_sgpr_kernarg_preload_length 0
		.amdhsa_user_sgpr_kernarg_preload_offset 0
		.amdhsa_user_sgpr_private_segment_size 0
		.amdhsa_uses_dynamic_stack 0
		.amdhsa_system_sgpr_private_segment_wavefront_offset 0
		.amdhsa_system_sgpr_workgroup_id_x 1
		.amdhsa_system_sgpr_workgroup_id_y 1
		.amdhsa_system_sgpr_workgroup_id_z 1
		.amdhsa_system_sgpr_workgroup_info 0
		.amdhsa_system_vgpr_workitem_id 0
		.amdhsa_next_free_vgpr 17
		.amdhsa_next_free_sgpr 20
		.amdhsa_accum_offset 20
		.amdhsa_reserve_vcc 1
		.amdhsa_reserve_flat_scratch 0
		.amdhsa_float_round_mode_32 0
		.amdhsa_float_round_mode_16_64 0
		.amdhsa_float_denorm_mode_32 3
		.amdhsa_float_denorm_mode_16_64 3
		.amdhsa_dx10_clamp 1
		.amdhsa_ieee_mode 1
		.amdhsa_fp16_overflow 0
		.amdhsa_tg_split 0
		.amdhsa_exception_fp_ieee_invalid_op 0
		.amdhsa_exception_fp_denorm_src 0
		.amdhsa_exception_fp_ieee_div_zero 0
		.amdhsa_exception_fp_ieee_overflow 0
		.amdhsa_exception_fp_ieee_underflow 0
		.amdhsa_exception_fp_ieee_inexact 0
		.amdhsa_exception_int_div_zero 0
	.end_amdhsa_kernel
	.section	.text._ZL33flash_attn_stream_k_fixup_uniformILi256ELi1ELi8EEvPfPK15HIP_vector_typeIfLj2EEiiiiiiS1_IjLj3EES5_S5_,"axG",@progbits,_ZL33flash_attn_stream_k_fixup_uniformILi256ELi1ELi8EEvPfPK15HIP_vector_typeIfLj2EEiiiiiiS1_IjLj3EES5_S5_,comdat
.Lfunc_end11:
	.size	_ZL33flash_attn_stream_k_fixup_uniformILi256ELi1ELi8EEvPfPK15HIP_vector_typeIfLj2EEiiiiiiS1_IjLj3EES5_S5_, .Lfunc_end11-_ZL33flash_attn_stream_k_fixup_uniformILi256ELi1ELi8EEvPfPK15HIP_vector_typeIfLj2EEiiiiiiS1_IjLj3EES5_S5_
                                        ; -- End function
	.section	.AMDGPU.csdata,"",@progbits
; Kernel info:
; codeLenInByte = 828
; NumSgprs: 24
; NumVgprs: 17
; NumAgprs: 0
; TotalNumVgprs: 17
; ScratchSize: 0
; MemoryBound: 0
; FloatMode: 240
; IeeeMode: 1
; LDSByteSize: 0 bytes/workgroup (compile time only)
; SGPRBlocks: 2
; VGPRBlocks: 2
; NumSGPRsForWavesPerEU: 24
; NumVGPRsForWavesPerEU: 17
; AccumOffset: 20
; Occupancy: 8
; WaveLimiterHint : 0
; COMPUTE_PGM_RSRC2:SCRATCH_EN: 0
; COMPUTE_PGM_RSRC2:USER_SGPR: 6
; COMPUTE_PGM_RSRC2:TRAP_HANDLER: 0
; COMPUTE_PGM_RSRC2:TGID_X_EN: 1
; COMPUTE_PGM_RSRC2:TGID_Y_EN: 1
; COMPUTE_PGM_RSRC2:TGID_Z_EN: 1
; COMPUTE_PGM_RSRC2:TIDIG_COMP_CNT: 0
; COMPUTE_PGM_RSRC3_GFX90A:ACCUM_OFFSET: 4
; COMPUTE_PGM_RSRC3_GFX90A:TG_SPLIT: 0
	.section	.text._ZL33flash_attn_stream_k_fixup_generalILi256ELi1ELi8EEvPfPK15HIP_vector_typeIfLj2EEiiiiS1_IjLj3EES5_S5_S5_,"axG",@progbits,_ZL33flash_attn_stream_k_fixup_generalILi256ELi1ELi8EEvPfPK15HIP_vector_typeIfLj2EEiiiiS1_IjLj3EES5_S5_S5_,comdat
	.globl	_ZL33flash_attn_stream_k_fixup_generalILi256ELi1ELi8EEvPfPK15HIP_vector_typeIfLj2EEiiiiS1_IjLj3EES5_S5_S5_ ; -- Begin function _ZL33flash_attn_stream_k_fixup_generalILi256ELi1ELi8EEvPfPK15HIP_vector_typeIfLj2EEiiiiS1_IjLj3EES5_S5_S5_
	.p2align	8
	.type	_ZL33flash_attn_stream_k_fixup_generalILi256ELi1ELi8EEvPfPK15HIP_vector_typeIfLj2EEiiiiS1_IjLj3EES5_S5_S5_,@function
_ZL33flash_attn_stream_k_fixup_generalILi256ELi1ELi8EEvPfPK15HIP_vector_typeIfLj2EEiiiiS1_IjLj3EES5_S5_S5_: ; @_ZL33flash_attn_stream_k_fixup_generalILi256ELi1ELi8EEvPfPK15HIP_vector_typeIfLj2EEiiiiS1_IjLj3EES5_S5_S5_
; %bb.0:
	s_load_dwordx4 s[12:15], s[4:5], 0x10
	s_load_dword s9, s[4:5], 0x50
	s_mov_b32 s2, 0
	s_waitcnt lgkmcnt(0)
	s_mul_hi_i32 s3, s15, s6
	s_cmp_lg_u64 s[2:3], 0
	s_mul_i32 s2, s15, s6
	s_cbranch_scc0 .LBB12_21
; %bb.1:
	v_cvt_f32_u32_e32 v1, s9
	v_cvt_f32_ubyte0_e32 v2, 0
	s_sub_u32 s10, 0, s9
	s_subb_u32 s11, 0, 0
	v_madmk_f32 v1, v2, 0x4f800000, v1
	v_rcp_f32_e32 v1, v1
	v_mul_f32_e32 v1, 0x5f7ffffc, v1
	v_mul_f32_e32 v2, 0x2f800000, v1
	v_trunc_f32_e32 v2, v2
	v_madmk_f32 v1, v2, 0xcf800000, v1
	v_cvt_u32_f32_e32 v2, v2
	v_cvt_u32_f32_e32 v1, v1
	v_readfirstlane_b32 s16, v2
	v_readfirstlane_b32 s17, v1
	s_mul_i32 s18, s10, s16
	s_mul_hi_u32 s20, s10, s17
	s_mul_i32 s19, s11, s17
	s_add_i32 s18, s20, s18
	s_add_i32 s18, s18, s19
	s_mul_i32 s21, s10, s17
	s_mul_hi_u32 s19, s17, s18
	s_mul_i32 s20, s17, s18
	s_mul_hi_u32 s17, s17, s21
	s_add_u32 s17, s17, s20
	s_addc_u32 s19, 0, s19
	s_mul_hi_u32 s22, s16, s21
	s_mul_i32 s21, s16, s21
	s_add_u32 s17, s17, s21
	s_mul_hi_u32 s20, s16, s18
	s_addc_u32 s17, s19, s22
	s_addc_u32 s19, s20, 0
	s_mul_i32 s18, s16, s18
	s_add_u32 s17, s17, s18
	s_addc_u32 s18, 0, s19
	v_add_co_u32_e32 v1, vcc, s17, v1
	s_cmp_lg_u64 vcc, 0
	s_addc_u32 s16, s16, s18
	v_readfirstlane_b32 s18, v1
	s_mul_i32 s17, s10, s16
	s_mul_hi_u32 s19, s10, s18
	s_add_i32 s17, s19, s17
	s_mul_i32 s11, s11, s18
	s_add_i32 s17, s17, s11
	s_mul_i32 s10, s10, s18
	s_mul_hi_u32 s19, s16, s10
	s_mul_i32 s20, s16, s10
	s_mul_i32 s22, s18, s17
	s_mul_hi_u32 s10, s18, s10
	s_mul_hi_u32 s21, s18, s17
	s_add_u32 s10, s10, s22
	s_addc_u32 s18, 0, s21
	s_add_u32 s10, s10, s20
	s_mul_hi_u32 s11, s16, s17
	s_addc_u32 s10, s18, s19
	s_addc_u32 s11, s11, 0
	s_mul_i32 s17, s16, s17
	s_add_u32 s10, s10, s17
	s_addc_u32 s11, 0, s11
	v_add_co_u32_e32 v1, vcc, s10, v1
	s_cmp_lg_u64 vcc, 0
	s_addc_u32 s18, s16, s11
	s_ashr_i32 s10, s3, 31
	s_add_u32 s16, s2, s10
	s_mov_b32 s11, s10
	s_addc_u32 s17, s3, s10
	s_xor_b64 s[16:17], s[16:17], s[10:11]
	v_readfirstlane_b32 s20, v1
	s_mul_i32 s19, s16, s18
	s_mul_hi_u32 s21, s16, s20
	s_mul_hi_u32 s3, s16, s18
	s_add_u32 s19, s21, s19
	s_addc_u32 s3, 0, s3
	s_mul_hi_u32 s22, s17, s20
	s_mul_i32 s20, s17, s20
	s_add_u32 s19, s19, s20
	s_mul_hi_u32 s21, s17, s18
	s_addc_u32 s3, s3, s22
	s_addc_u32 s19, s21, 0
	s_mul_i32 s18, s17, s18
	s_add_u32 s3, s3, s18
	s_addc_u32 s18, 0, s19
	s_add_u32 s19, s3, 1
	s_addc_u32 s20, s18, 0
	s_add_u32 s21, s3, 2
	s_mul_i32 s23, s9, s18
	s_mul_hi_u32 s24, s9, s3
	s_addc_u32 s22, s18, 0
	s_add_i32 s24, s24, s23
	s_mul_i32 s23, s9, s3
	v_mov_b32_e32 v1, s23
	v_sub_co_u32_e32 v1, vcc, s16, v1
	s_cmp_lg_u64 vcc, 0
	s_subb_u32 s16, s17, s24
	v_subrev_co_u32_e32 v2, vcc, s9, v1
	s_cmp_lg_u64 vcc, 0
	s_subb_u32 s17, s16, 0
	v_readfirstlane_b32 s23, v2
	s_cmp_ge_u32 s23, s9
	s_cselect_b32 s23, -1, 0
	s_cmp_eq_u32 s17, 0
	s_cselect_b32 s17, s23, -1
	s_cmp_lg_u32 s17, 0
	s_cselect_b32 s17, s22, s20
	v_readfirstlane_b32 s20, v1
	s_cselect_b32 s19, s21, s19
	s_cmp_ge_u32 s20, s9
	s_cselect_b32 s20, -1, 0
	s_cmp_eq_u32 s16, 0
	s_cselect_b32 s16, s20, -1
	s_cmp_lg_u32 s16, 0
	s_cselect_b32 s17, s17, s18
	s_cselect_b32 s16, s19, s3
	s_xor_b64 s[16:17], s[16:17], s[10:11]
	s_sub_u32 s20, s16, s10
	s_load_dwordx4 s[16:19], s[4:5], 0x44
	s_cbranch_execnz .LBB12_3
.LBB12_2:
	v_cvt_f32_u32_e32 v1, s9
	s_sub_i32 s0, 0, s9
	v_rcp_iflag_f32_e32 v1, v1
	v_mul_f32_e32 v1, 0x4f7ffffe, v1
	v_cvt_u32_f32_e32 v1, v1
	v_readfirstlane_b32 s1, v1
	s_mul_i32 s0, s0, s1
	s_mul_hi_u32 s0, s1, s0
	s_add_i32 s1, s1, s0
	s_mul_hi_u32 s0, s2, s1
	s_mul_i32 s3, s0, s9
	s_sub_i32 s2, s2, s3
	s_add_i32 s1, s0, 1
	s_sub_i32 s3, s2, s9
	s_cmp_ge_u32 s2, s9
	s_cselect_b32 s0, s1, s0
	s_cselect_b32 s2, s3, s2
	s_add_i32 s1, s0, 1
	s_cmp_ge_u32 s2, s9
	s_cselect_b32 s20, s1, s0
.LBB12_3:
	s_add_i32 s0, s6, 1
	s_mul_hi_i32 s3, s15, s0
	s_mov_b32 s2, 0
	s_cmp_lg_u64 s[2:3], 0
	s_mul_i32 s2, s15, s0
	s_cbranch_scc0 .LBB12_22
; %bb.4:
	v_cvt_f32_u32_e32 v1, s9
	v_cvt_f32_ubyte0_e32 v2, 0
	s_sub_u32 s10, 0, s9
	s_subb_u32 s11, 0, 0
	v_madmk_f32 v1, v2, 0x4f800000, v1
	v_rcp_f32_e32 v1, v1
	v_mul_f32_e32 v1, 0x5f7ffffc, v1
	v_mul_f32_e32 v2, 0x2f800000, v1
	v_trunc_f32_e32 v2, v2
	v_madmk_f32 v1, v2, 0xcf800000, v1
	v_cvt_u32_f32_e32 v2, v2
	v_cvt_u32_f32_e32 v1, v1
	s_waitcnt lgkmcnt(0)
	v_readfirstlane_b32 s19, v2
	v_readfirstlane_b32 s21, v1
	s_mul_i32 s22, s10, s19
	s_mul_hi_u32 s24, s10, s21
	s_mul_i32 s23, s11, s21
	s_add_i32 s22, s24, s22
	s_add_i32 s22, s22, s23
	s_mul_i32 s25, s10, s21
	s_mul_hi_u32 s23, s21, s22
	s_mul_i32 s24, s21, s22
	s_mul_hi_u32 s21, s21, s25
	s_add_u32 s21, s21, s24
	s_addc_u32 s23, 0, s23
	s_mul_hi_u32 s26, s19, s25
	s_mul_i32 s25, s19, s25
	s_add_u32 s21, s21, s25
	s_mul_hi_u32 s24, s19, s22
	s_addc_u32 s21, s23, s26
	s_addc_u32 s23, s24, 0
	s_mul_i32 s22, s19, s22
	s_add_u32 s21, s21, s22
	s_addc_u32 s22, 0, s23
	v_add_co_u32_e32 v1, vcc, s21, v1
	s_cmp_lg_u64 vcc, 0
	s_addc_u32 s19, s19, s22
	v_readfirstlane_b32 s22, v1
	s_mul_i32 s21, s10, s19
	s_mul_hi_u32 s23, s10, s22
	s_add_i32 s21, s23, s21
	s_mul_i32 s11, s11, s22
	s_add_i32 s21, s21, s11
	s_mul_i32 s10, s10, s22
	s_mul_hi_u32 s23, s19, s10
	s_mul_i32 s24, s19, s10
	s_mul_i32 s26, s22, s21
	s_mul_hi_u32 s10, s22, s10
	s_mul_hi_u32 s25, s22, s21
	s_add_u32 s10, s10, s26
	s_addc_u32 s22, 0, s25
	s_add_u32 s10, s10, s24
	s_mul_hi_u32 s11, s19, s21
	s_addc_u32 s10, s22, s23
	s_addc_u32 s11, s11, 0
	s_mul_i32 s21, s19, s21
	s_add_u32 s10, s10, s21
	s_addc_u32 s11, 0, s11
	v_add_co_u32_e32 v1, vcc, s10, v1
	s_cmp_lg_u64 vcc, 0
	s_addc_u32 s19, s19, s11
	s_ashr_i32 s10, s3, 31
	s_add_u32 s22, s2, s10
	s_mov_b32 s11, s10
	s_addc_u32 s23, s3, s10
	s_xor_b64 s[22:23], s[22:23], s[10:11]
	v_readfirstlane_b32 s21, v1
	s_mul_i32 s11, s22, s19
	s_mul_hi_u32 s24, s22, s21
	s_mul_hi_u32 s3, s22, s19
	s_add_u32 s11, s24, s11
	s_addc_u32 s3, 0, s3
	s_mul_hi_u32 s25, s23, s21
	s_mul_i32 s21, s23, s21
	s_add_u32 s11, s11, s21
	s_mul_hi_u32 s24, s23, s19
	s_addc_u32 s3, s3, s25
	s_addc_u32 s11, s24, 0
	s_mul_i32 s19, s23, s19
	s_add_u32 s3, s3, s19
	s_addc_u32 s11, 0, s11
	s_mul_i32 s11, s9, s11
	s_mul_hi_u32 s24, s9, s3
	s_add_i32 s24, s24, s11
	s_mul_i32 s11, s9, s3
	v_mov_b32_e32 v1, s11
	s_add_u32 s19, s3, 1
	s_add_u32 s21, s3, 2
	v_sub_co_u32_e32 v1, vcc, s22, v1
	s_cmp_lg_u64 vcc, 0
	s_subb_u32 s11, s23, s24
	v_subrev_co_u32_e32 v2, vcc, s9, v1
	s_cmp_lg_u64 vcc, 0
	s_subb_u32 s22, s11, 0
	v_cmp_le_u32_e32 vcc, s9, v2
	s_cmp_eq_u32 s22, 0
	v_cndmask_b32_e64 v2, 0, -1, vcc
	s_cselect_b64 vcc, -1, 0
	v_cndmask_b32_e32 v2, -1, v2, vcc
	v_mov_b32_e32 v3, s19
	v_mov_b32_e32 v4, s21
	v_cmp_ne_u32_e32 vcc, 0, v2
	v_cndmask_b32_e32 v2, v3, v4, vcc
	v_cmp_le_u32_e32 vcc, s9, v1
	s_cmp_eq_u32 s11, 0
	v_cndmask_b32_e64 v1, 0, -1, vcc
	s_cselect_b64 vcc, -1, 0
	v_cndmask_b32_e32 v1, -1, v1, vcc
	v_mov_b32_e32 v3, s3
	v_cmp_ne_u32_e32 vcc, 0, v1
	v_cndmask_b32_e32 v1, v3, v2, vcc
	v_xor_b32_e32 v1, s10, v1
	v_subrev_co_u32_e32 v2, vcc, s10, v1
	s_cbranch_execnz .LBB12_6
.LBB12_5:
	v_cvt_f32_u32_e32 v1, s9
	s_sub_i32 s0, 0, s9
	s_mov_b32 s1, 0
	v_rcp_iflag_f32_e32 v1, v1
	v_mul_f32_e32 v1, 0x4f7ffffe, v1
	v_cvt_u32_f32_e32 v1, v1
	v_readfirstlane_b32 s3, v1
	s_mul_i32 s0, s0, s3
	s_mul_hi_u32 s0, s3, s0
	s_add_i32 s3, s3, s0
	s_mul_hi_u32 s0, s2, s3
	s_mul_i32 s10, s0, s9
	s_sub_i32 s2, s2, s10
	s_add_i32 s3, s0, 1
	s_sub_i32 s10, s2, s9
	s_cmp_ge_u32 s2, s9
	s_cselect_b32 s0, s3, s0
	s_cselect_b32 s2, s10, s2
	s_add_i32 s3, s0, 1
	s_cmp_ge_u32 s2, s9
	s_cselect_b32 s0, s3, s0
	v_pk_mov_b32 v[2:3], s[0:1], s[0:1] op_sel:[0,1]
.LBB12_6:
	s_waitcnt lgkmcnt(0)
	s_mul_hi_u32 s0, s20, s16
	s_add_i32 s0, s0, s20
	v_mul_hi_u32 v1, v2, s16
	s_lshr_b32 s19, s0, s17
	v_add_u32_e32 v1, v1, v2
	s_mul_i32 s0, s19, s18
	v_lshrrev_b32_e32 v1, s17, v1
	s_cmp_eq_u32 s0, s20
	v_cmp_eq_u32_e64 s[0:1], s19, v1
	v_mul_lo_u32 v1, v1, s18
	v_cmp_eq_u32_e32 vcc, s20, v2
	s_cselect_b64 s[10:11], -1, 0
	v_cmp_ne_u32_e64 s[2:3], v1, v2
	s_and_b64 s[0:1], s[0:1], s[2:3]
	s_or_b64 s[2:3], vcc, s[10:11]
	s_or_b64 s[0:1], s[2:3], s[0:1]
	s_and_b64 vcc, exec, s[0:1]
	s_cbranch_vccnz .LBB12_24
; %bb.7:
	s_load_dwordx8 s[24:31], s[4:5], 0x20
	s_load_dword s0, s[4:5], 0x40
	s_mov_b32 s10, 0
	s_waitcnt lgkmcnt(0)
	s_mul_hi_u32 s1, s20, s24
	s_add_i32 s1, s1, s20
	s_lshr_b32 s11, s1, s25
	s_mul_i32 s1, s11, s26
	s_sub_i32 s1, s20, s1
	s_mul_hi_u32 s2, s1, s27
	s_add_i32 s2, s1, s2
	s_lshr_b32 s21, s2, s28
	s_mul_i32 s2, s21, s29
	s_sub_i32 s1, s1, s2
	;; [unrolled: 5-line block ×3, first 2 shown]
	s_mul_hi_u32 s1, s0, s16
	s_add_i32 s0, s0, s1
	s_lshr_b32 s22, s0, s17
	s_lshl_b32 s23, s2, 3
	s_add_i32 s22, s22, s7
	s_cmp_lt_i32 s22, s12
	s_cselect_b64 s[0:1], -1, 0
	s_add_i32 s23, s23, s8
	s_cmp_lt_i32 s23, s14
	s_cselect_b64 s[2:3], -1, 0
	s_and_b64 s[0:1], s[0:1], s[2:3]
	s_andn2_b64 vcc, exec, s[0:1]
	s_cbranch_vccnz .LBB12_24
; %bb.8:
	s_load_dwordx4 s[0:3], s[4:5], 0x0
	s_lshl_b32 s4, s9, 5
	s_mov_b32 s5, s10
	s_lshl_b64 s[4:5], s[4:5], 2
	s_mul_i32 s24, s21, s14
	s_waitcnt lgkmcnt(0)
	s_add_u32 s14, s2, s4
	s_mul_i32 s11, s11, s12
	s_addc_u32 s21, s3, s5
	s_add_i32 s4, s22, s11
	s_mul_i32 s4, s4, s13
	s_add_i32 s5, s23, s24
	s_add_i32 s5, s5, s4
	v_lshl_or_b32 v2, s5, 8, v0
	v_ashrrev_i32_e32 v3, 31, v2
	v_lshlrev_b64 v[2:3], 2, v[2:3]
	v_mov_b32_e32 v1, s1
	v_add_co_u32_e32 v2, vcc, s0, v2
	v_addc_co_u32_e32 v3, vcc, v1, v3, vcc
	global_load_dword v5, v[2:3], off
	v_lshl_or_b32 v4, s8, 8, v0
	v_cvt_f32_u32_e32 v0, s9
	v_cvt_f32_ubyte0_e32 v1, 0
	s_add_i32 s0, s7, s6
	s_lshl_b32 s0, s0, 3
	v_mac_f32_e32 v0, 0x4f800000, v1
	v_rcp_f32_e32 v0, v0
	v_cvt_f32_u32_e32 v1, s9
	s_add_i32 s0, s0, s8
	s_ashr_i32 s1, s0, 31
	s_lshl_b64 s[0:1], s[0:1], 3
	v_mul_f32_e32 v0, 0x5f7ffffc, v0
	v_rcp_iflag_f32_e32 v1, v1
	s_add_u32 s0, s2, s0
	v_mul_f32_e32 v9, 0x2f800000, v0
	s_addc_u32 s1, s3, s1
	v_trunc_f32_e32 v10, v9
	s_load_dwordx2 s[0:1], s[0:1], 0x0
	v_mac_f32_e32 v0, 0xcf800000, v10
	v_cvt_u32_f32_e32 v9, v0
	v_mul_f32_e32 v0, 0x4f7ffffe, v1
	v_cvt_u32_f32_e32 v10, v10
	v_cvt_u32_f32_e32 v11, v0
	s_add_i32 s13, s6, -1
	s_waitcnt lgkmcnt(0)
	v_mov_b32_e32 v6, s1
	v_mov_b32_e32 v7, s0
	;; [unrolled: 1-line block ×3, first 2 shown]
	s_mov_b32 s6, 0x3fb8aa3b
	s_mov_b32 s12, 0xc2ce8ed0
	;; [unrolled: 1-line block ×4, first 2 shown]
	v_mov_b32_e32 v12, 0x7f800000
	s_mul_hi_i32 s11, s13, s15
	s_cmp_lg_u64 s[10:11], 0
	s_mul_i32 s4, s13, s15
	s_cbranch_scc0 .LBB12_15
.LBB12_9:
	s_sub_u32 s0, 0, s9
	v_readfirstlane_b32 s5, v9
	v_readfirstlane_b32 s25, v10
	s_subb_u32 s1, 0, 0
	s_mul_hi_u32 s24, s0, s5
	s_mul_i32 s26, s0, s25
	s_mul_i32 s23, s1, s5
	s_add_i32 s24, s24, s26
	s_add_i32 s24, s24, s23
	s_mul_i32 s27, s0, s5
	s_mul_hi_u32 s23, s5, s24
	s_mul_i32 s26, s5, s24
	s_mul_hi_u32 s5, s5, s27
	s_add_u32 s5, s5, s26
	s_addc_u32 s23, 0, s23
	s_mul_hi_u32 s28, s25, s27
	s_mul_i32 s27, s25, s27
	s_add_u32 s5, s5, s27
	s_mul_hi_u32 s26, s25, s24
	s_addc_u32 s5, s23, s28
	s_addc_u32 s23, s26, 0
	s_mul_i32 s24, s25, s24
	s_add_u32 s5, s5, s24
	s_addc_u32 s23, 0, s23
	v_add_co_u32_e32 v0, vcc, s5, v9
	s_cmp_lg_u64 vcc, 0
	s_addc_u32 s5, s25, s23
	v_readfirstlane_b32 s24, v0
	s_mul_i32 s23, s0, s5
	s_mul_hi_u32 s25, s0, s24
	s_add_i32 s23, s25, s23
	s_mul_i32 s1, s1, s24
	s_add_i32 s23, s23, s1
	s_mul_i32 s0, s0, s24
	s_mul_hi_u32 s25, s5, s0
	s_mul_i32 s26, s5, s0
	s_mul_i32 s28, s24, s23
	s_mul_hi_u32 s0, s24, s0
	s_mul_hi_u32 s27, s24, s23
	s_add_u32 s0, s0, s28
	s_addc_u32 s24, 0, s27
	s_add_u32 s0, s0, s26
	s_mul_hi_u32 s1, s5, s23
	s_addc_u32 s0, s24, s25
	s_addc_u32 s1, s1, 0
	s_mul_i32 s23, s5, s23
	s_add_u32 s0, s0, s23
	s_addc_u32 s1, 0, s1
	v_add_co_u32_e32 v0, vcc, s0, v0
	s_cmp_lg_u64 vcc, 0
	s_addc_u32 s5, s5, s1
	s_ashr_i32 s0, s11, 31
	s_add_u32 s24, s4, s0
	s_mov_b32 s1, s0
	s_addc_u32 s25, s11, s0
	s_xor_b64 s[24:25], s[24:25], s[0:1]
	v_readfirstlane_b32 s23, v0
	s_mul_i32 s11, s24, s5
	s_mul_hi_u32 s26, s24, s23
	s_mul_hi_u32 s1, s24, s5
	s_add_u32 s11, s26, s11
	s_addc_u32 s1, 0, s1
	s_mul_hi_u32 s27, s25, s23
	s_mul_i32 s23, s25, s23
	s_add_u32 s11, s11, s23
	s_mul_hi_u32 s26, s25, s5
	s_addc_u32 s1, s1, s27
	s_addc_u32 s11, s26, 0
	s_mul_i32 s5, s25, s5
	s_add_u32 s1, s1, s5
	s_addc_u32 s5, 0, s11
	s_mul_i32 s5, s9, s5
	s_mul_hi_u32 s26, s9, s1
	s_add_i32 s26, s26, s5
	s_mul_i32 s5, s9, s1
	v_mov_b32_e32 v0, s5
	s_add_u32 s11, s1, 1
	s_add_u32 s23, s1, 2
	v_sub_co_u32_e32 v0, vcc, s24, v0
	s_cmp_lg_u64 vcc, 0
	s_subb_u32 s5, s25, s26
	v_subrev_co_u32_e32 v1, vcc, s9, v0
	s_cmp_lg_u64 vcc, 0
	s_subb_u32 s24, s5, 0
	v_cmp_le_u32_e32 vcc, s9, v1
	s_cmp_eq_u32 s24, 0
	v_cndmask_b32_e64 v1, 0, -1, vcc
	s_cselect_b64 vcc, -1, 0
	v_cndmask_b32_e32 v1, -1, v1, vcc
	v_mov_b32_e32 v13, s11
	v_mov_b32_e32 v14, s23
	v_cmp_ne_u32_e32 vcc, 0, v1
	v_cndmask_b32_e32 v1, v13, v14, vcc
	v_cmp_le_u32_e32 vcc, s9, v0
	s_cmp_eq_u32 s5, 0
	v_cndmask_b32_e64 v0, 0, -1, vcc
	s_cselect_b64 vcc, -1, 0
	v_cndmask_b32_e32 v0, -1, v0, vcc
	v_mov_b32_e32 v13, s1
	v_cmp_ne_u32_e32 vcc, 0, v0
	v_cndmask_b32_e32 v0, v13, v1, vcc
	v_xor_b32_e32 v0, s0, v0
	v_subrev_co_u32_e32 v0, vcc, s0, v0
	s_cbranch_execnz .LBB12_11
.LBB12_10:
	s_sub_i32 s0, 0, s9
	v_mul_lo_u32 v0, s0, v11
	v_mul_hi_u32 v0, v11, v0
	v_add_u32_e32 v0, v11, v0
	v_mul_hi_u32 v0, s4, v0
	v_mul_lo_u32 v13, v0, s9
	v_sub_u32_e32 v13, s4, v13
	v_add_u32_e32 v1, 1, v0
	v_subrev_u32_e32 v14, s9, v13
	v_cmp_le_u32_e32 vcc, s9, v13
	v_cndmask_b32_e32 v13, v13, v14, vcc
	v_cndmask_b32_e32 v0, v0, v1, vcc
	v_add_u32_e32 v1, 1, v0
	v_cmp_le_u32_e32 vcc, s9, v13
	v_cndmask_b32_e32 v0, v0, v1, vcc
.LBB12_11:
	v_cmp_ne_u32_e32 vcc, v8, v0
	s_cbranch_vccz .LBB12_14
; %bb.12:
	s_add_i32 s23, s13, s7
	s_add_i32 s0, s23, s9
	s_lshl_b32 s0, s0, 3
	v_mul_hi_u32 v1, v0, s16
	s_add_i32 s0, s0, s8
	s_mov_b32 s1, s10
	v_add_u32_e32 v1, v1, v0
	s_lshl_b64 s[0:1], s[0:1], 3
	v_lshrrev_b32_e32 v1, s17, v1
	s_add_u32 s4, s2, s0
	v_mul_lo_u32 v13, v1, s18
	s_addc_u32 s5, s3, s1
	v_cmp_eq_u32_e32 vcc, v13, v0
	v_cmp_gt_u32_e64 s[0:1], s19, v1
	s_or_b64 s[0:1], s[0:1], vcc
	s_and_b64 vcc, exec, s[0:1]
	s_cbranch_vccnz .LBB12_16
; %bb.13:
	s_add_i32 s11, s13, -1
	s_mov_b64 s[0:1], 0
	s_branch .LBB12_17
.LBB12_14:
                                        ; implicit-def: $sgpr0_sgpr1
                                        ; implicit-def: $vgpr14
                                        ; implicit-def: $vgpr1
                                        ; implicit-def: $vgpr13
                                        ; implicit-def: $sgpr11
                                        ; implicit-def: $vgpr0
	s_branch .LBB12_18
.LBB12_15:
                                        ; implicit-def: $vgpr0_vgpr1
	s_branch .LBB12_10
.LBB12_16:
	s_mov_b64 s[0:1], -1
	s_mov_b32 s11, s13
	v_mov_b32_e32 v0, v8
.LBB12_17:
	v_lshl_add_u32 v14, s23, 11, v4
	v_ashrrev_i32_e32 v15, 31, v14
	v_lshlrev_b64 v[14:15], 2, v[14:15]
	v_mov_b32_e32 v1, s21
	v_add_co_u32_e32 v14, vcc, s14, v14
	v_addc_co_u32_e32 v15, vcc, v1, v15, vcc
	global_load_dword v14, v[14:15], off
	s_load_dwordx2 s[4:5], s[4:5], 0x0
	v_max_f32_e32 v1, v7, v7
	s_waitcnt lgkmcnt(0)
	v_max_f32_e64 v13, s4, s4
	v_max_f32_e32 v1, v1, v13
	v_sub_f32_e32 v13, v7, v1
	v_sub_f32_e32 v15, s4, v1
	v_mul_f32_e32 v16, 0x3fb8aa3b, v13
	v_mul_f32_e32 v17, 0x3fb8aa3b, v15
	v_fma_f32 v18, v13, s6, -v16
	v_rndne_f32_e32 v19, v16
	v_fma_f32 v20, v15, s6, -v17
	v_rndne_f32_e32 v21, v17
	v_fmac_f32_e32 v18, 0x32a5705f, v13
	v_sub_f32_e32 v16, v16, v19
	v_fmac_f32_e32 v20, 0x32a5705f, v15
	v_sub_f32_e32 v17, v17, v21
	v_add_f32_e32 v16, v16, v18
	v_cvt_i32_f32_e32 v19, v19
	v_add_f32_e32 v17, v17, v20
	v_exp_f32_e32 v16, v16
	v_cvt_i32_f32_e32 v21, v21
	v_exp_f32_e32 v17, v17
	v_cmp_ngt_f32_e32 vcc, s12, v13
	v_ldexp_f32 v16, v16, v19
	v_cndmask_b32_e32 v16, 0, v16, vcc
	v_ldexp_f32 v17, v17, v21
	v_cmp_ngt_f32_e32 vcc, s12, v15
	v_cndmask_b32_e32 v17, 0, v17, vcc
	v_cmp_nlt_f32_e32 vcc, s20, v13
	v_cndmask_b32_e32 v16, v12, v16, vcc
	v_cmp_nlt_f32_e32 vcc, s20, v15
	v_cndmask_b32_e32 v17, v12, v17, vcc
	v_cmp_le_f32_e32 vcc, s22, v13
	v_cndmask_b32_e32 v16, 0, v16, vcc
	v_cmp_le_f32_e32 vcc, s22, v15
	v_cndmask_b32_e32 v15, 0, v17, vcc
	v_mul_f32_e32 v13, s5, v15
	v_fmac_f32_e32 v13, v6, v16
	s_waitcnt vmcnt(0)
	v_mul_f32_e32 v14, v14, v15
	v_fmac_f32_e32 v14, v5, v16
	s_cbranch_execnz .LBB12_19
.LBB12_18:
	s_add_i32 s11, s13, -1
	s_mov_b64 s[0:1], 0
	v_mov_b32_e32 v0, v8
	v_mov_b32_e32 v13, v6
	;; [unrolled: 1-line block ×3, first 2 shown]
	s_waitcnt vmcnt(0)
	v_mov_b32_e32 v14, v5
.LBB12_19:
	s_andn2_b64 vcc, exec, s[0:1]
	s_cbranch_vccz .LBB12_23
; %bb.20:
	v_mov_b32_e32 v8, v0
	s_mov_b32 s13, s11
	v_mov_b32_e32 v6, v13
	v_mov_b32_e32 v7, v1
	s_waitcnt vmcnt(0)
	v_mov_b32_e32 v5, v14
	s_mul_hi_i32 s11, s13, s15
	s_cmp_lg_u64 s[10:11], 0
	s_mul_i32 s4, s13, s15
	s_cbranch_scc1 .LBB12_9
	s_branch .LBB12_15
.LBB12_21:
                                        ; implicit-def: $sgpr20_sgpr21
	s_load_dwordx4 s[16:19], s[4:5], 0x44
	s_branch .LBB12_2
.LBB12_22:
                                        ; implicit-def: $vgpr2_vgpr3
	s_branch .LBB12_5
.LBB12_23:
	v_div_scale_f32 v0, s[0:1], v13, v13, v14
	v_rcp_f32_e32 v1, v0
	v_div_scale_f32 v4, vcc, v14, v13, v14
	s_waitcnt vmcnt(0)
	v_fma_f32 v5, -v0, v1, 1.0
	v_fmac_f32_e32 v1, v5, v1
	v_mul_f32_e32 v5, v4, v1
	v_fma_f32 v6, -v0, v5, v4
	v_fmac_f32_e32 v5, v6, v1
	v_fma_f32 v0, -v0, v5, v4
	v_div_fmas_f32 v0, v0, v1, v5
	v_div_fixup_f32 v0, v0, v13, v14
	global_store_dword v[2:3], v0, off
.LBB12_24:
	s_endpgm
	.section	.rodata,"a",@progbits
	.p2align	6, 0x0
	.amdhsa_kernel _ZL33flash_attn_stream_k_fixup_generalILi256ELi1ELi8EEvPfPK15HIP_vector_typeIfLj2EEiiiiS1_IjLj3EES5_S5_S5_
		.amdhsa_group_segment_fixed_size 0
		.amdhsa_private_segment_fixed_size 0
		.amdhsa_kernarg_size 336
		.amdhsa_user_sgpr_count 6
		.amdhsa_user_sgpr_private_segment_buffer 1
		.amdhsa_user_sgpr_dispatch_ptr 0
		.amdhsa_user_sgpr_queue_ptr 0
		.amdhsa_user_sgpr_kernarg_segment_ptr 1
		.amdhsa_user_sgpr_dispatch_id 0
		.amdhsa_user_sgpr_flat_scratch_init 0
		.amdhsa_user_sgpr_kernarg_preload_length 0
		.amdhsa_user_sgpr_kernarg_preload_offset 0
		.amdhsa_user_sgpr_private_segment_size 0
		.amdhsa_uses_dynamic_stack 0
		.amdhsa_system_sgpr_private_segment_wavefront_offset 0
		.amdhsa_system_sgpr_workgroup_id_x 1
		.amdhsa_system_sgpr_workgroup_id_y 1
		.amdhsa_system_sgpr_workgroup_id_z 1
		.amdhsa_system_sgpr_workgroup_info 0
		.amdhsa_system_vgpr_workitem_id 0
		.amdhsa_next_free_vgpr 22
		.amdhsa_next_free_sgpr 32
		.amdhsa_accum_offset 24
		.amdhsa_reserve_vcc 1
		.amdhsa_reserve_flat_scratch 0
		.amdhsa_float_round_mode_32 0
		.amdhsa_float_round_mode_16_64 0
		.amdhsa_float_denorm_mode_32 3
		.amdhsa_float_denorm_mode_16_64 3
		.amdhsa_dx10_clamp 1
		.amdhsa_ieee_mode 1
		.amdhsa_fp16_overflow 0
		.amdhsa_tg_split 0
		.amdhsa_exception_fp_ieee_invalid_op 0
		.amdhsa_exception_fp_denorm_src 0
		.amdhsa_exception_fp_ieee_div_zero 0
		.amdhsa_exception_fp_ieee_overflow 0
		.amdhsa_exception_fp_ieee_underflow 0
		.amdhsa_exception_fp_ieee_inexact 0
		.amdhsa_exception_int_div_zero 0
	.end_amdhsa_kernel
	.section	.text._ZL33flash_attn_stream_k_fixup_generalILi256ELi1ELi8EEvPfPK15HIP_vector_typeIfLj2EEiiiiS1_IjLj3EES5_S5_S5_,"axG",@progbits,_ZL33flash_attn_stream_k_fixup_generalILi256ELi1ELi8EEvPfPK15HIP_vector_typeIfLj2EEiiiiS1_IjLj3EES5_S5_S5_,comdat
.Lfunc_end12:
	.size	_ZL33flash_attn_stream_k_fixup_generalILi256ELi1ELi8EEvPfPK15HIP_vector_typeIfLj2EEiiiiS1_IjLj3EES5_S5_S5_, .Lfunc_end12-_ZL33flash_attn_stream_k_fixup_generalILi256ELi1ELi8EEvPfPK15HIP_vector_typeIfLj2EEiiiiS1_IjLj3EES5_S5_S5_
                                        ; -- End function
	.section	.AMDGPU.csdata,"",@progbits
; Kernel info:
; codeLenInByte = 2804
; NumSgprs: 36
; NumVgprs: 22
; NumAgprs: 0
; TotalNumVgprs: 22
; ScratchSize: 0
; MemoryBound: 0
; FloatMode: 240
; IeeeMode: 1
; LDSByteSize: 0 bytes/workgroup (compile time only)
; SGPRBlocks: 4
; VGPRBlocks: 2
; NumSGPRsForWavesPerEU: 36
; NumVGPRsForWavesPerEU: 22
; AccumOffset: 24
; Occupancy: 8
; WaveLimiterHint : 0
; COMPUTE_PGM_RSRC2:SCRATCH_EN: 0
; COMPUTE_PGM_RSRC2:USER_SGPR: 6
; COMPUTE_PGM_RSRC2:TRAP_HANDLER: 0
; COMPUTE_PGM_RSRC2:TGID_X_EN: 1
; COMPUTE_PGM_RSRC2:TGID_Y_EN: 1
; COMPUTE_PGM_RSRC2:TGID_Z_EN: 1
; COMPUTE_PGM_RSRC2:TIDIG_COMP_CNT: 0
; COMPUTE_PGM_RSRC3_GFX90A:ACCUM_OFFSET: 5
; COMPUTE_PGM_RSRC3_GFX90A:TG_SPLIT: 0
	.section	.text._ZL15flash_attn_tileILi256ELi256ELi8ELi4ELb0EEvPKcS1_S1_S1_S1_PKiPfP15HIP_vector_typeIfLj2EEffffjfiS5_IjLj3EEiiiiiiiiiiiliiliiiiil,"axG",@progbits,_ZL15flash_attn_tileILi256ELi256ELi8ELi4ELb0EEvPKcS1_S1_S1_S1_PKiPfP15HIP_vector_typeIfLj2EEffffjfiS5_IjLj3EEiiiiiiiiiiiliiliiiiil,comdat
	.globl	_ZL15flash_attn_tileILi256ELi256ELi8ELi4ELb0EEvPKcS1_S1_S1_S1_PKiPfP15HIP_vector_typeIfLj2EEffffjfiS5_IjLj3EEiiiiiiiiiiiliiliiiiil ; -- Begin function _ZL15flash_attn_tileILi256ELi256ELi8ELi4ELb0EEvPKcS1_S1_S1_S1_PKiPfP15HIP_vector_typeIfLj2EEffffjfiS5_IjLj3EEiiiiiiiiiiiliiliiiiil
	.p2align	8
	.type	_ZL15flash_attn_tileILi256ELi256ELi8ELi4ELb0EEvPKcS1_S1_S1_S1_PKiPfP15HIP_vector_typeIfLj2EEffffjfiS5_IjLj3EEiiiiiiiiiiiliiliiiiil,@function
_ZL15flash_attn_tileILi256ELi256ELi8ELi4ELb0EEvPKcS1_S1_S1_S1_PKiPfP15HIP_vector_typeIfLj2EEffffjfiS5_IjLj3EEiiiiiiiiiiiliiliiiiil: ; @_ZL15flash_attn_tileILi256ELi256ELi8ELi4ELb0EEvPKcS1_S1_S1_S1_PKiPfP15HIP_vector_typeIfLj2EEffffjfiS5_IjLj3EEiiiiiiiiiiiliiliiiiil
; %bb.0:
	s_load_dwordx4 s[28:31], s[4:5], 0x5c
	s_load_dwordx2 s[36:37], s[4:5], 0x80
	s_load_dwordx16 s[12:27], s[4:5], 0x0
	s_mov_b64 s[38:39], 0
	s_waitcnt lgkmcnt(0)
	s_ashr_i32 s0, s31, 31
	s_lshr_b32 s0, s0, 30
	s_add_i32 s0, s31, s0
	s_ashr_i32 s0, s0, 2
	v_cvt_f32_u32_e32 v1, s0
	s_sub_i32 s1, 0, s0
	v_rcp_iflag_f32_e32 v1, v1
	v_mul_f32_e32 v1, 0x4f7ffffe, v1
	v_cvt_u32_f32_e32 v1, v1
	v_readfirstlane_b32 s2, v1
	s_mul_i32 s1, s1, s2
	s_mul_hi_u32 s1, s2, s1
	s_add_i32 s2, s2, s1
	s_mul_hi_u32 s1, s8, s2
	s_mul_i32 s2, s1, s0
	s_sub_i32 s2, s8, s2
	s_add_i32 s3, s1, 1
	s_sub_i32 s9, s2, s0
	s_cmp_ge_u32 s2, s0
	s_cselect_b32 s1, s3, s1
	s_cselect_b32 s2, s9, s2
	s_add_i32 s3, s1, 1
	s_cmp_ge_u32 s2, s0
	s_cselect_b32 s33, s3, s1
	s_abs_i32 s0, s37
	v_cvt_f32_u32_e32 v1, s0
	s_lshl_b32 s1, s8, 2
	s_mul_i32 s8, s33, s31
	s_sub_i32 s9, 0, s0
	v_rcp_iflag_f32_e32 v1, v1
	s_sub_i32 s34, s1, s8
	s_abs_i32 s3, s31
	s_xor_b32 s2, s31, s37
	v_mul_f32_e32 v1, 0x4f7ffffe, v1
	v_cvt_u32_f32_e32 v1, v1
	s_ashr_i32 s2, s2, 31
	v_readfirstlane_b32 s1, v1
	s_mul_i32 s9, s9, s1
	s_mul_hi_u32 s8, s1, s9
	s_add_i32 s1, s1, s8
	s_mul_hi_u32 s1, s3, s1
	s_mul_i32 s8, s1, s0
	s_sub_i32 s3, s3, s8
	s_add_i32 s9, s1, 1
	s_sub_i32 s8, s3, s0
	s_cmp_ge_u32 s3, s0
	s_cselect_b32 s1, s9, s1
	s_cselect_b32 s3, s8, s3
	s_add_i32 s8, s1, 1
	s_cmp_ge_u32 s3, s0
	s_cselect_b32 s0, s8, s1
	s_xor_b32 s0, s0, s2
	s_sub_i32 s11, s0, s2
	s_abs_i32 s10, s11
	v_cvt_f32_u32_e32 v1, s10
	s_load_dwordx2 s[8:9], s[4:5], 0xb8
	s_cmp_eq_u64 s[18:19], 0
	v_rcp_iflag_f32_e32 v1, v1
	v_mul_f32_e32 v1, 0x4f7ffffe, v1
	v_cvt_u32_f32_e32 v1, v1
	v_readfirstlane_b32 s35, v1
	s_cbranch_scc1 .LBB13_2
; %bb.1:
	s_waitcnt lgkmcnt(0)
	s_abs_i32 s2, s8
	v_cvt_f32_u32_e32 v1, s2
	s_sub_i32 s37, 0, s2
	s_abs_i32 s8, s33
	s_ashr_i32 s3, s33, 31
	v_rcp_iflag_f32_e32 v1, v1
	s_load_dwordx2 s[0:1], s[4:5], 0xc8
	v_mul_f32_e32 v1, 0x4f7ffffe, v1
	v_cvt_u32_f32_e32 v1, v1
	v_readfirstlane_b32 s38, v1
	s_mul_i32 s37, s37, s38
	s_mul_hi_u32 s37, s38, s37
	s_add_i32 s38, s38, s37
	s_mul_hi_u32 s37, s8, s38
	s_mul_i32 s37, s37, s2
	s_sub_i32 s8, s8, s37
	s_sub_i32 s37, s8, s2
	s_cmp_ge_u32 s8, s2
	s_cselect_b32 s8, s37, s8
	s_sub_i32 s37, s8, s2
	s_cmp_ge_u32 s8, s2
	s_cselect_b32 s2, s37, s8
	s_xor_b32 s2, s2, s3
	s_sub_i32 s2, s2, s3
	s_ashr_i32 s3, s2, 31
	s_waitcnt lgkmcnt(0)
	s_mul_i32 s1, s2, s1
	s_mul_hi_u32 s8, s2, s0
	s_add_i32 s1, s8, s1
	s_mul_i32 s3, s3, s0
	s_add_i32 s1, s1, s3
	s_mul_i32 s2, s2, s0
	s_add_u32 s38, s18, s2
	s_addc_u32 s39, s19, s1
.LBB13_2:
	s_load_dwordx4 s[0:3], s[4:5], 0x70
	v_bfe_u32 v17, v0, 10, 10
	v_lshl_add_u32 v116, s6, 3, v17
	v_mul_hi_u32 v1, s28, v116
	v_add_u32_e32 v1, v116, v1
	s_waitcnt lgkmcnt(0)
	s_mul_i32 s2, s33, s2
	s_ashr_i32 s8, s2, 31
	s_mul_i32 s3, s34, s1
	s_add_u32 s2, s12, s2
	s_addc_u32 s8, s13, s8
	s_ashr_i32 s12, s3, 31
	v_lshrrev_b32_e32 v1, s29, v1
	s_add_u32 s13, s2, s3
	v_mul_lo_u32 v1, v1, s30
	s_addc_u32 s8, s8, s12
	v_sub_u32_e32 v18, v116, v1
	s_ashr_i32 s12, s0, 31
	v_mov_b32_e32 v1, s0
	v_alignbit_b32 v1, s12, v1, 2
	v_mad_u64_u32 v[2:3], s[2:3], v1, v18, 0
	v_mov_b32_e32 v4, v3
	s_lshr_b32 s0, s12, 2
	v_mad_u64_u32 v[4:5], s[2:3], s0, v18, v[4:5]
	v_mov_b32_e32 v3, v4
	v_and_b32_e32 v100, 0x3ff, v0
	v_lshlrev_b64 v[0:1], 2, v[2:3]
	v_mov_b32_e32 v2, s8
	v_add_co_u32_e32 v0, vcc, s13, v0
	v_addc_co_u32_e32 v1, vcc, v2, v1, vcc
	v_lshlrev_b32_e32 v2, 4, v100
	v_add_co_u32_e32 v28, vcc, v0, v2
	v_addc_co_u32_e32 v29, vcc, 0, v1, vcc
	s_ashr_i32 s3, s1, 31
	s_and_b32 s0, s1, -4
	v_mov_b32_e32 v8, s3
	v_add_co_u32_e32 v20, vcc, s0, v28
	global_load_dwordx4 v[0:3], v[28:29], off
	global_load_dwordx4 v[4:7], v[28:29], off offset:512
	v_addc_co_u32_e32 v21, vcc, v29, v8, vcc
	global_load_dwordx4 v[8:11], v[20:21], off
	global_load_dwordx4 v[12:15], v[20:21], off offset:512
	s_mov_b32 s2, s1
	s_lshr_b64 s[12:13], s[2:3], 2
	s_lshl_b64 s[12:13], s[12:13], 3
	v_mov_b32_e32 v16, s13
	v_add_co_u32_e32 v30, vcc, s12, v28
	v_addc_co_u32_e32 v31, vcc, v29, v16, vcc
	global_load_dwordx4 v[20:23], v[30:31], off
	global_load_dwordx4 v[24:27], v[30:31], off offset:512
	v_mov_b32_e32 v16, s1
	v_alignbit_b32 v16, s3, v16, 2
	v_mad_u64_u32 v[36:37], s[0:1], v16, 12, v[28:29]
	s_lshr_b32 s2, s3, 2
	v_mov_b32_e32 v16, v37
	v_mad_u64_u32 v[28:29], s[0:1], s2, 12, v[16:17]
	v_mov_b32_e32 v37, v28
	global_load_dwordx4 v[28:31], v[36:37], off
	global_load_dwordx4 v[32:35], v[36:37], off offset:512
	s_load_dword s0, s[4:5], 0x40
	s_mov_b32 s1, 0
	v_lshlrev_b32_e32 v117, 11, v17
	v_lshl_or_b32 v16, v100, 3, v117
	s_cmp_eq_u64 s[22:23], 0
	s_waitcnt vmcnt(7) lgkmcnt(0)
	v_pk_mul_f32 v[0:1], v[0:1], s[0:1] op_sel_hi:[1,0]
	v_pk_mul_f32 v[2:3], v[2:3], s[0:1] op_sel_hi:[1,0]
	s_waitcnt vmcnt(6)
	v_pk_mul_f32 v[4:5], v[4:5], s[0:1] op_sel_hi:[1,0]
	v_pk_mul_f32 v[6:7], v[6:7], s[0:1] op_sel_hi:[1,0]
	v_cvt_f16_f32_e32 v19, v1
	v_cvt_f16_f32_e32 v36, v0
	;; [unrolled: 1-line block ×8, first 2 shown]
	s_waitcnt vmcnt(5)
	v_pk_mul_f32 v[0:1], v[8:9], s[0:1] op_sel_hi:[1,0]
	v_pk_mul_f32 v[2:3], v[10:11], s[0:1] op_sel_hi:[1,0]
	s_waitcnt vmcnt(4)
	v_pk_mul_f32 v[4:5], v[12:13], s[0:1] op_sel_hi:[1,0]
	v_pk_mul_f32 v[6:7], v[14:15], s[0:1] op_sel_hi:[1,0]
	v_cvt_f16_f32_e32 v8, v1
	v_cvt_f16_f32_e32 v9, v0
	v_cvt_f16_f32_e32 v10, v3
	v_cvt_f16_f32_e32 v11, v2
	v_cvt_f16_f32_e32 v5, v5
	v_cvt_f16_f32_e32 v4, v4
	v_cvt_f16_f32_e32 v7, v7
	v_cvt_f16_f32_e32 v6, v6
	v_pack_b32_f16 v1, v38, v37
	v_pack_b32_f16 v0, v36, v19
	;; [unrolled: 1-line block ×4, first 2 shown]
	ds_write2_b64 v16, v[0:1], v[2:3] offset1:32
	v_pack_b32_f16 v1, v11, v10
	v_pack_b32_f16 v0, v9, v8
	;; [unrolled: 1-line block ×4, first 2 shown]
	ds_write2_b64 v16, v[0:1], v[2:3] offset0:64 offset1:96
	s_waitcnt vmcnt(3)
	v_pk_mul_f32 v[0:1], v[20:21], s[0:1] op_sel_hi:[1,0]
	v_cvt_f16_f32_e32 v4, v1
	v_cvt_f16_f32_e32 v5, v0
	v_pk_mul_f32 v[0:1], v[22:23], s[0:1] op_sel_hi:[1,0]
	v_cvt_f16_f32_e32 v6, v1
	v_cvt_f16_f32_e32 v7, v0
	s_waitcnt vmcnt(2)
	v_pk_mul_f32 v[0:1], v[24:25], s[0:1] op_sel_hi:[1,0]
	v_pk_mul_f32 v[2:3], v[26:27], s[0:1] op_sel_hi:[1,0]
	v_cvt_f16_f32_e32 v8, v1
	v_cvt_f16_f32_e32 v3, v3
	;; [unrolled: 1-line block ×4, first 2 shown]
	v_pack_b32_f16 v1, v7, v6
	v_pack_b32_f16 v0, v5, v4
	;; [unrolled: 1-line block ×4, first 2 shown]
	ds_write2_b64 v16, v[0:1], v[2:3] offset0:128 offset1:160
	s_waitcnt vmcnt(1)
	v_pk_mul_f32 v[0:1], v[28:29], s[0:1] op_sel_hi:[1,0]
	v_cvt_f16_f32_e32 v4, v1
	v_cvt_f16_f32_e32 v5, v0
	v_pk_mul_f32 v[0:1], v[30:31], s[0:1] op_sel_hi:[1,0]
	v_cvt_f16_f32_e32 v6, v1
	v_cvt_f16_f32_e32 v7, v0
	s_waitcnt vmcnt(0)
	v_pk_mul_f32 v[0:1], v[32:33], s[0:1] op_sel_hi:[1,0]
	v_pk_mul_f32 v[2:3], v[34:35], s[0:1] op_sel_hi:[1,0]
	v_cvt_f16_f32_e32 v8, v1
	v_cvt_f16_f32_e32 v3, v3
	;; [unrolled: 1-line block ×4, first 2 shown]
	v_pack_b32_f16 v1, v7, v6
	v_pack_b32_f16 v0, v5, v4
	;; [unrolled: 1-line block ×4, first 2 shown]
	ds_write2_b64 v16, v[0:1], v[2:3] offset0:192 offset1:224
	s_waitcnt lgkmcnt(0)
	s_barrier
	s_cbranch_scc1 .LBB13_4
; %bb.3:
	s_load_dword s0, s[4:5], 0xd0
	s_waitcnt lgkmcnt(0)
	s_mul_i32 s0, s0, s33
	s_add_i32 s0, s0, s6
	s_lshl_b64 s[0:1], s[0:1], 2
	s_add_u32 s0, s22, s0
	s_addc_u32 s1, s23, s1
	s_load_dword s36, s[0:1], 0x0
.LBB13_4:
	s_lshl_b32 s22, s7, 5
	v_lshlrev_b32_e32 v101, 2, v100
	s_waitcnt lgkmcnt(0)
	s_cmp_lt_i32 s22, s36
	v_mbcnt_lo_u32_b32 v19, -1, 0
	s_cbranch_scc1 .LBB13_6
; %bb.5:
	v_mbcnt_hi_u32_b32 v107, -1, v19
	v_and_b32_e32 v0, 0x60, v107
	s_mov_b32 s2, 0
	v_add_u32_e32 v118, 32, v0
	v_xor_b32_e32 v121, 16, v107
	v_xor_b32_e32 v122, 8, v107
	;; [unrolled: 1-line block ×5, first 2 shown]
	s_mov_b64 s[0:1], 0
	s_mov_b32 s3, 0xfeffffff
	s_branch .LBB13_7
.LBB13_6:
	s_mov_b64 s[0:1], -1
                                        ; implicit-def: $sgpr3
                                        ; implicit-def: $sgpr2
                                        ; implicit-def: $vgpr107
                                        ; implicit-def: $vgpr118
                                        ; implicit-def: $vgpr121
                                        ; implicit-def: $vgpr122
                                        ; implicit-def: $vgpr123
                                        ; implicit-def: $vgpr120
                                        ; implicit-def: $vgpr119
.LBB13_7:
	s_andn2_b64 vcc, exec, s[0:1]
	v_mov_b32_e32 v3, s3
	v_mov_b32_e32 v103, s2
	;; [unrolled: 1-line block ×24, first 2 shown]
	s_cbranch_vccnz .LBB13_10
; %bb.8:
	s_sub_i32 s0, 0, s10
	s_mul_i32 s0, s0, s35
	s_mul_hi_u32 s0, s35, s0
	s_add_i32 s35, s35, s0
	s_load_dwordx2 s[12:13], s[4:5], 0x8c
	s_load_dwordx4 s[0:3], s[4:5], 0x98
	s_abs_i32 s6, s34
	s_mul_hi_u32 s8, s6, s35
	s_ashr_i32 s29, s34, 31
	s_waitcnt lgkmcnt(0)
	s_ashr_i32 s28, s12, 2
	s_ashr_i32 s23, s2, 2
	;; [unrolled: 1-line block ×4, first 2 shown]
	s_mul_i32 s1, s33, s1
	s_mul_hi_u32 s12, s33, s0
	s_add_i32 s1, s12, s1
	s_mul_i32 s12, s9, s0
	s_ashr_i32 s11, s11, 31
	s_add_i32 s1, s1, s12
	s_mul_i32 s0, s33, s0
	s_add_u32 s0, s14, s0
	s_mul_i32 s12, s8, s10
	s_addc_u32 s1, s15, s1
	s_sub_i32 s6, s6, s12
	s_xor_b32 s11, s29, s11
	s_add_i32 s12, s8, 1
	s_sub_i32 s14, s6, s10
	s_cmp_ge_u32 s6, s10
	s_cselect_b32 s8, s12, s8
	s_cselect_b32 s6, s14, s6
	s_add_i32 s12, s8, 1
	s_cmp_ge_u32 s6, s10
	s_cselect_b32 s6, s12, s8
	s_load_dwordx2 s[18:19], s[4:5], 0xa8
	s_xor_b32 s6, s6, s11
	s_sub_i32 s6, s6, s11
	s_mul_i32 s8, s6, s13
	s_ashr_i32 s10, s8, 31
	s_add_u32 s29, s0, s8
	s_addc_u32 s35, s1, s10
	s_waitcnt lgkmcnt(0)
	s_mul_i32 s0, s33, s19
	s_mul_hi_u32 s1, s33, s18
	s_add_i32 s0, s1, s0
	s_mul_i32 s9, s9, s18
	s_add_i32 s0, s0, s9
	s_mul_i32 s1, s33, s18
	s_add_u32 s1, s16, s1
	s_mul_i32 s6, s6, s3
	s_addc_u32 s0, s17, s0
	s_ashr_i32 s3, s6, 31
	s_add_u32 s37, s1, s6
	v_lshrrev_b32_e32 v0, 4, v100
	v_and_b32_e32 v2, 60, v101
	s_addc_u32 s40, s0, s3
	v_lshl_add_u32 v0, v17, 1, v0
	v_lshlrev_b32_e32 v1, 2, v2
	s_movk_i32 s0, 0x110
	v_mad_u32_u24 v1, v0, s0, v1
	v_mul_lo_u32 v6, s28, v0
	v_mov_b32_e32 v0, 0x4000
	v_mad_u32_u24 v126, v100, s0, v0
	v_mad_u64_u32 v[106:107], s[0:1], v18, s2, v[100:101]
	v_mov_b32_e32 v0, 0x6200
	v_lshlrev_b32_e32 v128, 2, v101
	v_mul_lo_u32 v10, s23, v17
	v_lshl_add_u32 v8, s28, 4, v6
	v_lshl_add_u32 v127, v17, 8, v0
	v_lshl_add_u32 v0, v17, 9, v128
	v_lshl_add_u32 v12, s23, 3, v10
	v_mbcnt_hi_u32_b32 v107, -1, v19
	v_mov_b32_e32 v5, 0
	v_add_u32_e32 v124, 0x4000, v1
	v_ashrrev_i32_e32 v7, 31, v6
	v_add_u32_e32 v125, 0x5100, v1
	v_ashrrev_i32_e32 v9, 31, v8
	v_lshlrev_b32_e32 v1, 3, v100
	v_add_u32_e32 v129, 0x4000, v0
	v_ashrrev_i32_e32 v11, 31, v10
	v_add_u32_e32 v130, 0x5000, v0
	v_ashrrev_i32_e32 v13, 31, v12
	s_add_u32 s18, s4, 0xd0
	v_mov_b32_e32 v0, 0xfeffffff
	v_lshlrev_b32_e32 v131, 2, v2
	v_and_b32_e32 v2, 0x60, v107
	s_addc_u32 s19, s5, 0
	v_lshlrev_b64 v[108:109], 2, v[6:7]
	v_lshlrev_b64 v[110:111], 2, v[8:9]
	v_mov_b32_e32 v132, s39
	v_add_u32_e32 v118, 32, v2
	v_xor_b32_e32 v121, 16, v107
	v_xor_b32_e32 v122, 8, v107
	;; [unrolled: 1-line block ×5, first 2 shown]
	s_mov_b32 s6, 0x40051340
	s_mov_b32 s39, 0x3fb8aa3b
	;; [unrolled: 1-line block ×4, first 2 shown]
	v_mov_b32_e32 v133, 0x7f800000
	v_add_u32_e32 v134, v127, v1
	v_lshlrev_b64 v[112:113], 2, v[10:11]
	v_lshlrev_b64 v[114:115], 2, v[12:13]
	v_add_u32_e32 v135, 0x4000, v1
	v_add_u32_e32 v136, 0x4800, v1
	;; [unrolled: 1-line block ×4, first 2 shown]
	v_mov_b32_e32 v34, 0
	v_mov_b32_e32 v4, 0
	;; [unrolled: 1-line block ×22, first 2 shown]
.LBB13_9:                               ; =>This Inner Loop Header: Depth=1
	v_cmp_lt_i32_e32 vcc, v121, v118
	v_cndmask_b32_e32 v20, v107, v121, vcc
	v_cmp_lt_i32_e32 vcc, v122, v118
	v_add_u32_e32 v18, s22, v106
	v_cndmask_b32_e32 v21, v107, v122, vcc
	v_cmp_lt_i32_e32 vcc, v123, v118
	s_mul_hi_i32 s1, s22, s28
	s_mul_i32 s0, s22, s28
	v_cndmask_b32_e32 v22, v107, v123, vcc
	v_cmp_lt_i32_e32 vcc, v120, v118
	v_ashrrev_i32_e32 v19, 31, v18
	v_cndmask_b32_e32 v23, v107, v120, vcc
	v_cmp_lt_i32_e32 vcc, v119, v118
	s_lshl_b64 s[0:1], s[0:1], 2
	v_lshlrev_b64 v[18:19], 1, v[18:19]
	v_cndmask_b32_e32 v24, v107, v119, vcc
	s_add_u32 s0, s29, s0
	v_add_co_u32_e32 v18, vcc, s38, v18
	s_addc_u32 s1, s35, s1
	v_addc_co_u32_e32 v19, vcc, v132, v19, vcc
	v_lshlrev_b32_e32 v42, 2, v20
	v_lshlrev_b32_e32 v41, 2, v21
	;; [unrolled: 1-line block ×4, first 2 shown]
	v_mov_b32_e32 v20, s1
	v_mov_b32_e32 v21, s1
	v_add_co_u32_e32 v22, vcc, s0, v110
	v_add_co_u32_e64 v23, s[0:1], s0, v108
	v_addc_co_u32_e64 v20, s[0:1], v20, v109, s[0:1]
	v_addc_co_u32_e32 v21, vcc, v21, v111, vcc
	v_add_co_u32_e64 v30, s[0:1], v23, v131
	v_lshlrev_b32_e32 v38, 2, v24
	v_add_co_u32_e32 v24, vcc, v22, v131
	v_addc_co_u32_e64 v31, s[0:1], 0, v20, s[0:1]
	v_addc_co_u32_e32 v25, vcc, 0, v21, vcc
	global_load_dwordx4 v[48:51], v[30:31], off
	global_load_dwordx4 v[52:55], v[24:25], off
	v_mov_b32_e32 v36, v0
	v_mov_b32_e32 v0, 0
	;; [unrolled: 1-line block ×8, first 2 shown]
	s_mul_hi_i32 s3, s22, s23
	s_mul_i32 s2, s22, s23
	s_lshl_b64 s[2:3], s[2:3], 2
	s_add_u32 s2, s37, s2
	s_addc_u32 s3, s40, s3
	v_mov_b32_e32 v20, s3
	v_add_co_u32_e32 v21, vcc, s2, v112
	v_mov_b32_e32 v22, s3
	v_add_co_u32_e64 v23, s[0:1], s2, v114
	v_addc_co_u32_e32 v20, vcc, v20, v113, vcc
	v_addc_co_u32_e64 v22, vcc, v22, v115, s[0:1]
	v_add_co_u32_e64 v28, s[0:1], v21, v128
	v_add_co_u32_e32 v26, vcc, v23, v128
	v_addc_co_u32_e64 v29, s[0:1], 0, v20, s[0:1]
	v_addc_co_u32_e32 v27, vcc, 0, v22, vcc
	v_max_f32_e32 v43, v35, v35
	v_max_f32_e32 v44, v37, v37
	;; [unrolled: 1-line block ×4, first 2 shown]
	s_or_b32 s8, s22, 16
	s_mul_hi_i32 s3, s8, s23
	s_mul_i32 s2, s8, s23
	s_lshl_b64 s[2:3], s[2:3], 2
	s_add_u32 s0, s37, s2
	s_addc_u32 s1, s40, s3
	v_mov_b32_e32 v20, s1
	v_mov_b32_e32 v21, s1
	v_add_co_u32_e32 v22, vcc, s0, v114
	s_waitcnt vmcnt(1)
	ds_write_b128 v124, v[48:51]
	s_waitcnt vmcnt(0)
	ds_write_b128 v125, v[52:55]
	s_waitcnt lgkmcnt(0)
	s_barrier
	ds_read_b128 v[48:51], v126
	ds_read_b128 v[52:55], v117
	ds_read_b128 v[56:59], v117 offset:512
	ds_read_b128 v[60:63], v117 offset:1024
	ds_read_b128 v[64:67], v117 offset:1536
	s_waitcnt lgkmcnt(3)
	;;#ASMSTART
	v_dot2_f32_f16 v0, v48, v52, v0
	;;#ASMEND
	;;#ASMSTART
	v_dot2_f32_f16 v0, v49, v53, v0
	;;#ASMEND
	;;#ASMSTART
	v_dot2_f32_f16 v0, v50, v54, v0
	;;#ASMEND
	;;#ASMSTART
	v_dot2_f32_f16 v0, v51, v55, v0
	;;#ASMEND
	s_waitcnt lgkmcnt(2)
	;;#ASMSTART
	v_dot2_f32_f16 v1, v48, v56, v1
	;;#ASMEND
	;;#ASMSTART
	v_dot2_f32_f16 v1, v49, v57, v1
	;;#ASMEND
	;;#ASMSTART
	v_dot2_f32_f16 v1, v50, v58, v1
	;;#ASMEND
	;;#ASMSTART
	v_dot2_f32_f16 v1, v51, v59, v1
	;;#ASMEND
	s_waitcnt lgkmcnt(1)
	;;#ASMSTART
	v_dot2_f32_f16 v2, v48, v60, v2
	;;#ASMEND
	;;#ASMSTART
	v_dot2_f32_f16 v2, v49, v61, v2
	;;#ASMEND
	;;#ASMSTART
	v_dot2_f32_f16 v2, v50, v62, v2
	;;#ASMEND
	;;#ASMSTART
	v_dot2_f32_f16 v2, v51, v63, v2
	;;#ASMEND
	s_waitcnt lgkmcnt(0)
	;;#ASMSTART
	v_dot2_f32_f16 v3, v48, v64, v3
	;;#ASMEND
	;;#ASMSTART
	v_dot2_f32_f16 v3, v49, v65, v3
	;;#ASMEND
	;;#ASMSTART
	v_dot2_f32_f16 v3, v50, v66, v3
	;;#ASMEND
	;;#ASMSTART
	v_dot2_f32_f16 v3, v51, v67, v3
	;;#ASMEND
	ds_read_b128 v[48:51], v126 offset:16
	ds_read_b128 v[52:55], v117 offset:16
	ds_read_b128 v[56:59], v117 offset:528
	ds_read_b128 v[60:63], v117 offset:1040
	ds_read_b128 v[64:67], v117 offset:1552
	s_waitcnt lgkmcnt(3)
	;;#ASMSTART
	v_dot2_f32_f16 v0, v48, v52, v0
	;;#ASMEND
	;;#ASMSTART
	v_dot2_f32_f16 v0, v49, v53, v0
	;;#ASMEND
	;;#ASMSTART
	v_dot2_f32_f16 v0, v50, v54, v0
	;;#ASMEND
	;;#ASMSTART
	v_dot2_f32_f16 v0, v51, v55, v0
	;;#ASMEND
	s_waitcnt lgkmcnt(2)
	;;#ASMSTART
	v_dot2_f32_f16 v1, v48, v56, v1
	;;#ASMEND
	;;#ASMSTART
	v_dot2_f32_f16 v1, v49, v57, v1
	;;#ASMEND
	;;#ASMSTART
	v_dot2_f32_f16 v1, v50, v58, v1
	;;#ASMEND
	;;#ASMSTART
	v_dot2_f32_f16 v1, v51, v59, v1
	;;#ASMEND
	s_waitcnt lgkmcnt(1)
	;;#ASMSTART
	v_dot2_f32_f16 v2, v48, v60, v2
	;;#ASMEND
	;;#ASMSTART
	v_dot2_f32_f16 v2, v49, v61, v2
	;;#ASMEND
	;;#ASMSTART
	v_dot2_f32_f16 v2, v50, v62, v2
	;;#ASMEND
	;;#ASMSTART
	v_dot2_f32_f16 v2, v51, v63, v2
	;;#ASMEND
	s_waitcnt lgkmcnt(0)
	;;#ASMSTART
	v_dot2_f32_f16 v3, v48, v64, v3
	;;#ASMEND
	;;#ASMSTART
	v_dot2_f32_f16 v3, v49, v65, v3
	;;#ASMEND
	;;#ASMSTART
	v_dot2_f32_f16 v3, v50, v66, v3
	;;#ASMEND
	;;#ASMSTART
	v_dot2_f32_f16 v3, v51, v67, v3
	;;#ASMEND
	ds_read_b128 v[48:51], v126 offset:32
	ds_read_b128 v[52:55], v117 offset:32
	;; [unrolled: 57-line block ×15, first 2 shown]
	ds_read_b128 v[56:59], v117 offset:752
	ds_read_b128 v[60:63], v117 offset:1264
	;; [unrolled: 1-line block ×3, first 2 shown]
	s_waitcnt lgkmcnt(3)
	;;#ASMSTART
	v_dot2_f32_f16 v0, v48, v52, v0
	;;#ASMEND
	;;#ASMSTART
	v_dot2_f32_f16 v0, v49, v53, v0
	;;#ASMEND
	;;#ASMSTART
	v_dot2_f32_f16 v0, v50, v54, v0
	;;#ASMEND
	;;#ASMSTART
	v_dot2_f32_f16 v0, v51, v55, v0
	;;#ASMEND
	s_waitcnt lgkmcnt(2)
	;;#ASMSTART
	v_dot2_f32_f16 v1, v48, v56, v1
	;;#ASMEND
	;;#ASMSTART
	v_dot2_f32_f16 v1, v49, v57, v1
	;;#ASMEND
	;;#ASMSTART
	v_dot2_f32_f16 v1, v50, v58, v1
	;;#ASMEND
	;;#ASMSTART
	v_dot2_f32_f16 v1, v51, v59, v1
	;;#ASMEND
	;; [unrolled: 13-line block ×4, first 2 shown]
	s_barrier
	global_load_dwordx4 v[48:51], v[30:31], off offset:256
	global_load_dwordx4 v[52:55], v[24:25], off offset:256
	s_waitcnt vmcnt(1)
	ds_write_b128 v124, v[48:51]
	s_waitcnt vmcnt(0)
	ds_write_b128 v125, v[52:55]
	s_waitcnt lgkmcnt(0)
	s_barrier
	ds_read_b128 v[48:51], v126
	ds_read_b128 v[52:55], v117 offset:256
	ds_read_b128 v[56:59], v117 offset:768
	ds_read_b128 v[60:63], v117 offset:1280
	ds_read_b128 v[64:67], v117 offset:1792
	s_waitcnt lgkmcnt(3)
	;;#ASMSTART
	v_dot2_f32_f16 v0, v48, v52, v0
	;;#ASMEND
	;;#ASMSTART
	v_dot2_f32_f16 v0, v49, v53, v0
	;;#ASMEND
	;;#ASMSTART
	v_dot2_f32_f16 v0, v50, v54, v0
	;;#ASMEND
	;;#ASMSTART
	v_dot2_f32_f16 v0, v51, v55, v0
	;;#ASMEND
	s_waitcnt lgkmcnt(2)
	;;#ASMSTART
	v_dot2_f32_f16 v1, v48, v56, v1
	;;#ASMEND
	;;#ASMSTART
	v_dot2_f32_f16 v1, v49, v57, v1
	;;#ASMEND
	;;#ASMSTART
	v_dot2_f32_f16 v1, v50, v58, v1
	;;#ASMEND
	;;#ASMSTART
	v_dot2_f32_f16 v1, v51, v59, v1
	;;#ASMEND
	s_waitcnt lgkmcnt(1)
	;;#ASMSTART
	v_dot2_f32_f16 v2, v48, v60, v2
	;;#ASMEND
	;;#ASMSTART
	v_dot2_f32_f16 v2, v49, v61, v2
	;;#ASMEND
	;;#ASMSTART
	v_dot2_f32_f16 v2, v50, v62, v2
	;;#ASMEND
	;;#ASMSTART
	v_dot2_f32_f16 v2, v51, v63, v2
	;;#ASMEND
	s_waitcnt lgkmcnt(0)
	;;#ASMSTART
	v_dot2_f32_f16 v3, v48, v64, v3
	;;#ASMEND
	;;#ASMSTART
	v_dot2_f32_f16 v3, v49, v65, v3
	;;#ASMEND
	;;#ASMSTART
	v_dot2_f32_f16 v3, v50, v66, v3
	;;#ASMEND
	;;#ASMSTART
	v_dot2_f32_f16 v3, v51, v67, v3
	;;#ASMEND
	ds_read_b128 v[48:51], v126 offset:16
	ds_read_b128 v[52:55], v117 offset:272
	ds_read_b128 v[56:59], v117 offset:784
	ds_read_b128 v[60:63], v117 offset:1296
	ds_read_b128 v[64:67], v117 offset:1808
	s_waitcnt lgkmcnt(3)
	;;#ASMSTART
	v_dot2_f32_f16 v0, v48, v52, v0
	;;#ASMEND
	;;#ASMSTART
	v_dot2_f32_f16 v0, v49, v53, v0
	;;#ASMEND
	;;#ASMSTART
	v_dot2_f32_f16 v0, v50, v54, v0
	;;#ASMEND
	;;#ASMSTART
	v_dot2_f32_f16 v0, v51, v55, v0
	;;#ASMEND
	s_waitcnt lgkmcnt(2)
	;;#ASMSTART
	v_dot2_f32_f16 v1, v48, v56, v1
	;;#ASMEND
	;;#ASMSTART
	v_dot2_f32_f16 v1, v49, v57, v1
	;;#ASMEND
	;;#ASMSTART
	v_dot2_f32_f16 v1, v50, v58, v1
	;;#ASMEND
	;;#ASMSTART
	v_dot2_f32_f16 v1, v51, v59, v1
	;;#ASMEND
	s_waitcnt lgkmcnt(1)
	;;#ASMSTART
	v_dot2_f32_f16 v2, v48, v60, v2
	;;#ASMEND
	;;#ASMSTART
	v_dot2_f32_f16 v2, v49, v61, v2
	;;#ASMEND
	;;#ASMSTART
	v_dot2_f32_f16 v2, v50, v62, v2
	;;#ASMEND
	;;#ASMSTART
	v_dot2_f32_f16 v2, v51, v63, v2
	;;#ASMEND
	s_waitcnt lgkmcnt(0)
	;;#ASMSTART
	v_dot2_f32_f16 v3, v48, v64, v3
	;;#ASMEND
	;;#ASMSTART
	v_dot2_f32_f16 v3, v49, v65, v3
	;;#ASMEND
	;;#ASMSTART
	v_dot2_f32_f16 v3, v50, v66, v3
	;;#ASMEND
	;;#ASMSTART
	v_dot2_f32_f16 v3, v51, v67, v3
	;;#ASMEND
	ds_read_b128 v[48:51], v126 offset:32
	;; [unrolled: 57-line block ×15, first 2 shown]
	ds_read_b128 v[52:55], v117 offset:496
	ds_read_b128 v[56:59], v117 offset:1008
	;; [unrolled: 1-line block ×4, first 2 shown]
	s_waitcnt lgkmcnt(3)
	;;#ASMSTART
	v_dot2_f32_f16 v0, v48, v52, v0
	;;#ASMEND
	;;#ASMSTART
	v_dot2_f32_f16 v0, v49, v53, v0
	;;#ASMEND
	;;#ASMSTART
	v_dot2_f32_f16 v0, v50, v54, v0
	;;#ASMEND
	;;#ASMSTART
	v_dot2_f32_f16 v0, v51, v55, v0
	;;#ASMEND
	s_waitcnt lgkmcnt(2)
	;;#ASMSTART
	v_dot2_f32_f16 v1, v48, v56, v1
	;;#ASMEND
	;;#ASMSTART
	v_dot2_f32_f16 v1, v49, v57, v1
	;;#ASMEND
	;;#ASMSTART
	v_dot2_f32_f16 v1, v50, v58, v1
	;;#ASMEND
	;;#ASMSTART
	v_dot2_f32_f16 v1, v51, v59, v1
	;;#ASMEND
	;; [unrolled: 13-line block ×4, first 2 shown]
	flat_load_ushort v18, v[18:19]
	s_waitcnt lgkmcnt(0)
	s_barrier
	global_load_dwordx4 v[48:51], v[28:29], off
	global_load_dwordx4 v[52:55], v[26:27], off
	v_add_co_u32_e64 v23, s[0:1], s0, v112
	v_addc_co_u32_e64 v47, s[0:1], v20, v113, s[0:1]
	v_addc_co_u32_e32 v21, vcc, v21, v115, vcc
	v_add_co_u32_e32 v20, vcc, v22, v128
	v_add_co_u32_e64 v22, s[0:1], v23, v128
	v_addc_co_u32_e64 v23, s[0:1], 0, v47, s[0:1]
	v_addc_co_u32_e32 v21, vcc, 0, v21, vcc
	s_waitcnt vmcnt(0)
	v_cvt_f32_f16_e32 v18, v18
	v_pk_add_f32 v[24:25], v[2:3], v[18:19] op_sel_hi:[1,0]
	v_pk_add_f32 v[18:19], v[0:1], v[18:19] op_sel_hi:[1,0]
	;; [unrolled: 1-line block ×4, first 2 shown]
	v_max_f32_e32 v3, v43, v3
	v_max_f32_e32 v2, v44, v2
	v_max_f32_e32 v1, v45, v1
	v_max_f32_e32 v0, v46, v0
	ds_bpermute_b32 v26, v42, v3
	ds_bpermute_b32 v27, v42, v2
	ds_bpermute_b32 v28, v42, v1
	ds_bpermute_b32 v29, v42, v0
	s_waitcnt lgkmcnt(3)
	v_max_f32_e32 v26, v26, v26
	s_waitcnt lgkmcnt(2)
	v_max_f32_e32 v27, v27, v27
	s_waitcnt lgkmcnt(1)
	v_max_f32_e32 v28, v28, v28
	s_waitcnt lgkmcnt(0)
	v_max_f32_e32 v29, v29, v29
	v_max_f32_e32 v3, v3, v26
	v_max_f32_e32 v2, v2, v27
	v_max_f32_e32 v1, v1, v28
	v_max_f32_e32 v0, v0, v29
	ds_bpermute_b32 v26, v41, v3
	ds_bpermute_b32 v27, v41, v2
	ds_bpermute_b32 v28, v41, v1
	ds_bpermute_b32 v29, v41, v0
	s_waitcnt lgkmcnt(3)
	v_max_f32_e32 v26, v26, v26
	s_waitcnt lgkmcnt(2)
	v_max_f32_e32 v27, v27, v27
	s_waitcnt lgkmcnt(1)
	v_max_f32_e32 v28, v28, v28
	s_waitcnt lgkmcnt(0)
	v_max_f32_e32 v29, v29, v29
	;; [unrolled: 16-line block ×5, first 2 shown]
	v_max_f32_e32 v0, v0, v26
	v_max_f32_e32 v1, v1, v27
	;; [unrolled: 1-line block ×4, first 2 shown]
	v_sub_f32_e32 v25, v25, v3
	v_sub_f32_e32 v24, v24, v2
	;; [unrolled: 1-line block ×8, first 2 shown]
	v_mul_f32_e32 v29, 0x3fb8aa3b, v18
	v_mul_f32_e32 v30, 0x3fb8aa3b, v19
	;; [unrolled: 1-line block ×8, first 2 shown]
	v_fma_f32 v40, v18, s39, -v29
	v_rndne_f32_e32 v41, v29
	v_fma_f32 v42, v19, s39, -v30
	v_rndne_f32_e32 v43, v30
	;; [unrolled: 2-line block ×8, first 2 shown]
	v_fmac_f32_e32 v40, 0x32a5705f, v18
	v_sub_f32_e32 v29, v29, v41
	v_fmac_f32_e32 v42, 0x32a5705f, v19
	v_sub_f32_e32 v30, v30, v43
	;; [unrolled: 2-line block ×8, first 2 shown]
	v_add_f32_e32 v29, v29, v40
	v_add_f32_e32 v30, v30, v42
	;; [unrolled: 1-line block ×5, first 2 shown]
	v_cvt_i32_f32_e32 v41, v41
	v_cvt_i32_f32_e32 v43, v43
	;; [unrolled: 1-line block ×5, first 2 shown]
	v_add_f32_e32 v37, v37, v58
	v_add_f32_e32 v38, v38, v60
	;; [unrolled: 1-line block ×3, first 2 shown]
	v_exp_f32_e32 v29, v29
	v_exp_f32_e32 v30, v30
	;; [unrolled: 1-line block ×5, first 2 shown]
	v_cvt_i32_f32_e32 v59, v59
	v_cvt_i32_f32_e32 v61, v61
	;; [unrolled: 1-line block ×3, first 2 shown]
	v_exp_f32_e32 v37, v37
	v_exp_f32_e32 v38, v38
	;; [unrolled: 1-line block ×3, first 2 shown]
	v_ldexp_f32 v29, v29, v41
	v_ldexp_f32 v30, v30, v43
	v_cmp_ngt_f32_e32 vcc, s41, v19
	v_ldexp_f32 v31, v31, v45
	v_cmp_ngt_f32_e64 s[0:1], s41, v24
	v_ldexp_f32 v35, v35, v47
	v_cmp_ngt_f32_e64 s[2:3], s41, v25
	;; [unrolled: 2-line block ×3, first 2 shown]
	v_cmp_ngt_f32_e64 s[16:17], s41, v18
	v_ldexp_f32 v37, v37, v59
	v_cmp_ngt_f32_e64 s[10:11], s41, v28
	v_ldexp_f32 v38, v38, v61
	;; [unrolled: 2-line block ×3, first 2 shown]
	v_cmp_ngt_f32_e64 s[14:15], s41, v26
	v_cndmask_b32_e64 v29, 0, v29, s[16:17]
	v_cndmask_b32_e32 v30, 0, v30, vcc
	v_cmp_nlt_f32_e32 vcc, s42, v19
	v_cndmask_b32_e64 v31, 0, v31, s[0:1]
	v_cmp_nlt_f32_e64 s[0:1], s42, v24
	v_cndmask_b32_e64 v35, 0, v35, s[2:3]
	v_cmp_nlt_f32_e64 s[2:3], s42, v25
	;; [unrolled: 2-line block ×3, first 2 shown]
	v_cmp_nlt_f32_e64 s[16:17], s42, v18
	v_cndmask_b32_e64 v17, 0, v37, s[10:11]
	v_cmp_nlt_f32_e64 s[10:11], s42, v28
	v_cndmask_b32_e64 v28, 0, v38, s[12:13]
	;; [unrolled: 2-line block ×4, first 2 shown]
	v_cndmask_b32_e32 v19, v133, v30, vcc
	v_cndmask_b32_e64 v24, v133, v31, s[0:1]
	v_cndmask_b32_e64 v25, v133, v35, s[2:3]
	;; [unrolled: 1-line block ×6, first 2 shown]
	v_cvt_f16_f32_e32 v139, v27
	v_cvt_f16_f32_e32 v17, v25
	;; [unrolled: 1-line block ×7, first 2 shown]
	v_pk_fma_f32 v[104:105], v[104:105], v[26:27], v[18:19]
	v_cvt_f16_f32_e32 v18, v29
	v_pk_mul_f16 v160, v139, v12 op_sel_hi:[0,1]
	v_pk_mul_f16 v161, v139, v13 op_sel_hi:[0,1]
	v_pack_b32_f16 v13, v30, v17
	v_pack_b32_f16 v12, v36, v31
	v_pk_fma_f32 v[102:103], v[102:103], v[28:29], v[24:25]
	v_pk_mul_f16 v157, v35, v16 op_sel_hi:[0,1]
	v_pk_mul_f16 v158, v35, v15 op_sel_hi:[0,1]
	v_pk_mul_f16 v159, v35, v14 op_sel_hi:[0,1]
	v_pk_mul_f16 v162, v139, v10 op_sel_hi:[0,1]
	v_pk_mul_f16 v163, v156, v8 op_sel_hi:[0,1]
	v_pk_mul_f16 v164, v156, v11 op_sel_hi:[0,1]
	v_pk_mul_f16 v165, v156, v6 op_sel_hi:[0,1]
	v_pk_mul_f16 v166, v18, v9 op_sel_hi:[0,1]
	v_pk_mul_f16 v167, v18, v4 op_sel_hi:[0,1]
	v_pk_mul_f16 v168, v18, v7 op_sel_hi:[0,1]
	v_pk_mul_f16 v169, v18, v5 op_sel_hi:[0,1]
	ds_write_b64 v134, v[12:13]
	ds_write_b128 v129, v[48:51]
	ds_write_b128 v130, v[52:55]
	s_waitcnt lgkmcnt(0)
	s_barrier
	ds_read2_b64 v[24:27], v135 offset1:32
	ds_read_b128 v[28:31], v127
	ds_read_b128 v[36:39], v127 offset:16
	ds_read_b128 v[40:43], v127 offset:32
	;; [unrolled: 1-line block ×3, first 2 shown]
	ds_read2_b64 v[48:51], v135 offset0:64 offset1:96
	ds_read2_b64 v[52:55], v135 offset0:128 offset1:160
	;; [unrolled: 1-line block ×3, first 2 shown]
	ds_read2_b64 v[60:63], v136 offset1:32
	ds_read2_b64 v[64:67], v136 offset0:64 offset1:96
	ds_read2_b64 v[68:71], v136 offset0:128 offset1:160
	;; [unrolled: 1-line block ×3, first 2 shown]
	ds_read2_b64 v[76:79], v137 offset1:32
	ds_read2_b64 v[80:83], v137 offset0:64 offset1:96
	ds_read2_b64 v[84:87], v137 offset0:128 offset1:160
	ds_read_b128 v[88:91], v127 offset:64
	ds_read_b128 v[92:95], v127 offset:80
	ds_read2_b64 v[96:99], v137 offset0:192 offset1:224
	ds_read2_b64 v[140:143], v138 offset1:32
	ds_read2_b64 v[144:147], v138 offset0:64 offset1:96
	ds_read2_b64 v[148:151], v138 offset0:128 offset1:160
	ds_read_b128 v[152:155], v127 offset:96
	ds_read_b128 v[4:7], v127 offset:112
	ds_read2_b64 v[8:11], v138 offset0:192 offset1:224
	s_waitcnt lgkmcnt(0)
	s_barrier
	global_load_dwordx4 v[12:15], v[22:23], off
	global_load_dwordx4 v[16:19], v[20:21], off
	v_pk_mul_f16 v20, v24, v28 op_sel_hi:[1,0]
	v_pk_mul_f16 v21, v24, v28 op_sel:[0,1]
	v_pk_mul_f16 v22, v24, v29 op_sel_hi:[1,0]
	v_pk_fma_f16 v23, v24, v29, v166 op_sel:[0,1,0]
	v_pk_fma_f16 v24, v25, v28, v157 op_sel_hi:[1,0,1]
	v_pk_fma_f16 v157, v25, v28, v160 op_sel:[0,1,0]
	v_pk_fma_f16 v160, v25, v29, v163 op_sel_hi:[1,0,1]
	;; [unrolled: 2-line block ×7, first 2 shown]
	v_pk_fma_f16 v21, v139, v33, v21 op_sel_hi:[0,1,1]
	v_pk_fma_f16 v22, v156, v32, v22 op_sel_hi:[0,1,1]
	v_pk_fma_f16 v23, v48, v31, v23 op_sel:[0,1,0]
	v_pk_fma_f16 v24, v49, v30, v24 op_sel_hi:[1,0,1]
	v_pk_fma_f16 v29, v49, v30, v157 op_sel:[0,1,0]
	;; [unrolled: 2-line block ×120, first 2 shown]
	v_pk_fma_f16 v154, v8, v7, v5 op_sel_hi:[1,0,1]
	s_waitcnt vmcnt(1)
	ds_write_b128 v129, v[12:15]
	s_waitcnt vmcnt(0)
	ds_write_b128 v130, v[16:19]
	s_waitcnt lgkmcnt(0)
	s_barrier
	ds_read2_b64 v[20:23], v135 offset1:32
	ds_read_b128 v[16:19], v127 offset:128
	ds_read_b128 v[12:15], v127 offset:144
	;; [unrolled: 1-line block ×4, first 2 shown]
	ds_read2_b64 v[24:27], v135 offset0:64 offset1:96
	ds_read2_b64 v[28:31], v135 offset0:128 offset1:160
	;; [unrolled: 1-line block ×3, first 2 shown]
	ds_read2_b64 v[36:39], v136 offset1:32
	ds_read2_b64 v[40:43], v136 offset0:64 offset1:96
	ds_read2_b64 v[44:47], v136 offset0:128 offset1:160
	;; [unrolled: 1-line block ×3, first 2 shown]
	ds_read2_b64 v[56:59], v137 offset1:32
	ds_read2_b64 v[60:63], v137 offset0:64 offset1:96
	ds_read2_b64 v[64:67], v137 offset0:128 offset1:160
	ds_read_b128 v[88:91], v127 offset:192
	ds_read_b128 v[48:51], v127 offset:208
	ds_read2_b64 v[72:75], v137 offset0:192 offset1:224
	ds_read2_b64 v[76:79], v138 offset1:32
	ds_read2_b64 v[80:83], v138 offset0:64 offset1:96
	ds_read2_b64 v[84:87], v138 offset0:128 offset1:160
	ds_read_b128 v[96:99], v127 offset:224
	ds_read_b128 v[68:71], v127 offset:240
	ds_read2_b64 v[92:95], v138 offset0:192 offset1:224
	s_waitcnt lgkmcnt(14)
	v_pk_fma_f16 v152, v20, v16, v152 op_sel_hi:[1,0,1]
	v_pk_fma_f16 v153, v20, v16, v153 op_sel:[0,1,0]
	v_pk_fma_f16 v154, v20, v17, v154 op_sel_hi:[1,0,1]
	v_pk_fma_f16 v20, v20, v17, v139 op_sel:[0,1,0]
	;; [unrolled: 2-line block ×48, first 2 shown]
	s_waitcnt lgkmcnt(13)
	v_pk_fma_f16 v11, v44, v4, v13 op_sel_hi:[1,0,1]
	v_pk_fma_f16 v12, v44, v4, v14 op_sel:[0,1,0]
	v_pk_fma_f16 v13, v44, v5, v15 op_sel_hi:[1,0,1]
	v_pk_fma_f16 v14, v44, v5, v16 op_sel:[0,1,0]
	;; [unrolled: 2-line block ×8, first 2 shown]
	s_waitcnt lgkmcnt(12)
	v_pk_fma_f16 v9, v52, v6, v11 op_sel_hi:[1,0,1]
	v_pk_fma_f16 v10, v52, v6, v12 op_sel:[0,1,0]
	v_pk_fma_f16 v11, v52, v7, v13 op_sel_hi:[1,0,1]
	v_pk_fma_f16 v12, v52, v7, v14 op_sel:[0,1,0]
	;; [unrolled: 2-line block ×8, first 2 shown]
	s_waitcnt lgkmcnt(0)
	s_barrier
	s_load_dword s0, s[18:19], 0x4
	v_pk_fma_f16 v7, v56, v88, v9 op_sel_hi:[1,0,1]
	v_pk_fma_f16 v8, v56, v88, v10 op_sel:[0,1,0]
	v_pk_fma_f16 v9, v56, v89, v11 op_sel_hi:[1,0,1]
	v_pk_fma_f16 v10, v56, v89, v12 op_sel:[0,1,0]
	;; [unrolled: 2-line block ×40, first 2 shown]
	s_waitcnt lgkmcnt(0)
	s_lshl_b32 s0, s0, 5
	v_pk_fma_f16 v7, v80, v98, v7 op_sel_hi:[1,0,1]
	v_pk_fma_f16 v8, v80, v98, v8 op_sel:[0,1,0]
	v_pk_fma_f16 v9, v80, v99, v9 op_sel_hi:[1,0,1]
	v_pk_fma_f16 v10, v80, v99, v10 op_sel:[0,1,0]
	;; [unrolled: 2-line block ×8, first 2 shown]
	s_add_i32 s22, s0, s22
	v_pk_fma_f16 v7, v84, v68, v7 op_sel_hi:[1,0,1]
	v_pk_fma_f16 v8, v84, v68, v8 op_sel:[0,1,0]
	v_pk_fma_f16 v9, v84, v69, v9 op_sel_hi:[1,0,1]
	v_pk_fma_f16 v10, v84, v69, v10 op_sel:[0,1,0]
	;; [unrolled: 2-line block ×8, first 2 shown]
	s_cmp_ge_i32 s22, s36
	v_pk_fma_f16 v34, v92, v70, v7 op_sel_hi:[1,0,1]
	v_pk_fma_f16 v33, v92, v70, v8 op_sel:[0,1,0]
	v_pk_fma_f16 v32, v92, v71, v9 op_sel_hi:[1,0,1]
	v_pk_fma_f16 v9, v92, v71, v10 op_sel:[0,1,0]
	;; [unrolled: 2-line block ×8, first 2 shown]
	s_cbranch_scc0 .LBB13_9
.LBB13_10:
	v_cmp_lt_i32_e32 vcc, v121, v118
	v_cndmask_b32_e32 v17, v107, v121, vcc
	v_cmp_lt_i32_e32 vcc, v122, v118
	v_cndmask_b32_e32 v18, v107, v122, vcc
	v_cmp_lt_i32_e32 vcc, v123, v118
	v_lshlrev_b32_e32 v17, 2, v17
	v_lshlrev_b32_e32 v25, 2, v18
	v_cndmask_b32_e32 v18, v107, v123, vcc
	v_lshlrev_b32_e32 v26, 2, v18
	ds_bpermute_b32 v18, v17, v104
	ds_bpermute_b32 v19, v17, v105
	;; [unrolled: 1-line block ×4, first 2 shown]
	v_cmp_lt_i32_e32 vcc, v120, v118
	v_cndmask_b32_e32 v17, v107, v120, vcc
	s_waitcnt lgkmcnt(2)
	v_pk_add_f32 v[18:19], v[104:105], v[18:19]
	ds_bpermute_b32 v22, v25, v18
	s_waitcnt lgkmcnt(1)
	v_pk_add_f32 v[20:21], v[102:103], v[20:21]
	ds_bpermute_b32 v23, v25, v19
	ds_bpermute_b32 v24, v25, v20
	;; [unrolled: 1-line block ×3, first 2 shown]
	v_lshlrev_b32_e32 v17, 2, v17
	v_cmp_lt_i32_e32 vcc, v119, v118
	s_waitcnt lgkmcnt(2)
	v_pk_add_f32 v[18:19], v[18:19], v[22:23]
	ds_bpermute_b32 v22, v26, v18
	s_waitcnt lgkmcnt(1)
	v_pk_add_f32 v[20:21], v[20:21], v[24:25]
	ds_bpermute_b32 v23, v26, v19
	ds_bpermute_b32 v24, v26, v20
	;; [unrolled: 1-line block ×3, first 2 shown]
	v_cndmask_b32_e32 v26, v107, v119, vcc
	s_cmp_lg_u64 s[20:21], 0
	s_waitcnt lgkmcnt(2)
	v_pk_add_f32 v[18:19], v[18:19], v[22:23]
	ds_bpermute_b32 v22, v17, v18
	s_waitcnt lgkmcnt(1)
	v_pk_add_f32 v[20:21], v[20:21], v[24:25]
	ds_bpermute_b32 v23, v17, v19
	ds_bpermute_b32 v24, v17, v20
	;; [unrolled: 1-line block ×3, first 2 shown]
	v_lshlrev_b32_e32 v17, 2, v26
	s_cselect_b64 s[0:1], -1, 0
	s_waitcnt lgkmcnt(2)
	v_pk_add_f32 v[18:19], v[18:19], v[22:23]
	ds_bpermute_b32 v22, v17, v18
	s_waitcnt lgkmcnt(1)
	v_pk_add_f32 v[24:25], v[20:21], v[24:25]
	ds_bpermute_b32 v23, v17, v19
	ds_bpermute_b32 v26, v17, v24
	;; [unrolled: 1-line block ×3, first 2 shown]
	s_cmp_eq_u32 s7, 0
	s_cselect_b64 s[2:3], -1, 0
	s_and_b64 s[0:1], s[2:3], s[0:1]
	s_waitcnt lgkmcnt(2)
	v_pk_add_f32 v[20:21], v[18:19], v[22:23]
	s_waitcnt lgkmcnt(0)
	v_pk_add_f32 v[18:19], v[24:25], v[26:27]
	s_and_b64 vcc, exec, s[0:1]
	s_cbranch_vccz .LBB13_12
; %bb.11:
	s_ashr_i32 s35, s34, 31
	s_lshl_b64 s[0:1], s[34:35], 2
	s_add_u32 s0, s20, s0
	s_addc_u32 s1, s21, s1
	v_mov_b32_e32 v17, 0
	global_load_dwordx4 v[22:25], v17, s[0:1]
	v_max_f32_e32 v17, v1, v1
	v_max_f32_e32 v26, v0, v0
	;; [unrolled: 1-line block ×4, first 2 shown]
	s_mov_b32 s2, 0x3fb8aa3b
	s_mov_b32 s0, 0xc2ce8ed0
	;; [unrolled: 1-line block ×3, first 2 shown]
	v_mov_b32_e32 v30, 0x7f800000
	s_waitcnt vmcnt(0)
	v_max_f32_e32 v27, v23, v23
	v_max_f32_e32 v29, v22, v22
	;; [unrolled: 1-line block ×6, first 2 shown]
	v_pk_add_f32 v[0:1], v[0:1], v[26:27] neg_lo:[0,1] neg_hi:[0,1]
	v_max_f32_e32 v29, v28, v35
	v_max_f32_e32 v28, v31, v36
	v_mul_f32_e32 v17, 0x3fb8aa3b, v1
	v_pk_add_f32 v[2:3], v[2:3], v[28:29] neg_lo:[0,1] neg_hi:[0,1]
	v_mul_f32_e32 v31, 0x3fb8aa3b, v0
	v_fma_f32 v38, v1, s2, -v17
	v_rndne_f32_e32 v39, v17
	v_mul_f32_e32 v35, 0x3fb8aa3b, v3
	v_fma_f32 v40, v0, s2, -v31
	v_rndne_f32_e32 v41, v31
	v_fmac_f32_e32 v38, 0x32a5705f, v1
	v_sub_f32_e32 v17, v17, v39
	v_mul_f32_e32 v36, 0x3fb8aa3b, v2
	v_fma_f32 v42, v3, s2, -v35
	v_rndne_f32_e32 v43, v35
	v_fmac_f32_e32 v40, 0x32a5705f, v0
	v_sub_f32_e32 v31, v31, v41
	v_add_f32_e32 v17, v17, v38
	v_fma_f32 v44, v2, s2, -v36
	v_rndne_f32_e32 v45, v36
	v_cvt_i32_f32_e32 v39, v39
	v_fmac_f32_e32 v42, 0x32a5705f, v3
	v_sub_f32_e32 v35, v35, v43
	v_add_f32_e32 v31, v31, v40
	v_exp_f32_e32 v17, v17
	v_cvt_i32_f32_e32 v41, v41
	v_fmac_f32_e32 v44, 0x32a5705f, v2
	v_sub_f32_e32 v36, v36, v45
	v_add_f32_e32 v35, v35, v42
	v_exp_f32_e32 v31, v31
	v_cvt_i32_f32_e32 v43, v43
	v_add_f32_e32 v36, v36, v44
	v_exp_f32_e32 v35, v35
	v_cvt_i32_f32_e32 v45, v45
	v_exp_f32_e32 v36, v36
	v_ldexp_f32 v17, v17, v39
	v_cmp_ngt_f32_e32 vcc, s0, v1
	v_ldexp_f32 v31, v31, v41
	v_cndmask_b32_e32 v17, 0, v17, vcc
	v_cmp_ngt_f32_e32 vcc, s0, v0
	v_ldexp_f32 v35, v35, v43
	v_cndmask_b32_e32 v31, 0, v31, vcc
	;; [unrolled: 3-line block ×3, first 2 shown]
	v_cmp_ngt_f32_e32 vcc, s0, v2
	v_cndmask_b32_e32 v36, 0, v36, vcc
	v_cmp_nlt_f32_e32 vcc, s1, v1
	v_cndmask_b32_e32 v1, v30, v17, vcc
	v_cmp_nlt_f32_e32 vcc, s1, v0
	;; [unrolled: 2-line block ×4, first 2 shown]
	v_cndmask_b32_e32 v2, v30, v36, vcc
	v_cvt_f16_f32_e32 v31, v1
	v_pk_add_f32 v[24:25], v[24:25], v[28:29] neg_lo:[0,1] neg_hi:[0,1]
	v_cvt_f16_f32_e32 v35, v2
	v_cvt_f16_f32_e32 v36, v3
	v_mul_f32_e32 v37, 0x3fb8aa3b, v25
	v_fma_f32 v46, v25, s2, -v37
	v_rndne_f32_e32 v47, v37
	v_fmac_f32_e32 v46, 0x32a5705f, v25
	v_sub_f32_e32 v37, v37, v47
	v_pk_mul_f16 v33, v31, v33 op_sel_hi:[0,1]
	v_pk_mul_f16 v12, v31, v12 op_sel_hi:[0,1]
	;; [unrolled: 1-line block ×4, first 2 shown]
	v_mul_f32_e32 v31, 0x3fb8aa3b, v24
	v_add_f32_e32 v37, v37, v46
	v_pk_mul_f16 v32, v35, v32 op_sel_hi:[0,1]
	v_pk_mul_f16 v8, v35, v8 op_sel_hi:[0,1]
	;; [unrolled: 1-line block ×8, first 2 shown]
	v_fma_f32 v35, v24, s2, -v31
	v_rndne_f32_e32 v36, v31
	v_cvt_i32_f32_e32 v47, v47
	v_exp_f32_e32 v37, v37
	v_cvt_f16_f32_e32 v17, v0
	v_fmac_f32_e32 v35, 0x32a5705f, v24
	v_sub_f32_e32 v31, v31, v36
	v_add_f32_e32 v31, v31, v35
	v_exp_f32_e32 v31, v31
	v_cvt_i32_f32_e32 v35, v36
	v_pk_mul_f16 v34, v17, v34 op_sel_hi:[0,1]
	v_pk_mul_f16 v16, v17, v16 op_sel_hi:[0,1]
	;; [unrolled: 1-line block ×4, first 2 shown]
	v_ldexp_f32 v17, v37, v47
	v_cmp_ngt_f32_e32 vcc, s0, v25
	v_pk_add_f32 v[22:23], v[22:23], v[26:27] neg_lo:[0,1] neg_hi:[0,1]
	v_cndmask_b32_e32 v17, 0, v17, vcc
	v_cmp_nlt_f32_e32 vcc, s1, v25
	v_cndmask_b32_e32 v25, v30, v17, vcc
	v_ldexp_f32 v17, v31, v35
	v_mul_f32_e32 v31, 0x3fb8aa3b, v23
	v_fma_f32 v35, v23, s2, -v31
	v_rndne_f32_e32 v36, v31
	v_fmac_f32_e32 v35, 0x32a5705f, v23
	v_sub_f32_e32 v31, v31, v36
	v_add_f32_e32 v31, v31, v35
	v_exp_f32_e32 v31, v31
	v_cvt_i32_f32_e32 v35, v36
	v_cmp_ngt_f32_e32 vcc, s0, v24
	v_cndmask_b32_e32 v17, 0, v17, vcc
	v_cmp_nlt_f32_e32 vcc, s1, v24
	v_cndmask_b32_e32 v24, v30, v17, vcc
	v_ldexp_f32 v17, v31, v35
	v_mul_f32_e32 v31, 0x3fb8aa3b, v22
	v_fma_f32 v35, v22, s2, -v31
	v_rndne_f32_e32 v36, v31
	v_fmac_f32_e32 v35, 0x32a5705f, v22
	v_sub_f32_e32 v31, v31, v36
	v_add_f32_e32 v31, v31, v35
	v_exp_f32_e32 v31, v31
	v_cvt_i32_f32_e32 v35, v36
	v_cmp_ngt_f32_e32 vcc, s0, v23
	v_cndmask_b32_e32 v17, 0, v17, vcc
	v_cmp_nlt_f32_e32 vcc, s1, v23
	v_cndmask_b32_e32 v23, v30, v17, vcc
	v_ldexp_f32 v17, v31, v35
	v_cmp_ngt_f32_e32 vcc, s0, v22
	v_cndmask_b32_e32 v17, 0, v17, vcc
	v_cmp_nlt_f32_e32 vcc, s1, v22
	v_cndmask_b32_e32 v22, v30, v17, vcc
	v_pk_fma_f32 v[18:19], v[18:19], v[2:3], v[24:25]
	v_pk_fma_f32 v[20:21], v[20:21], v[0:1], v[22:23]
	v_pk_mov_b32 v[0:1], v[26:27], v[26:27] op_sel:[0,1]
	v_pk_mov_b32 v[2:3], v[28:29], v[28:29] op_sel:[0,1]
.LBB13_12:
	v_cmp_gt_i32_e32 vcc, s30, v116
	s_and_saveexec_b64 s[0:1], vcc
	s_cbranch_execz .LBB13_29
; %bb.13:
	s_load_dword s6, s[4:5], 0xd4
	v_mov_b32_e32 v24, 1.0
	s_waitcnt lgkmcnt(0)
	s_cmp_lg_u32 s6, 1
	s_cselect_b64 s[0:1], -1, 0
	s_cmp_eq_u32 s6, 1
	s_cselect_b64 s[4:5], -1, 0
	s_and_b64 vcc, exec, s[0:1]
	s_cbranch_vccnz .LBB13_15
; %bb.14:
	v_div_scale_f32 v17, s[2:3], v20, v20, 1.0
	v_rcp_f32_e32 v22, v17
	v_div_scale_f32 v23, vcc, 1.0, v20, 1.0
	v_fma_f32 v24, -v17, v22, 1.0
	v_fmac_f32_e32 v22, v24, v22
	v_mul_f32_e32 v24, v23, v22
	v_fma_f32 v25, -v17, v24, v23
	v_fmac_f32_e32 v24, v25, v22
	v_fma_f32 v17, -v17, v24, v23
	v_div_fmas_f32 v17, v17, v22, v24
	v_div_fixup_f32 v24, v17, v20, 1.0
.LBB13_15:
	s_mul_i32 s33, s33, s30
	v_add_u32_e32 v17, s33, v116
	v_mul_lo_u32 v17, v17, s31
	v_add_u32_e32 v17, s34, v17
	v_mul_lo_u32 v17, s6, v17
	v_add_u32_e32 v22, s7, v17
	v_cvt_f32_f16_sdwa v29, v34 dst_sel:DWORD dst_unused:UNUSED_PAD src0_sel:WORD_1
	v_cvt_f32_f16_e32 v28, v34
	v_cvt_f32_f16_sdwa v17, v16 dst_sel:DWORD dst_unused:UNUSED_PAD src0_sel:WORD_1
	v_cvt_f32_f16_e32 v16, v16
	v_lshl_add_u32 v30, v22, 8, v101
	v_mov_b32_e32 v31, 0
	v_cmp_eq_u32_e32 vcc, 0, v100
	v_lshlrev_b64 v[26:27], 2, v[30:31]
	s_and_b64 s[2:3], vcc, s[0:1]
	v_mov_b32_e32 v23, s25
	v_add_co_u32_e32 v34, vcc, s24, v26
	v_addc_co_u32_e32 v35, vcc, v23, v27, vcc
	v_pk_mul_f32 v[26:27], v[24:25], v[28:29] op_sel_hi:[0,1]
	v_pk_mul_f32 v[28:29], v[24:25], v[16:17] op_sel_hi:[0,1]
	global_store_dwordx4 v[34:35], v[26:29], off
	v_add_u32_e32 v30, 0x80, v30
	v_cvt_f32_f16_sdwa v27, v15 dst_sel:DWORD dst_unused:UNUSED_PAD src0_sel:WORD_1
	v_cvt_f32_f16_e32 v26, v15
	v_cvt_f32_f16_sdwa v29, v14 dst_sel:DWORD dst_unused:UNUSED_PAD src0_sel:WORD_1
	v_cvt_f32_f16_e32 v28, v14
	v_lshlrev_b64 v[16:17], 2, v[30:31]
	v_add_co_u32_e32 v30, vcc, s24, v16
	v_addc_co_u32_e32 v31, vcc, v23, v17, vcc
	v_pk_mul_f32 v[14:15], v[24:25], v[26:27] op_sel_hi:[0,1]
	v_pk_mul_f32 v[16:17], v[24:25], v[28:29] op_sel_hi:[0,1]
	global_store_dwordx4 v[30:31], v[14:17], off
	s_and_saveexec_b64 s[0:1], s[2:3]
	s_cbranch_execz .LBB13_17
; %bb.16:
	v_ashrrev_i32_e32 v23, 31, v22
	v_lshlrev_b64 v[14:15], 3, v[22:23]
	v_mov_b32_e32 v16, s27
	v_add_co_u32_e32 v14, vcc, s26, v14
	v_addc_co_u32_e32 v15, vcc, v16, v15, vcc
	v_mov_b32_e32 v16, v0
	v_mov_b32_e32 v17, v20
	global_store_dwordx2 v[14:15], v[16:17], off
.LBB13_17:
	s_or_b64 exec, exec, s[0:1]
	v_cndmask_b32_e64 v0, 0, 1, s[4:5]
	v_cmp_ne_u32_e64 s[0:1], 1, v0
	s_andn2_b64 vcc, exec, s[4:5]
	v_mov_b32_e32 v0, 1.0
	s_cbranch_vccnz .LBB13_19
; %bb.18:
	v_div_scale_f32 v0, s[4:5], v21, v21, 1.0
	v_rcp_f32_e32 v14, v0
	v_div_scale_f32 v15, vcc, 1.0, v21, 1.0
	v_fma_f32 v16, -v0, v14, 1.0
	v_fmac_f32_e32 v14, v16, v14
	v_mul_f32_e32 v16, v15, v14
	v_fma_f32 v17, -v0, v16, v15
	v_fmac_f32_e32 v16, v17, v14
	v_fma_f32 v0, -v0, v16, v15
	v_div_fmas_f32 v0, v0, v14, v16
	v_div_fixup_f32 v0, v0, v21, 1.0
.LBB13_19:
	v_add_u32_e32 v14, s6, v22
	v_cvt_f32_f16_sdwa v25, v33 dst_sel:DWORD dst_unused:UNUSED_PAD src0_sel:WORD_1
	v_cvt_f32_f16_e32 v24, v33
	v_cvt_f32_f16_sdwa v27, v12 dst_sel:DWORD dst_unused:UNUSED_PAD src0_sel:WORD_1
	v_cvt_f32_f16_e32 v26, v12
	v_lshl_add_u32 v16, v14, 8, v101
	v_mov_b32_e32 v17, 0
	v_lshlrev_b64 v[22:23], 2, v[16:17]
	v_mov_b32_e32 v15, s25
	v_add_co_u32_e32 v28, vcc, s24, v22
	v_addc_co_u32_e32 v29, vcc, v15, v23, vcc
	v_pk_mul_f32 v[22:23], v[0:1], v[24:25] op_sel_hi:[0,1]
	v_pk_mul_f32 v[24:25], v[0:1], v[26:27] op_sel_hi:[0,1]
	global_store_dwordx4 v[28:29], v[22:25], off
	v_cvt_f32_f16_e32 v12, v10
	v_cvt_f32_f16_sdwa v23, v13 dst_sel:DWORD dst_unused:UNUSED_PAD src0_sel:WORD_1
	v_cvt_f32_f16_e32 v22, v13
	v_cvt_f32_f16_sdwa v13, v10 dst_sel:DWORD dst_unused:UNUSED_PAD src0_sel:WORD_1
	v_add_u32_e32 v16, 0x80, v16
	v_lshlrev_b64 v[16:17], 2, v[16:17]
	v_add_co_u32_e32 v16, vcc, s24, v16
	v_addc_co_u32_e32 v17, vcc, v15, v17, vcc
	v_pk_mul_f32 v[22:23], v[0:1], v[22:23] op_sel_hi:[0,1]
	v_pk_mul_f32 v[24:25], v[0:1], v[12:13] op_sel_hi:[0,1]
	global_store_dwordx4 v[16:17], v[22:25], off
	s_and_saveexec_b64 s[4:5], s[2:3]
	s_cbranch_execz .LBB13_21
; %bb.20:
	v_ashrrev_i32_e32 v15, 31, v14
	v_lshlrev_b64 v[12:13], 3, v[14:15]
	v_mov_b32_e32 v0, s27
	v_add_co_u32_e32 v12, vcc, s26, v12
	v_addc_co_u32_e32 v13, vcc, v0, v13, vcc
	v_mov_b32_e32 v20, v1
	global_store_dwordx2 v[12:13], v[20:21], off
.LBB13_21:
	s_or_b64 exec, exec, s[4:5]
	s_and_b64 vcc, exec, s[0:1]
	v_mov_b32_e32 v10, 1.0
	s_cbranch_vccnz .LBB13_23
; %bb.22:
	v_div_scale_f32 v0, s[4:5], v18, v18, 1.0
	v_rcp_f32_e32 v1, v0
	v_div_scale_f32 v10, vcc, 1.0, v18, 1.0
	v_fma_f32 v12, -v0, v1, 1.0
	v_fmac_f32_e32 v1, v12, v1
	v_mul_f32_e32 v12, v10, v1
	v_fma_f32 v13, -v0, v12, v10
	v_fmac_f32_e32 v12, v13, v1
	v_fma_f32 v0, -v0, v12, v10
	v_div_fmas_f32 v0, v0, v1, v12
	v_div_fixup_f32 v10, v0, v18, 1.0
.LBB13_23:
	v_add_u32_e32 v0, s6, v14
	v_cvt_f32_f16_sdwa v15, v32 dst_sel:DWORD dst_unused:UNUSED_PAD src0_sel:WORD_1
	v_cvt_f32_f16_e32 v14, v32
	v_cvt_f32_f16_sdwa v21, v8 dst_sel:DWORD dst_unused:UNUSED_PAD src0_sel:WORD_1
	v_cvt_f32_f16_e32 v20, v8
	v_lshl_add_u32 v16, v0, 8, v101
	v_mov_b32_e32 v17, 0
	v_lshlrev_b64 v[12:13], 2, v[16:17]
	v_mov_b32_e32 v1, s25
	v_add_co_u32_e32 v22, vcc, s24, v12
	v_addc_co_u32_e32 v23, vcc, v1, v13, vcc
	v_pk_mul_f32 v[12:13], v[10:11], v[14:15] op_sel_hi:[0,1]
	v_pk_mul_f32 v[14:15], v[10:11], v[20:21] op_sel_hi:[0,1]
	v_add_u32_e32 v16, 0x80, v16
	global_store_dwordx4 v[22:23], v[12:15], off
	s_nop 0
	v_lshlrev_b64 v[12:13], 2, v[16:17]
	v_cvt_f32_f16_sdwa v15, v11 dst_sel:DWORD dst_unused:UNUSED_PAD src0_sel:WORD_1
	v_cvt_f32_f16_e32 v14, v11
	v_cvt_f32_f16_sdwa v17, v6 dst_sel:DWORD dst_unused:UNUSED_PAD src0_sel:WORD_1
	v_cvt_f32_f16_e32 v16, v6
	v_add_co_u32_e32 v20, vcc, s24, v12
	v_addc_co_u32_e32 v21, vcc, v1, v13, vcc
	v_pk_mul_f32 v[12:13], v[10:11], v[14:15] op_sel_hi:[0,1]
	v_pk_mul_f32 v[14:15], v[10:11], v[16:17] op_sel_hi:[0,1]
	global_store_dwordx4 v[20:21], v[12:15], off
	s_and_saveexec_b64 s[4:5], s[2:3]
	s_cbranch_execz .LBB13_25
; %bb.24:
	v_ashrrev_i32_e32 v1, 31, v0
	v_lshlrev_b64 v[10:11], 3, v[0:1]
	v_mov_b32_e32 v1, s27
	v_add_co_u32_e32 v10, vcc, s26, v10
	v_addc_co_u32_e32 v11, vcc, v1, v11, vcc
	v_mov_b32_e32 v12, v2
	v_mov_b32_e32 v13, v18
	global_store_dwordx2 v[10:11], v[12:13], off
.LBB13_25:
	s_or_b64 exec, exec, s[4:5]
	s_and_b64 vcc, exec, s[0:1]
	v_mov_b32_e32 v2, 1.0
	s_cbranch_vccnz .LBB13_27
; %bb.26:
	v_div_scale_f32 v1, s[0:1], v19, v19, 1.0
	v_rcp_f32_e32 v2, v1
	v_div_scale_f32 v6, vcc, 1.0, v19, 1.0
	v_fma_f32 v8, -v1, v2, 1.0
	v_fmac_f32_e32 v2, v8, v2
	v_mul_f32_e32 v8, v6, v2
	v_fma_f32 v10, -v1, v8, v6
	v_fmac_f32_e32 v8, v10, v2
	v_fma_f32 v1, -v1, v8, v6
	v_div_fmas_f32 v1, v1, v2, v8
	v_div_fixup_f32 v2, v1, v19, 1.0
.LBB13_27:
	v_add_u32_e32 v0, s6, v0
	v_cvt_f32_f16_sdwa v15, v9 dst_sel:DWORD dst_unused:UNUSED_PAD src0_sel:WORD_1
	v_cvt_f32_f16_e32 v14, v9
	v_cvt_f32_f16_sdwa v17, v4 dst_sel:DWORD dst_unused:UNUSED_PAD src0_sel:WORD_1
	v_cvt_f32_f16_e32 v16, v4
	v_lshl_add_u32 v12, v0, 8, v101
	v_mov_b32_e32 v13, 0
	v_lshlrev_b64 v[10:11], 2, v[12:13]
	v_mov_b32_e32 v1, s25
	v_add_co_u32_e32 v20, vcc, s24, v10
	v_addc_co_u32_e32 v21, vcc, v1, v11, vcc
	v_pk_mul_f32 v[8:9], v[2:3], v[14:15] op_sel_hi:[0,1]
	v_pk_mul_f32 v[10:11], v[2:3], v[16:17] op_sel_hi:[0,1]
	global_store_dwordx4 v[20:21], v[8:11], off
	v_cvt_f32_f16_e32 v6, v5
	v_cvt_f32_f16_sdwa v11, v7 dst_sel:DWORD dst_unused:UNUSED_PAD src0_sel:WORD_1
	v_cvt_f32_f16_e32 v10, v7
	v_cvt_f32_f16_sdwa v7, v5 dst_sel:DWORD dst_unused:UNUSED_PAD src0_sel:WORD_1
	v_add_u32_e32 v12, 0x80, v12
	v_lshlrev_b64 v[8:9], 2, v[12:13]
	v_add_co_u32_e32 v8, vcc, s24, v8
	v_addc_co_u32_e32 v9, vcc, v1, v9, vcc
	v_pk_mul_f32 v[4:5], v[2:3], v[10:11] op_sel_hi:[0,1]
	v_pk_mul_f32 v[6:7], v[2:3], v[6:7] op_sel_hi:[0,1]
	global_store_dwordx4 v[8:9], v[4:7], off
	s_and_b64 exec, exec, s[2:3]
	s_cbranch_execz .LBB13_29
; %bb.28:
	v_ashrrev_i32_e32 v1, 31, v0
	v_lshlrev_b64 v[0:1], 3, v[0:1]
	v_mov_b32_e32 v2, s27
	v_add_co_u32_e32 v0, vcc, s26, v0
	v_addc_co_u32_e32 v1, vcc, v2, v1, vcc
	v_mov_b32_e32 v18, v3
	global_store_dwordx2 v[0:1], v[18:19], off
.LBB13_29:
	s_endpgm
	.section	.rodata,"a",@progbits
	.p2align	6, 0x0
	.amdhsa_kernel _ZL15flash_attn_tileILi256ELi256ELi8ELi4ELb0EEvPKcS1_S1_S1_S1_PKiPfP15HIP_vector_typeIfLj2EEffffjfiS5_IjLj3EEiiiiiiiiiiiliiliiiiil
		.amdhsa_group_segment_fixed_size 27136
		.amdhsa_private_segment_fixed_size 0
		.amdhsa_kernarg_size 464
		.amdhsa_user_sgpr_count 6
		.amdhsa_user_sgpr_private_segment_buffer 1
		.amdhsa_user_sgpr_dispatch_ptr 0
		.amdhsa_user_sgpr_queue_ptr 0
		.amdhsa_user_sgpr_kernarg_segment_ptr 1
		.amdhsa_user_sgpr_dispatch_id 0
		.amdhsa_user_sgpr_flat_scratch_init 0
		.amdhsa_user_sgpr_kernarg_preload_length 0
		.amdhsa_user_sgpr_kernarg_preload_offset 0
		.amdhsa_user_sgpr_private_segment_size 0
		.amdhsa_uses_dynamic_stack 0
		.amdhsa_system_sgpr_private_segment_wavefront_offset 0
		.amdhsa_system_sgpr_workgroup_id_x 1
		.amdhsa_system_sgpr_workgroup_id_y 1
		.amdhsa_system_sgpr_workgroup_id_z 1
		.amdhsa_system_sgpr_workgroup_info 0
		.amdhsa_system_vgpr_workitem_id 1
		.amdhsa_next_free_vgpr 170
		.amdhsa_next_free_sgpr 43
		.amdhsa_accum_offset 172
		.amdhsa_reserve_vcc 1
		.amdhsa_reserve_flat_scratch 0
		.amdhsa_float_round_mode_32 0
		.amdhsa_float_round_mode_16_64 0
		.amdhsa_float_denorm_mode_32 3
		.amdhsa_float_denorm_mode_16_64 3
		.amdhsa_dx10_clamp 1
		.amdhsa_ieee_mode 1
		.amdhsa_fp16_overflow 0
		.amdhsa_tg_split 0
		.amdhsa_exception_fp_ieee_invalid_op 0
		.amdhsa_exception_fp_denorm_src 0
		.amdhsa_exception_fp_ieee_div_zero 0
		.amdhsa_exception_fp_ieee_overflow 0
		.amdhsa_exception_fp_ieee_underflow 0
		.amdhsa_exception_fp_ieee_inexact 0
		.amdhsa_exception_int_div_zero 0
	.end_amdhsa_kernel
	.section	.text._ZL15flash_attn_tileILi256ELi256ELi8ELi4ELb0EEvPKcS1_S1_S1_S1_PKiPfP15HIP_vector_typeIfLj2EEffffjfiS5_IjLj3EEiiiiiiiiiiiliiliiiiil,"axG",@progbits,_ZL15flash_attn_tileILi256ELi256ELi8ELi4ELb0EEvPKcS1_S1_S1_S1_PKiPfP15HIP_vector_typeIfLj2EEffffjfiS5_IjLj3EEiiiiiiiiiiiliiliiiiil,comdat
.Lfunc_end13:
	.size	_ZL15flash_attn_tileILi256ELi256ELi8ELi4ELb0EEvPKcS1_S1_S1_S1_PKiPfP15HIP_vector_typeIfLj2EEffffjfiS5_IjLj3EEiiiiiiiiiiiliiliiiiil, .Lfunc_end13-_ZL15flash_attn_tileILi256ELi256ELi8ELi4ELb0EEvPKcS1_S1_S1_S1_PKiPfP15HIP_vector_typeIfLj2EEffffjfiS5_IjLj3EEiiiiiiiiiiiliiliiiiil
                                        ; -- End function
	.section	.AMDGPU.csdata,"",@progbits
; Kernel info:
; codeLenInByte = 16976
; NumSgprs: 47
; NumVgprs: 170
; NumAgprs: 0
; TotalNumVgprs: 170
; ScratchSize: 0
; MemoryBound: 0
; FloatMode: 240
; IeeeMode: 1
; LDSByteSize: 27136 bytes/workgroup (compile time only)
; SGPRBlocks: 5
; VGPRBlocks: 21
; NumSGPRsForWavesPerEU: 47
; NumVGPRsForWavesPerEU: 170
; AccumOffset: 172
; Occupancy: 2
; WaveLimiterHint : 1
; COMPUTE_PGM_RSRC2:SCRATCH_EN: 0
; COMPUTE_PGM_RSRC2:USER_SGPR: 6
; COMPUTE_PGM_RSRC2:TRAP_HANDLER: 0
; COMPUTE_PGM_RSRC2:TGID_X_EN: 1
; COMPUTE_PGM_RSRC2:TGID_Y_EN: 1
; COMPUTE_PGM_RSRC2:TGID_Z_EN: 1
; COMPUTE_PGM_RSRC2:TIDIG_COMP_CNT: 1
; COMPUTE_PGM_RSRC3_GFX90A:ACCUM_OFFSET: 42
; COMPUTE_PGM_RSRC3_GFX90A:TG_SPLIT: 0
	.section	.text._ZL25flash_attn_mask_to_KV_maxILi8EEvPK7__half2Piiii,"axG",@progbits,_ZL25flash_attn_mask_to_KV_maxILi8EEvPK7__half2Piiii,comdat
	.globl	_ZL25flash_attn_mask_to_KV_maxILi8EEvPK7__half2Piiii ; -- Begin function _ZL25flash_attn_mask_to_KV_maxILi8EEvPK7__half2Piiii
	.p2align	8
	.type	_ZL25flash_attn_mask_to_KV_maxILi8EEvPK7__half2Piiii,@function
_ZL25flash_attn_mask_to_KV_maxILi8EEvPK7__half2Piiii: ; @_ZL25flash_attn_mask_to_KV_maxILi8EEvPK7__half2Piiii
; %bb.0:
	s_load_dwordx4 s[8:11], s[4:5], 0x0
	v_cmp_gt_u32_e32 vcc, 32, v0
	s_and_saveexec_b64 s[0:1], vcc
	s_cbranch_execz .LBB14_2
; %bb.1:
	v_lshlrev_b32_e32 v1, 2, v0
	v_mov_b32_e32 v2, 1
	ds_write_b32 v1, v2
.LBB14_2:
	s_or_b64 exec, exec, s[0:1]
	s_load_dwordx4 s[12:15], s[4:5], 0x10
	s_load_dword s33, s[4:5], 0x20
	v_and_b32_e32 v2, 31, v0
	v_lshlrev_b32_e32 v6, 2, v2
	v_lshrrev_b32_e32 v1, 3, v0
	s_waitcnt lgkmcnt(0)
	s_mul_i32 s1, s6, s13
	s_mul_i32 s0, s7, s14
	s_lshl_b32 s1, s1, 3
	s_add_i32 s0, s0, s1
	s_ashr_i32 s1, s0, 31
	s_lshl_b64 s[0:1], s[0:1], 2
	s_add_u32 s42, s8, s0
	s_addc_u32 s43, s9, s1
	v_cmp_eq_u32_e64 s[0:1], 0, v2
	v_mbcnt_lo_u32_b32 v2, -1, 0
	v_mbcnt_hi_u32_b32 v7, -1, v2
	v_and_b32_e32 v2, 0x60, v7
	s_lshl_b32 s12, s12, 8
	s_mov_b64 s[4:5], 0
	v_mov_b32_e32 v3, 0
	s_movk_i32 s44, 0x204
	s_movk_i32 s45, 0x7fff
	;; [unrolled: 1-line block ×3, first 2 shown]
	v_add_u32_e32 v8, 32, v2
	v_xor_b32_e32 v9, 16, v7
	s_barrier
	s_waitcnt lgkmcnt(0)
                                        ; implicit-def: $sgpr2_sgpr3
	s_branch .LBB14_5
.LBB14_3:                               ;   in Loop: Header=BB14_5 Depth=1
	s_or_b64 exec, exec, s[8:9]
	s_waitcnt lgkmcnt(0)
	s_barrier
	ds_read_b32 v12, v6
	s_waitcnt lgkmcnt(0)
	s_barrier
	ds_bpermute_b32 v2, v2, v12
	v_cmp_ne_u32_e32 vcc, 0, v12
	s_waitcnt lgkmcnt(0)
	v_cmp_ne_u32_e64 s[2:3], 0, v2
	s_and_b64 s[2:3], vcc, s[2:3]
	v_cndmask_b32_e64 v2, 0, 1, s[2:3]
	ds_bpermute_b32 v2, v4, v2
	s_waitcnt lgkmcnt(0)
	v_cmp_ne_u32_e32 vcc, 0, v2
	s_and_b64 s[2:3], vcc, s[2:3]
	v_cndmask_b32_e64 v2, 0, 1, s[2:3]
	ds_bpermute_b32 v2, v5, v2
	s_waitcnt lgkmcnt(0)
	v_cmp_ne_u32_e32 vcc, 0, v2
	;; [unrolled: 5-line block ×3, first 2 shown]
	s_and_b64 s[2:3], vcc, s[2:3]
	v_cndmask_b32_e64 v2, 0, 1, s[2:3]
	ds_bpermute_b32 v2, v11, v2
	s_xor_b64 s[2:3], s[2:3], -1
	s_waitcnt lgkmcnt(0)
	v_cmp_eq_u32_e32 vcc, 0, v2
	s_or_b64 s[2:3], vcc, s[2:3]
.LBB14_4:                               ;   in Loop: Header=BB14_5 Depth=1
	s_and_b64 s[8:9], exec, s[2:3]
	s_or_b64 s[4:5], s[8:9], s[4:5]
	v_mov_b32_e32 v2, s12
	s_mov_b32 s12, s47
	s_andn2_b64 exec, exec, s[4:5]
	s_cbranch_execz .LBB14_36
.LBB14_5:                               ; =>This Inner Loop Header: Depth=1
	s_add_i32 s47, s12, 0xffffff00
	s_or_b64 s[2:3], s[2:3], exec
	s_cmp_lt_i32 s47, 0
	s_cbranch_scc1 .LBB14_4
; %bb.6:                                ;   in Loop: Header=BB14_5 Depth=1
	s_lshr_b32 s2, s47, 1
	v_add_u32_e32 v2, s2, v0
	v_lshlrev_b64 v[4:5], 2, v[2:3]
	v_mov_b32_e32 v10, s43
	v_add_co_u32_e32 v4, vcc, s42, v4
	v_addc_co_u32_e32 v5, vcc, v10, v5, vcc
	global_load_dword v4, v[4:5], off
	s_mov_b64 s[8:9], 0
	s_waitcnt vmcnt(0)
	v_cmp_class_f16_e64 s[2:3], v4, s44
	v_and_b32_sdwa v4, s45, v4 dst_sel:DWORD dst_unused:UNUSED_PAD src0_sel:DWORD src1_sel:WORD_1
	v_cmp_eq_f16_e32 vcc, s46, v4
	s_and_b64 s[14:15], s[2:3], vcc
	s_and_saveexec_b64 s[2:3], s[14:15]
	s_cbranch_execz .LBB14_34
; %bb.7:                                ;   in Loop: Header=BB14_5 Depth=1
	v_add_u32_e32 v4, s13, v2
	v_ashrrev_i32_e32 v5, 31, v4
	v_lshlrev_b64 v[10:11], 2, v[4:5]
	v_mov_b32_e32 v2, s43
	v_add_co_u32_e32 v10, vcc, s42, v10
	v_addc_co_u32_e32 v11, vcc, v2, v11, vcc
	global_load_dword v2, v[10:11], off
	s_mov_b64 s[14:15], 0
	s_waitcnt vmcnt(0)
	v_cmp_class_f16_e64 s[16:17], v2, s44
	s_and_saveexec_b64 s[8:9], s[16:17]
	s_cbranch_execz .LBB14_33
; %bb.8:                                ;   in Loop: Header=BB14_5 Depth=1
	v_cmp_class_f16_sdwa s[18:19], v2, s44 src0_sel:WORD_1 src1_sel:DWORD
	s_mov_b64 s[16:17], 0
	s_and_saveexec_b64 s[14:15], s[18:19]
	s_cbranch_execz .LBB14_32
; %bb.9:                                ;   in Loop: Header=BB14_5 Depth=1
	v_add_u32_e32 v4, s13, v4
	v_ashrrev_i32_e32 v5, 31, v4
	v_lshlrev_b64 v[10:11], 2, v[4:5]
	v_mov_b32_e32 v2, s43
	v_add_co_u32_e32 v10, vcc, s42, v10
	v_addc_co_u32_e32 v11, vcc, v2, v11, vcc
	global_load_dword v2, v[10:11], off
	s_mov_b64 s[18:19], 0
	s_waitcnt vmcnt(0)
	v_cmp_class_f16_e64 s[20:21], v2, s44
	s_and_saveexec_b64 s[16:17], s[20:21]
	s_cbranch_execz .LBB14_31
; %bb.10:                               ;   in Loop: Header=BB14_5 Depth=1
	v_cmp_class_f16_sdwa s[22:23], v2, s44 src0_sel:WORD_1 src1_sel:DWORD
	s_mov_b64 s[20:21], 0
	s_and_saveexec_b64 s[18:19], s[22:23]
	s_cbranch_execz .LBB14_30
; %bb.11:                               ;   in Loop: Header=BB14_5 Depth=1
	v_add_u32_e32 v4, s13, v4
	v_ashrrev_i32_e32 v5, 31, v4
	v_lshlrev_b64 v[10:11], 2, v[4:5]
	v_mov_b32_e32 v2, s43
	v_add_co_u32_e32 v10, vcc, s42, v10
	v_addc_co_u32_e32 v11, vcc, v2, v11, vcc
	global_load_dword v2, v[10:11], off
	s_mov_b64 s[22:23], 0
	s_waitcnt vmcnt(0)
	v_cmp_class_f16_e64 s[24:25], v2, s44
	s_and_saveexec_b64 s[20:21], s[24:25]
	s_cbranch_execz .LBB14_29
; %bb.12:                               ;   in Loop: Header=BB14_5 Depth=1
	v_cmp_class_f16_sdwa s[26:27], v2, s44 src0_sel:WORD_1 src1_sel:DWORD
	s_mov_b64 s[24:25], 0
	s_and_saveexec_b64 s[22:23], s[26:27]
	s_cbranch_execz .LBB14_28
; %bb.13:                               ;   in Loop: Header=BB14_5 Depth=1
	;; [unrolled: 18-line block ×5, first 2 shown]
	v_add_u32_e32 v4, s13, v4
	v_ashrrev_i32_e32 v5, 31, v4
	v_lshlrev_b64 v[4:5], 2, v[4:5]
	v_mov_b32_e32 v2, s43
	v_add_co_u32_e32 v4, vcc, s42, v4
	v_addc_co_u32_e32 v5, vcc, v2, v5, vcc
	global_load_dword v2, v[4:5], off
	s_waitcnt vmcnt(0)
	v_cmp_class_f16_e64 s[48:49], v2, s44
	s_and_saveexec_b64 s[40:41], s[48:49]
; %bb.20:                               ;   in Loop: Header=BB14_5 Depth=1
	v_cmp_class_f16_sdwa s[38:39], v2, s44 src0_sel:WORD_1 src1_sel:DWORD
	s_and_b64 s[38:39], s[38:39], exec
; %bb.21:                               ;   in Loop: Header=BB14_5 Depth=1
	s_or_b64 exec, exec, s[40:41]
	s_and_b64 s[38:39], s[38:39], exec
.LBB14_22:                              ;   in Loop: Header=BB14_5 Depth=1
	s_or_b64 exec, exec, s[36:37]
	s_and_b64 s[36:37], s[38:39], exec
.LBB14_23:                              ;   in Loop: Header=BB14_5 Depth=1
	s_or_b64 exec, exec, s[34:35]
	s_and_b64 s[34:35], s[36:37], exec
.LBB14_24:                              ;   in Loop: Header=BB14_5 Depth=1
	s_or_b64 exec, exec, s[30:31]
	s_and_b64 s[30:31], s[34:35], exec
.LBB14_25:                              ;   in Loop: Header=BB14_5 Depth=1
	s_or_b64 exec, exec, s[28:29]
	s_and_b64 s[28:29], s[30:31], exec
.LBB14_26:                              ;   in Loop: Header=BB14_5 Depth=1
	s_or_b64 exec, exec, s[26:27]
	s_and_b64 s[26:27], s[28:29], exec
.LBB14_27:                              ;   in Loop: Header=BB14_5 Depth=1
	s_or_b64 exec, exec, s[24:25]
	s_and_b64 s[24:25], s[26:27], exec
.LBB14_28:                              ;   in Loop: Header=BB14_5 Depth=1
	s_or_b64 exec, exec, s[22:23]
	s_and_b64 s[22:23], s[24:25], exec
.LBB14_29:                              ;   in Loop: Header=BB14_5 Depth=1
	s_or_b64 exec, exec, s[20:21]
	s_and_b64 s[20:21], s[22:23], exec
.LBB14_30:                              ;   in Loop: Header=BB14_5 Depth=1
	s_or_b64 exec, exec, s[18:19]
	s_and_b64 s[18:19], s[20:21], exec
.LBB14_31:                              ;   in Loop: Header=BB14_5 Depth=1
	s_or_b64 exec, exec, s[16:17]
	s_and_b64 s[16:17], s[18:19], exec
.LBB14_32:                              ;   in Loop: Header=BB14_5 Depth=1
	s_or_b64 exec, exec, s[14:15]
	s_and_b64 s[14:15], s[16:17], exec
.LBB14_33:                              ;   in Loop: Header=BB14_5 Depth=1
	s_or_b64 exec, exec, s[8:9]
	s_and_b64 s[8:9], s[14:15], exec
.LBB14_34:                              ;   in Loop: Header=BB14_5 Depth=1
	s_or_b64 exec, exec, s[2:3]
	v_cmp_lt_i32_e32 vcc, v9, v8
	v_cndmask_b32_e32 v2, v7, v9, vcc
	v_cndmask_b32_e64 v4, 0, 1, s[8:9]
	v_lshlrev_b32_e32 v2, 2, v2
	ds_bpermute_b32 v4, v2, v4
	v_xor_b32_e32 v5, 8, v7
	s_waitcnt lgkmcnt(0)
	v_cmp_ne_u32_e32 vcc, 0, v4
	s_and_b64 s[2:3], s[8:9], vcc
	v_cmp_lt_i32_e32 vcc, v5, v8
	v_cndmask_b32_e32 v4, v7, v5, vcc
	v_cndmask_b32_e64 v10, 0, 1, s[2:3]
	v_lshlrev_b32_e32 v4, 2, v4
	ds_bpermute_b32 v5, v4, v10
	s_waitcnt lgkmcnt(0)
	v_cmp_ne_u32_e32 vcc, 0, v5
	v_xor_b32_e32 v5, 4, v7
	s_and_b64 s[2:3], vcc, s[2:3]
	v_cmp_lt_i32_e32 vcc, v5, v8
	v_cndmask_b32_e32 v5, v7, v5, vcc
	v_cndmask_b32_e64 v10, 0, 1, s[2:3]
	v_lshlrev_b32_e32 v5, 2, v5
	ds_bpermute_b32 v10, v5, v10
	s_waitcnt lgkmcnt(0)
	v_cmp_ne_u32_e32 vcc, 0, v10
	v_xor_b32_e32 v10, 2, v7
	s_and_b64 s[2:3], vcc, s[2:3]
	;; [unrolled: 9-line block ×3, first 2 shown]
	v_cmp_lt_i32_e32 vcc, v11, v8
	v_cndmask_b32_e32 v11, v7, v11, vcc
	v_cndmask_b32_e64 v12, 0, 1, s[2:3]
	v_lshlrev_b32_e32 v11, 2, v11
	ds_bpermute_b32 v12, v11, v12
	s_and_saveexec_b64 s[8:9], s[0:1]
	s_cbranch_execz .LBB14_3
; %bb.35:                               ;   in Loop: Header=BB14_5 Depth=1
	s_waitcnt lgkmcnt(0)
	v_cmp_ne_u32_e32 vcc, 0, v12
	s_and_b64 s[2:3], vcc, s[2:3]
	v_cndmask_b32_e64 v12, 0, 1, s[2:3]
	ds_write_b32 v1, v12
	s_branch .LBB14_3
.LBB14_36:
	s_or_b64 exec, exec, s[4:5]
	v_cmp_eq_u32_e32 vcc, 0, v0
	s_and_saveexec_b64 s[0:1], vcc
	s_cbranch_execz .LBB14_38
; %bb.37:
	s_mul_i32 s0, s33, s7
	s_add_i32 s0, s0, s6
	s_ashr_i32 s1, s0, 31
	s_lshl_b64 s[0:1], s[0:1], 2
	s_add_u32 s0, s10, s0
	s_addc_u32 s1, s11, s1
	v_mov_b32_e32 v0, 0
	global_store_dword v0, v2, s[0:1]
.LBB14_38:
	s_endpgm
	.section	.rodata,"a",@progbits
	.p2align	6, 0x0
	.amdhsa_kernel _ZL25flash_attn_mask_to_KV_maxILi8EEvPK7__half2Piiii
		.amdhsa_group_segment_fixed_size 128
		.amdhsa_private_segment_fixed_size 0
		.amdhsa_kernarg_size 288
		.amdhsa_user_sgpr_count 6
		.amdhsa_user_sgpr_private_segment_buffer 1
		.amdhsa_user_sgpr_dispatch_ptr 0
		.amdhsa_user_sgpr_queue_ptr 0
		.amdhsa_user_sgpr_kernarg_segment_ptr 1
		.amdhsa_user_sgpr_dispatch_id 0
		.amdhsa_user_sgpr_flat_scratch_init 0
		.amdhsa_user_sgpr_kernarg_preload_length 0
		.amdhsa_user_sgpr_kernarg_preload_offset 0
		.amdhsa_user_sgpr_private_segment_size 0
		.amdhsa_uses_dynamic_stack 0
		.amdhsa_system_sgpr_private_segment_wavefront_offset 0
		.amdhsa_system_sgpr_workgroup_id_x 1
		.amdhsa_system_sgpr_workgroup_id_y 1
		.amdhsa_system_sgpr_workgroup_id_z 0
		.amdhsa_system_sgpr_workgroup_info 0
		.amdhsa_system_vgpr_workitem_id 0
		.amdhsa_next_free_vgpr 13
		.amdhsa_next_free_sgpr 50
		.amdhsa_accum_offset 16
		.amdhsa_reserve_vcc 1
		.amdhsa_reserve_flat_scratch 0
		.amdhsa_float_round_mode_32 0
		.amdhsa_float_round_mode_16_64 0
		.amdhsa_float_denorm_mode_32 3
		.amdhsa_float_denorm_mode_16_64 3
		.amdhsa_dx10_clamp 1
		.amdhsa_ieee_mode 1
		.amdhsa_fp16_overflow 0
		.amdhsa_tg_split 0
		.amdhsa_exception_fp_ieee_invalid_op 0
		.amdhsa_exception_fp_denorm_src 0
		.amdhsa_exception_fp_ieee_div_zero 0
		.amdhsa_exception_fp_ieee_overflow 0
		.amdhsa_exception_fp_ieee_underflow 0
		.amdhsa_exception_fp_ieee_inexact 0
		.amdhsa_exception_int_div_zero 0
	.end_amdhsa_kernel
	.section	.text._ZL25flash_attn_mask_to_KV_maxILi8EEvPK7__half2Piiii,"axG",@progbits,_ZL25flash_attn_mask_to_KV_maxILi8EEvPK7__half2Piiii,comdat
.Lfunc_end14:
	.size	_ZL25flash_attn_mask_to_KV_maxILi8EEvPK7__half2Piiii, .Lfunc_end14-_ZL25flash_attn_mask_to_KV_maxILi8EEvPK7__half2Piiii
                                        ; -- End function
	.section	.AMDGPU.csdata,"",@progbits
; Kernel info:
; codeLenInByte = 1424
; NumSgprs: 54
; NumVgprs: 13
; NumAgprs: 0
; TotalNumVgprs: 13
; ScratchSize: 0
; MemoryBound: 0
; FloatMode: 240
; IeeeMode: 1
; LDSByteSize: 128 bytes/workgroup (compile time only)
; SGPRBlocks: 6
; VGPRBlocks: 1
; NumSGPRsForWavesPerEU: 54
; NumVGPRsForWavesPerEU: 13
; AccumOffset: 16
; Occupancy: 8
; WaveLimiterHint : 0
; COMPUTE_PGM_RSRC2:SCRATCH_EN: 0
; COMPUTE_PGM_RSRC2:USER_SGPR: 6
; COMPUTE_PGM_RSRC2:TRAP_HANDLER: 0
; COMPUTE_PGM_RSRC2:TGID_X_EN: 1
; COMPUTE_PGM_RSRC2:TGID_Y_EN: 1
; COMPUTE_PGM_RSRC2:TGID_Z_EN: 0
; COMPUTE_PGM_RSRC2:TIDIG_COMP_CNT: 0
; COMPUTE_PGM_RSRC3_GFX90A:ACCUM_OFFSET: 3
; COMPUTE_PGM_RSRC3_GFX90A:TG_SPLIT: 0
	.section	.text._ZL33flash_attn_stream_k_fixup_uniformILi256ELi8ELi4EEvPfPK15HIP_vector_typeIfLj2EEiiiiiiS1_IjLj3EES5_S5_,"axG",@progbits,_ZL33flash_attn_stream_k_fixup_uniformILi256ELi8ELi4EEvPfPK15HIP_vector_typeIfLj2EEiiiiiiS1_IjLj3EES5_S5_,comdat
	.globl	_ZL33flash_attn_stream_k_fixup_uniformILi256ELi8ELi4EEvPfPK15HIP_vector_typeIfLj2EEiiiiiiS1_IjLj3EES5_S5_ ; -- Begin function _ZL33flash_attn_stream_k_fixup_uniformILi256ELi8ELi4EEvPfPK15HIP_vector_typeIfLj2EEiiiiiiS1_IjLj3EES5_S5_
	.p2align	8
	.type	_ZL33flash_attn_stream_k_fixup_uniformILi256ELi8ELi4EEvPfPK15HIP_vector_typeIfLj2EEiiiiiiS1_IjLj3EES5_S5_,@function
_ZL33flash_attn_stream_k_fixup_uniformILi256ELi8ELi4EEvPfPK15HIP_vector_typeIfLj2EEiiiiiiS1_IjLj3EES5_S5_: ; @_ZL33flash_attn_stream_k_fixup_uniformILi256ELi8ELi4EEvPfPK15HIP_vector_typeIfLj2EEiiiiiiS1_IjLj3EES5_S5_
; %bb.0:
	s_load_dwordx8 s[12:19], s[4:5], 0x1c
	s_load_dwordx2 s[10:11], s[4:5], 0x10
	s_load_dwordx4 s[0:3], s[4:5], 0x3c
	s_waitcnt lgkmcnt(0)
	s_mul_hi_u32 s9, s15, s6
	s_add_i32 s9, s6, s9
	s_lshr_b32 s9, s9, s16
	s_mul_i32 s15, s9, s17
	s_sub_i32 s15, s6, s15
	s_mul_hi_u32 s16, s15, s18
	s_add_i32 s16, s15, s16
	s_lshr_b32 s16, s16, s19
	s_mul_i32 s0, s16, s0
	s_sub_i32 s0, s15, s0
	;; [unrolled: 5-line block ×3, first 2 shown]
	s_lshl_b32 s0, s17, 3
	s_lshl_b32 s15, s1, 2
	s_add_i32 s0, s0, s7
	s_cmp_lt_i32 s0, s10
	s_cselect_b64 s[0:1], -1, 0
	s_add_i32 s2, s15, s8
	s_cmp_lt_i32 s2, s13
	s_cselect_b64 s[2:3], -1, 0
	s_and_b64 s[0:1], s[0:1], s[2:3]
	s_andn2_b64 vcc, exec, s[0:1]
	s_cbranch_vccnz .LBB15_6
; %bb.1:
	s_load_dwordx4 s[0:3], s[4:5], 0x0
	s_mul_i32 s4, s9, s10
	s_add_i32 s4, s4, s7
	s_mul_i32 s4, s4, s11
	s_mul_i32 s16, s16, s13
	s_add_i32 s4, s4, s8
	s_add_i32 s4, s4, s16
	s_mul_i32 s5, s11, s17
	s_add_i32 s4, s4, s15
	s_lshl_b32 s5, s5, 11
	s_lshl_b32 s4, s4, 8
	s_add_i32 s5, s5, s4
	v_or_b32_e32 v2, s5, v0
	v_ashrrev_i32_e32 v3, 31, v2
	v_lshlrev_b64 v[2:3], 2, v[2:3]
	s_waitcnt lgkmcnt(0)
	v_mov_b32_e32 v1, s1
	v_add_co_u32_e32 v2, vcc, s0, v2
	v_addc_co_u32_e32 v3, vcc, v1, v3, vcc
	global_load_dword v8, v[2:3], off
	s_mul_i32 s9, s6, s14
	s_lshl_b32 s4, s7, 2
	s_add_i32 s11, s9, s14
	s_add_i32 s0, s4, s8
	s_lshl_b32 s1, s11, 5
	s_add_i32 s0, s0, s1
	s_sub_i32 s0, s0, 32
	s_ashr_i32 s1, s0, 31
	s_lshl_b64 s[0:1], s[0:1], 3
	s_add_u32 s0, s2, s0
	s_addc_u32 s1, s3, s1
	s_load_dword s5, s[0:1], 0x4
	s_add_i32 s10, s11, -2
	s_cmp_lt_i32 s10, s9
	s_cbranch_scc1 .LBB15_4
; %bb.2:
	s_lshl_b32 s16, s12, 7
	s_ashr_i32 s17, s16, 31
	s_lshl_b64 s[16:17], s[16:17], 2
	s_add_u32 s10, s2, s16
	s_addc_u32 s13, s3, s17
	s_add_i32 s6, s6, 1
	s_load_dword s0, s[0:1], 0x0
	s_mul_i32 s1, s14, s6
	s_lshl_b32 s7, s7, 10
	s_lshl_b32 s14, s8, 8
	s_lshl_b32 s6, s1, 13
	s_add_i32 s7, s14, s7
	s_lshl_b32 s1, s1, 5
	s_add_i32 s7, s7, s6
	s_add_i32 s1, s8, s1
	s_lshl_b32 s6, s12, 5
	s_add_i32 s1, s1, s6
	v_or_b32_e32 v0, s7, v0
	s_add_i32 s1, s1, s4
	s_add_i32 s11, s11, -1
	v_add_u32_e32 v0, 0xffffc000, v0
	s_sub_i32 s4, s1, 64
	s_waitcnt lgkmcnt(0)
	v_mov_b32_e32 v7, s5
	v_mov_b32_e32 v6, s0
	;; [unrolled: 1-line block ×3, first 2 shown]
	s_mov_b32 s6, 0x3fb8aa3b
	s_mov_b32 s7, 0xc2ce8ed0
	;; [unrolled: 1-line block ×3, first 2 shown]
	v_mov_b32_e32 v5, 0x7f800000
	s_mov_b32 s12, 0xc1a00000
.LBB15_3:                               ; =>This Inner Loop Header: Depth=1
	v_ashrrev_i32_e32 v1, 31, v0
	v_lshlrev_b64 v[10:11], 2, v[0:1]
	v_add_co_u32_e32 v10, vcc, s10, v10
	v_addc_co_u32_e32 v11, vcc, v4, v11, vcc
	global_load_dword v1, v[10:11], off
	s_ashr_i32 s5, s4, 31
	s_lshl_b64 s[0:1], s[4:5], 3
	s_add_u32 s0, s2, s0
	s_addc_u32 s1, s3, s1
	s_load_dwordx2 s[14:15], s[0:1], 0x0
	s_waitcnt vmcnt(1)
	v_mov_b32_e32 v9, v8
	v_max_f32_e32 v8, v6, v6
	v_mov_b32_e32 v10, v7
	s_add_i32 s11, s11, -1
	s_waitcnt lgkmcnt(0)
	v_max_f32_e64 v7, s14, s14
	v_max_f32_e32 v7, v8, v7
	v_sub_f32_e32 v11, s14, v7
	v_sub_f32_e32 v8, v6, v7
	v_mul_f32_e32 v12, 0x3fb8aa3b, v11
	v_mov_b32_e32 v6, v7
	v_mul_f32_e32 v7, 0x3fb8aa3b, v8
	v_fma_f32 v15, v11, s6, -v12
	v_rndne_f32_e32 v16, v12
	v_fma_f32 v13, v8, s6, -v7
	v_rndne_f32_e32 v14, v7
	v_fmac_f32_e32 v15, 0x32a5705f, v11
	v_sub_f32_e32 v12, v12, v16
	v_fmac_f32_e32 v13, 0x32a5705f, v8
	v_sub_f32_e32 v7, v7, v14
	v_add_f32_e32 v12, v12, v15
	v_cvt_i32_f32_e32 v16, v16
	v_add_f32_e32 v7, v7, v13
	v_exp_f32_e32 v12, v12
	v_cvt_i32_f32_e32 v14, v14
	v_exp_f32_e32 v7, v7
	v_cmp_ngt_f32_e32 vcc, s7, v11
	v_ldexp_f32 v12, v12, v16
	v_cmp_ngt_f32_e64 s[0:1], s7, v8
	v_ldexp_f32 v7, v7, v14
	v_cndmask_b32_e32 v12, 0, v12, vcc
	v_cmp_nlt_f32_e32 vcc, s8, v11
	v_cndmask_b32_e64 v7, 0, v7, s[0:1]
	v_cmp_nlt_f32_e64 s[0:1], s8, v8
	v_cndmask_b32_e32 v12, v5, v12, vcc
	v_cmp_le_f32_e32 vcc, s12, v11
	v_cndmask_b32_e64 v7, v5, v7, s[0:1]
	v_cmp_le_f32_e64 s[0:1], s12, v8
	v_cndmask_b32_e32 v8, 0, v12, vcc
	s_sub_i32 s4, s4, 32
	v_cndmask_b32_e64 v11, 0, v7, s[0:1]
	v_mul_f32_e32 v7, s15, v8
	v_add_u32_e32 v0, 0xffffe000, v0
	s_cmp_le_i32 s11, s9
	v_fmac_f32_e32 v7, v10, v11
	s_waitcnt vmcnt(0)
	v_mul_f32_e32 v8, v1, v8
	v_fmac_f32_e32 v8, v9, v11
	s_cbranch_scc0 .LBB15_3
	s_branch .LBB15_5
.LBB15_4:
	s_waitcnt lgkmcnt(0)
	v_mov_b32_e32 v7, s5
.LBB15_5:
	s_waitcnt vmcnt(0)
	v_div_scale_f32 v0, s[0:1], v7, v7, v8
	v_rcp_f32_e32 v1, v0
	v_div_scale_f32 v4, vcc, v8, v7, v8
	v_fma_f32 v5, -v0, v1, 1.0
	v_fmac_f32_e32 v1, v5, v1
	v_mul_f32_e32 v5, v4, v1
	v_fma_f32 v6, -v0, v5, v4
	v_fmac_f32_e32 v5, v6, v1
	v_fma_f32 v0, -v0, v5, v4
	v_div_fmas_f32 v0, v0, v1, v5
	v_div_fixup_f32 v0, v0, v7, v8
	global_store_dword v[2:3], v0, off
.LBB15_6:
	s_endpgm
	.section	.rodata,"a",@progbits
	.p2align	6, 0x0
	.amdhsa_kernel _ZL33flash_attn_stream_k_fixup_uniformILi256ELi8ELi4EEvPfPK15HIP_vector_typeIfLj2EEiiiiiiS1_IjLj3EES5_S5_
		.amdhsa_group_segment_fixed_size 0
		.amdhsa_private_segment_fixed_size 0
		.amdhsa_kernarg_size 76
		.amdhsa_user_sgpr_count 6
		.amdhsa_user_sgpr_private_segment_buffer 1
		.amdhsa_user_sgpr_dispatch_ptr 0
		.amdhsa_user_sgpr_queue_ptr 0
		.amdhsa_user_sgpr_kernarg_segment_ptr 1
		.amdhsa_user_sgpr_dispatch_id 0
		.amdhsa_user_sgpr_flat_scratch_init 0
		.amdhsa_user_sgpr_kernarg_preload_length 0
		.amdhsa_user_sgpr_kernarg_preload_offset 0
		.amdhsa_user_sgpr_private_segment_size 0
		.amdhsa_uses_dynamic_stack 0
		.amdhsa_system_sgpr_private_segment_wavefront_offset 0
		.amdhsa_system_sgpr_workgroup_id_x 1
		.amdhsa_system_sgpr_workgroup_id_y 1
		.amdhsa_system_sgpr_workgroup_id_z 1
		.amdhsa_system_sgpr_workgroup_info 0
		.amdhsa_system_vgpr_workitem_id 0
		.amdhsa_next_free_vgpr 17
		.amdhsa_next_free_sgpr 20
		.amdhsa_accum_offset 20
		.amdhsa_reserve_vcc 1
		.amdhsa_reserve_flat_scratch 0
		.amdhsa_float_round_mode_32 0
		.amdhsa_float_round_mode_16_64 0
		.amdhsa_float_denorm_mode_32 3
		.amdhsa_float_denorm_mode_16_64 3
		.amdhsa_dx10_clamp 1
		.amdhsa_ieee_mode 1
		.amdhsa_fp16_overflow 0
		.amdhsa_tg_split 0
		.amdhsa_exception_fp_ieee_invalid_op 0
		.amdhsa_exception_fp_denorm_src 0
		.amdhsa_exception_fp_ieee_div_zero 0
		.amdhsa_exception_fp_ieee_overflow 0
		.amdhsa_exception_fp_ieee_underflow 0
		.amdhsa_exception_fp_ieee_inexact 0
		.amdhsa_exception_int_div_zero 0
	.end_amdhsa_kernel
	.section	.text._ZL33flash_attn_stream_k_fixup_uniformILi256ELi8ELi4EEvPfPK15HIP_vector_typeIfLj2EEiiiiiiS1_IjLj3EES5_S5_,"axG",@progbits,_ZL33flash_attn_stream_k_fixup_uniformILi256ELi8ELi4EEvPfPK15HIP_vector_typeIfLj2EEiiiiiiS1_IjLj3EES5_S5_,comdat
.Lfunc_end15:
	.size	_ZL33flash_attn_stream_k_fixup_uniformILi256ELi8ELi4EEvPfPK15HIP_vector_typeIfLj2EEiiiiiiS1_IjLj3EES5_S5_, .Lfunc_end15-_ZL33flash_attn_stream_k_fixup_uniformILi256ELi8ELi4EEvPfPK15HIP_vector_typeIfLj2EEiiiiiiS1_IjLj3EES5_S5_
                                        ; -- End function
	.section	.AMDGPU.csdata,"",@progbits
; Kernel info:
; codeLenInByte = 856
; NumSgprs: 24
; NumVgprs: 17
; NumAgprs: 0
; TotalNumVgprs: 17
; ScratchSize: 0
; MemoryBound: 0
; FloatMode: 240
; IeeeMode: 1
; LDSByteSize: 0 bytes/workgroup (compile time only)
; SGPRBlocks: 2
; VGPRBlocks: 2
; NumSGPRsForWavesPerEU: 24
; NumVGPRsForWavesPerEU: 17
; AccumOffset: 20
; Occupancy: 8
; WaveLimiterHint : 0
; COMPUTE_PGM_RSRC2:SCRATCH_EN: 0
; COMPUTE_PGM_RSRC2:USER_SGPR: 6
; COMPUTE_PGM_RSRC2:TRAP_HANDLER: 0
; COMPUTE_PGM_RSRC2:TGID_X_EN: 1
; COMPUTE_PGM_RSRC2:TGID_Y_EN: 1
; COMPUTE_PGM_RSRC2:TGID_Z_EN: 1
; COMPUTE_PGM_RSRC2:TIDIG_COMP_CNT: 0
; COMPUTE_PGM_RSRC3_GFX90A:ACCUM_OFFSET: 4
; COMPUTE_PGM_RSRC3_GFX90A:TG_SPLIT: 0
	.section	.text._ZL33flash_attn_stream_k_fixup_generalILi256ELi8ELi4EEvPfPK15HIP_vector_typeIfLj2EEiiiiS1_IjLj3EES5_S5_S5_,"axG",@progbits,_ZL33flash_attn_stream_k_fixup_generalILi256ELi8ELi4EEvPfPK15HIP_vector_typeIfLj2EEiiiiS1_IjLj3EES5_S5_S5_,comdat
	.globl	_ZL33flash_attn_stream_k_fixup_generalILi256ELi8ELi4EEvPfPK15HIP_vector_typeIfLj2EEiiiiS1_IjLj3EES5_S5_S5_ ; -- Begin function _ZL33flash_attn_stream_k_fixup_generalILi256ELi8ELi4EEvPfPK15HIP_vector_typeIfLj2EEiiiiS1_IjLj3EES5_S5_S5_
	.p2align	8
	.type	_ZL33flash_attn_stream_k_fixup_generalILi256ELi8ELi4EEvPfPK15HIP_vector_typeIfLj2EEiiiiS1_IjLj3EES5_S5_S5_,@function
_ZL33flash_attn_stream_k_fixup_generalILi256ELi8ELi4EEvPfPK15HIP_vector_typeIfLj2EEiiiiS1_IjLj3EES5_S5_S5_: ; @_ZL33flash_attn_stream_k_fixup_generalILi256ELi8ELi4EEvPfPK15HIP_vector_typeIfLj2EEiiiiS1_IjLj3EES5_S5_S5_
; %bb.0:
	s_load_dwordx4 s[12:15], s[4:5], 0x10
	s_load_dword s9, s[4:5], 0x50
	s_mov_b32 s2, 0
	s_waitcnt lgkmcnt(0)
	s_mul_hi_i32 s3, s15, s6
	s_cmp_lg_u64 s[2:3], 0
	s_mul_i32 s2, s15, s6
	s_cbranch_scc0 .LBB16_21
; %bb.1:
	v_cvt_f32_u32_e32 v1, s9
	v_cvt_f32_ubyte0_e32 v2, 0
	s_sub_u32 s10, 0, s9
	s_subb_u32 s11, 0, 0
	v_madmk_f32 v1, v2, 0x4f800000, v1
	v_rcp_f32_e32 v1, v1
	v_mul_f32_e32 v1, 0x5f7ffffc, v1
	v_mul_f32_e32 v2, 0x2f800000, v1
	v_trunc_f32_e32 v2, v2
	v_madmk_f32 v1, v2, 0xcf800000, v1
	v_cvt_u32_f32_e32 v2, v2
	v_cvt_u32_f32_e32 v1, v1
	v_readfirstlane_b32 s16, v2
	v_readfirstlane_b32 s17, v1
	s_mul_i32 s18, s10, s16
	s_mul_hi_u32 s20, s10, s17
	s_mul_i32 s19, s11, s17
	s_add_i32 s18, s20, s18
	s_add_i32 s18, s18, s19
	s_mul_i32 s21, s10, s17
	s_mul_hi_u32 s19, s17, s18
	s_mul_i32 s20, s17, s18
	s_mul_hi_u32 s17, s17, s21
	s_add_u32 s17, s17, s20
	s_addc_u32 s19, 0, s19
	s_mul_hi_u32 s22, s16, s21
	s_mul_i32 s21, s16, s21
	s_add_u32 s17, s17, s21
	s_mul_hi_u32 s20, s16, s18
	s_addc_u32 s17, s19, s22
	s_addc_u32 s19, s20, 0
	s_mul_i32 s18, s16, s18
	s_add_u32 s17, s17, s18
	s_addc_u32 s18, 0, s19
	v_add_co_u32_e32 v1, vcc, s17, v1
	s_cmp_lg_u64 vcc, 0
	s_addc_u32 s16, s16, s18
	v_readfirstlane_b32 s18, v1
	s_mul_i32 s17, s10, s16
	s_mul_hi_u32 s19, s10, s18
	s_add_i32 s17, s19, s17
	s_mul_i32 s11, s11, s18
	s_add_i32 s17, s17, s11
	s_mul_i32 s10, s10, s18
	s_mul_hi_u32 s19, s16, s10
	s_mul_i32 s20, s16, s10
	s_mul_i32 s22, s18, s17
	s_mul_hi_u32 s10, s18, s10
	s_mul_hi_u32 s21, s18, s17
	s_add_u32 s10, s10, s22
	s_addc_u32 s18, 0, s21
	s_add_u32 s10, s10, s20
	s_mul_hi_u32 s11, s16, s17
	s_addc_u32 s10, s18, s19
	s_addc_u32 s11, s11, 0
	s_mul_i32 s17, s16, s17
	s_add_u32 s10, s10, s17
	s_addc_u32 s11, 0, s11
	v_add_co_u32_e32 v1, vcc, s10, v1
	s_cmp_lg_u64 vcc, 0
	s_addc_u32 s18, s16, s11
	s_ashr_i32 s10, s3, 31
	s_add_u32 s16, s2, s10
	s_mov_b32 s11, s10
	s_addc_u32 s17, s3, s10
	s_xor_b64 s[16:17], s[16:17], s[10:11]
	v_readfirstlane_b32 s20, v1
	s_mul_i32 s19, s16, s18
	s_mul_hi_u32 s21, s16, s20
	s_mul_hi_u32 s3, s16, s18
	s_add_u32 s19, s21, s19
	s_addc_u32 s3, 0, s3
	s_mul_hi_u32 s22, s17, s20
	s_mul_i32 s20, s17, s20
	s_add_u32 s19, s19, s20
	s_mul_hi_u32 s21, s17, s18
	s_addc_u32 s3, s3, s22
	s_addc_u32 s19, s21, 0
	s_mul_i32 s18, s17, s18
	s_add_u32 s3, s3, s18
	s_addc_u32 s18, 0, s19
	s_add_u32 s19, s3, 1
	s_addc_u32 s20, s18, 0
	s_add_u32 s21, s3, 2
	s_mul_i32 s23, s9, s18
	s_mul_hi_u32 s24, s9, s3
	s_addc_u32 s22, s18, 0
	s_add_i32 s24, s24, s23
	s_mul_i32 s23, s9, s3
	v_mov_b32_e32 v1, s23
	v_sub_co_u32_e32 v1, vcc, s16, v1
	s_cmp_lg_u64 vcc, 0
	s_subb_u32 s16, s17, s24
	v_subrev_co_u32_e32 v2, vcc, s9, v1
	s_cmp_lg_u64 vcc, 0
	s_subb_u32 s17, s16, 0
	v_readfirstlane_b32 s23, v2
	s_cmp_ge_u32 s23, s9
	s_cselect_b32 s23, -1, 0
	s_cmp_eq_u32 s17, 0
	s_cselect_b32 s17, s23, -1
	s_cmp_lg_u32 s17, 0
	s_cselect_b32 s17, s22, s20
	v_readfirstlane_b32 s20, v1
	s_cselect_b32 s19, s21, s19
	s_cmp_ge_u32 s20, s9
	s_cselect_b32 s20, -1, 0
	s_cmp_eq_u32 s16, 0
	s_cselect_b32 s16, s20, -1
	s_cmp_lg_u32 s16, 0
	s_cselect_b32 s17, s17, s18
	s_cselect_b32 s16, s19, s3
	s_xor_b64 s[16:17], s[16:17], s[10:11]
	s_sub_u32 s20, s16, s10
	s_load_dwordx4 s[16:19], s[4:5], 0x44
	s_cbranch_execnz .LBB16_3
.LBB16_2:
	v_cvt_f32_u32_e32 v1, s9
	s_sub_i32 s0, 0, s9
	v_rcp_iflag_f32_e32 v1, v1
	v_mul_f32_e32 v1, 0x4f7ffffe, v1
	v_cvt_u32_f32_e32 v1, v1
	v_readfirstlane_b32 s1, v1
	s_mul_i32 s0, s0, s1
	s_mul_hi_u32 s0, s1, s0
	s_add_i32 s1, s1, s0
	s_mul_hi_u32 s0, s2, s1
	s_mul_i32 s3, s0, s9
	s_sub_i32 s2, s2, s3
	s_add_i32 s1, s0, 1
	s_sub_i32 s3, s2, s9
	s_cmp_ge_u32 s2, s9
	s_cselect_b32 s0, s1, s0
	s_cselect_b32 s2, s3, s2
	s_add_i32 s1, s0, 1
	s_cmp_ge_u32 s2, s9
	s_cselect_b32 s20, s1, s0
.LBB16_3:
	s_add_i32 s0, s6, 1
	s_mul_hi_i32 s3, s15, s0
	s_mov_b32 s2, 0
	s_cmp_lg_u64 s[2:3], 0
	s_mul_i32 s2, s15, s0
	s_cbranch_scc0 .LBB16_22
; %bb.4:
	v_cvt_f32_u32_e32 v1, s9
	v_cvt_f32_ubyte0_e32 v2, 0
	s_sub_u32 s10, 0, s9
	s_subb_u32 s11, 0, 0
	v_madmk_f32 v1, v2, 0x4f800000, v1
	v_rcp_f32_e32 v1, v1
	v_mul_f32_e32 v1, 0x5f7ffffc, v1
	v_mul_f32_e32 v2, 0x2f800000, v1
	v_trunc_f32_e32 v2, v2
	v_madmk_f32 v1, v2, 0xcf800000, v1
	v_cvt_u32_f32_e32 v2, v2
	v_cvt_u32_f32_e32 v1, v1
	s_waitcnt lgkmcnt(0)
	v_readfirstlane_b32 s19, v2
	v_readfirstlane_b32 s21, v1
	s_mul_i32 s22, s10, s19
	s_mul_hi_u32 s24, s10, s21
	s_mul_i32 s23, s11, s21
	s_add_i32 s22, s24, s22
	s_add_i32 s22, s22, s23
	s_mul_i32 s25, s10, s21
	s_mul_hi_u32 s23, s21, s22
	s_mul_i32 s24, s21, s22
	s_mul_hi_u32 s21, s21, s25
	s_add_u32 s21, s21, s24
	s_addc_u32 s23, 0, s23
	s_mul_hi_u32 s26, s19, s25
	s_mul_i32 s25, s19, s25
	s_add_u32 s21, s21, s25
	s_mul_hi_u32 s24, s19, s22
	s_addc_u32 s21, s23, s26
	s_addc_u32 s23, s24, 0
	s_mul_i32 s22, s19, s22
	s_add_u32 s21, s21, s22
	s_addc_u32 s22, 0, s23
	v_add_co_u32_e32 v1, vcc, s21, v1
	s_cmp_lg_u64 vcc, 0
	s_addc_u32 s19, s19, s22
	v_readfirstlane_b32 s22, v1
	s_mul_i32 s21, s10, s19
	s_mul_hi_u32 s23, s10, s22
	s_add_i32 s21, s23, s21
	s_mul_i32 s11, s11, s22
	s_add_i32 s21, s21, s11
	s_mul_i32 s10, s10, s22
	s_mul_hi_u32 s23, s19, s10
	s_mul_i32 s24, s19, s10
	s_mul_i32 s26, s22, s21
	s_mul_hi_u32 s10, s22, s10
	s_mul_hi_u32 s25, s22, s21
	s_add_u32 s10, s10, s26
	s_addc_u32 s22, 0, s25
	s_add_u32 s10, s10, s24
	s_mul_hi_u32 s11, s19, s21
	s_addc_u32 s10, s22, s23
	s_addc_u32 s11, s11, 0
	s_mul_i32 s21, s19, s21
	s_add_u32 s10, s10, s21
	s_addc_u32 s11, 0, s11
	v_add_co_u32_e32 v1, vcc, s10, v1
	s_cmp_lg_u64 vcc, 0
	s_addc_u32 s19, s19, s11
	s_ashr_i32 s10, s3, 31
	s_add_u32 s22, s2, s10
	s_mov_b32 s11, s10
	s_addc_u32 s23, s3, s10
	s_xor_b64 s[22:23], s[22:23], s[10:11]
	v_readfirstlane_b32 s21, v1
	s_mul_i32 s11, s22, s19
	s_mul_hi_u32 s24, s22, s21
	s_mul_hi_u32 s3, s22, s19
	s_add_u32 s11, s24, s11
	s_addc_u32 s3, 0, s3
	s_mul_hi_u32 s25, s23, s21
	s_mul_i32 s21, s23, s21
	s_add_u32 s11, s11, s21
	s_mul_hi_u32 s24, s23, s19
	s_addc_u32 s3, s3, s25
	s_addc_u32 s11, s24, 0
	s_mul_i32 s19, s23, s19
	s_add_u32 s3, s3, s19
	s_addc_u32 s11, 0, s11
	s_mul_i32 s11, s9, s11
	s_mul_hi_u32 s24, s9, s3
	s_add_i32 s24, s24, s11
	s_mul_i32 s11, s9, s3
	v_mov_b32_e32 v1, s11
	s_add_u32 s19, s3, 1
	s_add_u32 s21, s3, 2
	v_sub_co_u32_e32 v1, vcc, s22, v1
	s_cmp_lg_u64 vcc, 0
	s_subb_u32 s11, s23, s24
	v_subrev_co_u32_e32 v2, vcc, s9, v1
	s_cmp_lg_u64 vcc, 0
	s_subb_u32 s22, s11, 0
	v_cmp_le_u32_e32 vcc, s9, v2
	s_cmp_eq_u32 s22, 0
	v_cndmask_b32_e64 v2, 0, -1, vcc
	s_cselect_b64 vcc, -1, 0
	v_cndmask_b32_e32 v2, -1, v2, vcc
	v_mov_b32_e32 v3, s19
	v_mov_b32_e32 v4, s21
	v_cmp_ne_u32_e32 vcc, 0, v2
	v_cndmask_b32_e32 v2, v3, v4, vcc
	v_cmp_le_u32_e32 vcc, s9, v1
	s_cmp_eq_u32 s11, 0
	v_cndmask_b32_e64 v1, 0, -1, vcc
	s_cselect_b64 vcc, -1, 0
	v_cndmask_b32_e32 v1, -1, v1, vcc
	v_mov_b32_e32 v3, s3
	v_cmp_ne_u32_e32 vcc, 0, v1
	v_cndmask_b32_e32 v1, v3, v2, vcc
	v_xor_b32_e32 v1, s10, v1
	v_subrev_co_u32_e32 v2, vcc, s10, v1
	s_cbranch_execnz .LBB16_6
.LBB16_5:
	v_cvt_f32_u32_e32 v1, s9
	s_sub_i32 s0, 0, s9
	s_mov_b32 s1, 0
	v_rcp_iflag_f32_e32 v1, v1
	v_mul_f32_e32 v1, 0x4f7ffffe, v1
	v_cvt_u32_f32_e32 v1, v1
	v_readfirstlane_b32 s3, v1
	s_mul_i32 s0, s0, s3
	s_mul_hi_u32 s0, s3, s0
	s_add_i32 s3, s3, s0
	s_mul_hi_u32 s0, s2, s3
	s_mul_i32 s10, s0, s9
	s_sub_i32 s2, s2, s10
	s_add_i32 s3, s0, 1
	s_sub_i32 s10, s2, s9
	s_cmp_ge_u32 s2, s9
	s_cselect_b32 s0, s3, s0
	s_cselect_b32 s2, s10, s2
	s_add_i32 s3, s0, 1
	s_cmp_ge_u32 s2, s9
	s_cselect_b32 s0, s3, s0
	v_pk_mov_b32 v[2:3], s[0:1], s[0:1] op_sel:[0,1]
.LBB16_6:
	s_waitcnt lgkmcnt(0)
	s_mul_hi_u32 s0, s20, s16
	s_add_i32 s0, s0, s20
	v_mul_hi_u32 v1, v2, s16
	s_lshr_b32 s19, s0, s17
	v_add_u32_e32 v1, v1, v2
	s_mul_i32 s0, s19, s18
	v_lshrrev_b32_e32 v1, s17, v1
	s_cmp_eq_u32 s0, s20
	v_cmp_eq_u32_e64 s[0:1], s19, v1
	v_mul_lo_u32 v1, v1, s18
	v_cmp_eq_u32_e32 vcc, s20, v2
	s_cselect_b64 s[10:11], -1, 0
	v_cmp_ne_u32_e64 s[2:3], v1, v2
	s_and_b64 s[0:1], s[0:1], s[2:3]
	s_or_b64 s[2:3], vcc, s[10:11]
	s_or_b64 s[0:1], s[2:3], s[0:1]
	s_and_b64 vcc, exec, s[0:1]
	s_cbranch_vccnz .LBB16_24
; %bb.7:
	s_load_dwordx8 s[24:31], s[4:5], 0x20
	s_load_dword s0, s[4:5], 0x40
	s_mov_b32 s10, 0
	s_waitcnt lgkmcnt(0)
	s_mul_hi_u32 s1, s20, s24
	s_add_i32 s1, s1, s20
	s_lshr_b32 s11, s1, s25
	s_mul_i32 s1, s11, s26
	s_sub_i32 s1, s20, s1
	s_mul_hi_u32 s2, s1, s27
	s_add_i32 s2, s1, s2
	s_lshr_b32 s24, s2, s28
	s_mul_i32 s2, s24, s29
	s_sub_i32 s1, s1, s2
	;; [unrolled: 5-line block ×3, first 2 shown]
	s_mul_hi_u32 s1, s0, s16
	s_add_i32 s0, s0, s1
	s_lshr_b32 s26, s0, s17
	s_lshl_b32 s0, s26, 3
	s_lshl_b32 s25, s2, 2
	s_add_i32 s0, s0, s7
	s_cmp_lt_i32 s0, s12
	s_cselect_b64 s[0:1], -1, 0
	s_add_i32 s2, s25, s8
	s_cmp_lt_i32 s2, s14
	s_cselect_b64 s[2:3], -1, 0
	s_and_b64 s[0:1], s[0:1], s[2:3]
	s_andn2_b64 vcc, exec, s[0:1]
	s_cbranch_vccnz .LBB16_24
; %bb.8:
	s_load_dwordx4 s[0:3], s[4:5], 0x0
	s_lshl_b32 s21, s7, 2
	s_lshl_b32 s4, s9, 7
	s_mov_b32 s5, s10
	s_add_i32 s21, s21, s8
	s_lshl_b64 s[4:5], s[4:5], 2
	s_waitcnt lgkmcnt(0)
	s_add_u32 s22, s2, s4
	s_mul_i32 s4, s11, s12
	s_addc_u32 s23, s3, s5
	s_add_i32 s4, s4, s7
	s_mul_i32 s4, s4, s13
	s_mul_i32 s24, s24, s14
	s_add_i32 s4, s4, s8
	s_add_i32 s4, s4, s24
	s_mul_i32 s5, s13, s26
	s_add_i32 s4, s4, s25
	s_lshl_b32 s5, s5, 11
	s_lshl_b32 s4, s4, 8
	s_add_i32 s5, s5, s4
	v_or_b32_e32 v2, s5, v0
	v_ashrrev_i32_e32 v3, 31, v2
	v_lshlrev_b64 v[2:3], 2, v[2:3]
	v_mov_b32_e32 v1, s1
	v_add_co_u32_e32 v2, vcc, s0, v2
	v_addc_co_u32_e32 v3, vcc, v1, v3, vcc
	global_load_dword v5, v[2:3], off
	v_lshl_or_b32 v4, s21, 8, v0
	v_cvt_f32_u32_e32 v0, s9
	v_cvt_f32_ubyte0_e32 v1, 0
	s_lshl_b32 s0, s6, 5
	s_add_i32 s0, s21, s0
	v_mac_f32_e32 v0, 0x4f800000, v1
	v_rcp_f32_e32 v0, v0
	v_cvt_f32_u32_e32 v1, s9
	s_ashr_i32 s1, s0, 31
	s_lshl_b64 s[0:1], s[0:1], 3
	v_mul_f32_e32 v0, 0x5f7ffffc, v0
	v_rcp_iflag_f32_e32 v1, v1
	s_add_u32 s0, s2, s0
	v_mul_f32_e32 v9, 0x2f800000, v0
	s_addc_u32 s1, s3, s1
	v_trunc_f32_e32 v10, v9
	s_load_dwordx2 s[0:1], s[0:1], 0x0
	v_mac_f32_e32 v0, 0xcf800000, v10
	v_cvt_u32_f32_e32 v9, v0
	v_mul_f32_e32 v0, 0x4f7ffffe, v1
	v_cvt_u32_f32_e32 v10, v10
	v_cvt_u32_f32_e32 v11, v0
	s_add_i32 s8, s6, -1
	s_waitcnt lgkmcnt(0)
	v_mov_b32_e32 v6, s1
	v_mov_b32_e32 v7, s0
	;; [unrolled: 1-line block ×3, first 2 shown]
	s_mov_b32 s6, 0x3fb8aa3b
	s_mov_b32 s7, 0xc2ce8ed0
	;; [unrolled: 1-line block ×4, first 2 shown]
	v_mov_b32_e32 v12, 0x7f800000
	s_mul_hi_i32 s11, s8, s15
	s_cmp_lg_u64 s[10:11], 0
	s_mul_i32 s4, s8, s15
	s_cbranch_scc0 .LBB16_15
.LBB16_9:
	s_sub_u32 s0, 0, s9
	v_readfirstlane_b32 s5, v9
	v_readfirstlane_b32 s24, v10
	s_subb_u32 s1, 0, 0
	s_mul_hi_u32 s20, s0, s5
	s_mul_i32 s25, s0, s24
	s_mul_i32 s14, s1, s5
	s_add_i32 s20, s20, s25
	s_add_i32 s20, s20, s14
	s_mul_i32 s26, s0, s5
	s_mul_hi_u32 s14, s5, s20
	s_mul_i32 s25, s5, s20
	s_mul_hi_u32 s5, s5, s26
	s_add_u32 s5, s5, s25
	s_addc_u32 s14, 0, s14
	s_mul_hi_u32 s27, s24, s26
	s_mul_i32 s26, s24, s26
	s_add_u32 s5, s5, s26
	s_mul_hi_u32 s25, s24, s20
	s_addc_u32 s5, s14, s27
	s_addc_u32 s14, s25, 0
	s_mul_i32 s20, s24, s20
	s_add_u32 s5, s5, s20
	s_addc_u32 s14, 0, s14
	v_add_co_u32_e32 v0, vcc, s5, v9
	s_cmp_lg_u64 vcc, 0
	s_addc_u32 s5, s24, s14
	v_readfirstlane_b32 s20, v0
	s_mul_i32 s14, s0, s5
	s_mul_hi_u32 s24, s0, s20
	s_add_i32 s14, s24, s14
	s_mul_i32 s1, s1, s20
	s_add_i32 s14, s14, s1
	s_mul_i32 s0, s0, s20
	s_mul_hi_u32 s24, s5, s0
	s_mul_i32 s25, s5, s0
	s_mul_i32 s27, s20, s14
	s_mul_hi_u32 s0, s20, s0
	s_mul_hi_u32 s26, s20, s14
	s_add_u32 s0, s0, s27
	s_addc_u32 s20, 0, s26
	s_add_u32 s0, s0, s25
	s_mul_hi_u32 s1, s5, s14
	s_addc_u32 s0, s20, s24
	s_addc_u32 s1, s1, 0
	s_mul_i32 s14, s5, s14
	s_add_u32 s0, s0, s14
	s_addc_u32 s1, 0, s1
	v_add_co_u32_e32 v0, vcc, s0, v0
	s_cmp_lg_u64 vcc, 0
	s_addc_u32 s5, s5, s1
	s_ashr_i32 s0, s11, 31
	s_add_u32 s24, s4, s0
	s_mov_b32 s1, s0
	s_addc_u32 s25, s11, s0
	s_xor_b64 s[24:25], s[24:25], s[0:1]
	v_readfirstlane_b32 s14, v0
	s_mul_i32 s11, s24, s5
	s_mul_hi_u32 s20, s24, s14
	s_mul_hi_u32 s1, s24, s5
	s_add_u32 s11, s20, s11
	s_addc_u32 s1, 0, s1
	s_mul_hi_u32 s26, s25, s14
	s_mul_i32 s14, s25, s14
	s_add_u32 s11, s11, s14
	s_mul_hi_u32 s20, s25, s5
	s_addc_u32 s1, s1, s26
	s_addc_u32 s11, s20, 0
	s_mul_i32 s5, s25, s5
	s_add_u32 s1, s1, s5
	s_addc_u32 s5, 0, s11
	s_mul_i32 s5, s9, s5
	s_mul_hi_u32 s20, s9, s1
	s_add_i32 s20, s20, s5
	s_mul_i32 s5, s9, s1
	v_mov_b32_e32 v0, s5
	s_add_u32 s11, s1, 1
	s_add_u32 s14, s1, 2
	v_sub_co_u32_e32 v0, vcc, s24, v0
	s_cmp_lg_u64 vcc, 0
	s_subb_u32 s5, s25, s20
	v_subrev_co_u32_e32 v1, vcc, s9, v0
	s_cmp_lg_u64 vcc, 0
	s_subb_u32 s20, s5, 0
	v_cmp_le_u32_e32 vcc, s9, v1
	s_cmp_eq_u32 s20, 0
	v_cndmask_b32_e64 v1, 0, -1, vcc
	s_cselect_b64 vcc, -1, 0
	v_cndmask_b32_e32 v1, -1, v1, vcc
	v_mov_b32_e32 v13, s11
	v_mov_b32_e32 v14, s14
	v_cmp_ne_u32_e32 vcc, 0, v1
	v_cndmask_b32_e32 v1, v13, v14, vcc
	v_cmp_le_u32_e32 vcc, s9, v0
	s_cmp_eq_u32 s5, 0
	v_cndmask_b32_e64 v0, 0, -1, vcc
	s_cselect_b64 vcc, -1, 0
	v_cndmask_b32_e32 v0, -1, v0, vcc
	v_mov_b32_e32 v13, s1
	v_cmp_ne_u32_e32 vcc, 0, v0
	v_cndmask_b32_e32 v0, v13, v1, vcc
	v_xor_b32_e32 v0, s0, v0
	v_subrev_co_u32_e32 v0, vcc, s0, v0
	s_cbranch_execnz .LBB16_11
.LBB16_10:
	s_sub_i32 s0, 0, s9
	v_mul_lo_u32 v0, s0, v11
	v_mul_hi_u32 v0, v11, v0
	v_add_u32_e32 v0, v11, v0
	v_mul_hi_u32 v0, s4, v0
	v_mul_lo_u32 v13, v0, s9
	v_sub_u32_e32 v13, s4, v13
	v_add_u32_e32 v1, 1, v0
	v_subrev_u32_e32 v14, s9, v13
	v_cmp_le_u32_e32 vcc, s9, v13
	v_cndmask_b32_e32 v13, v13, v14, vcc
	v_cndmask_b32_e32 v0, v0, v1, vcc
	v_add_u32_e32 v1, 1, v0
	v_cmp_le_u32_e32 vcc, s9, v13
	v_cndmask_b32_e32 v0, v0, v1, vcc
.LBB16_11:
	v_cmp_ne_u32_e32 vcc, v8, v0
	s_cbranch_vccz .LBB16_14
; %bb.12:
	s_add_i32 s0, s8, s9
	s_lshl_b32 s0, s0, 5
	v_mul_hi_u32 v1, v0, s16
	s_add_i32 s0, s0, s21
	s_mov_b32 s1, s10
	v_add_u32_e32 v1, v1, v0
	s_lshl_b64 s[0:1], s[0:1], 3
	v_lshrrev_b32_e32 v1, s17, v1
	s_add_u32 s4, s2, s0
	v_mul_lo_u32 v13, v1, s18
	s_addc_u32 s5, s3, s1
	v_cmp_eq_u32_e32 vcc, v13, v0
	v_cmp_gt_u32_e64 s[0:1], s19, v1
	s_or_b64 s[0:1], s[0:1], vcc
	s_and_b64 vcc, exec, s[0:1]
	s_cbranch_vccnz .LBB16_16
; %bb.13:
	s_add_i32 s11, s8, -1
	s_mov_b64 s[0:1], 0
	s_branch .LBB16_17
.LBB16_14:
                                        ; implicit-def: $sgpr0_sgpr1
                                        ; implicit-def: $vgpr14
                                        ; implicit-def: $vgpr1
                                        ; implicit-def: $vgpr13
                                        ; implicit-def: $sgpr11
                                        ; implicit-def: $vgpr0
	s_branch .LBB16_18
.LBB16_15:
                                        ; implicit-def: $vgpr0_vgpr1
	s_branch .LBB16_10
.LBB16_16:
	s_mov_b64 s[0:1], -1
	s_mov_b32 s11, s8
	v_mov_b32_e32 v0, v8
.LBB16_17:
	v_lshl_add_u32 v14, s8, 13, v4
	v_ashrrev_i32_e32 v15, 31, v14
	v_lshlrev_b64 v[14:15], 2, v[14:15]
	v_mov_b32_e32 v1, s23
	v_add_co_u32_e32 v14, vcc, s22, v14
	v_addc_co_u32_e32 v15, vcc, v1, v15, vcc
	global_load_dword v14, v[14:15], off
	s_load_dwordx2 s[4:5], s[4:5], 0x0
	v_max_f32_e32 v1, v7, v7
	s_waitcnt lgkmcnt(0)
	v_max_f32_e64 v13, s4, s4
	v_max_f32_e32 v1, v1, v13
	v_sub_f32_e32 v13, v7, v1
	v_sub_f32_e32 v15, s4, v1
	v_mul_f32_e32 v16, 0x3fb8aa3b, v13
	v_mul_f32_e32 v17, 0x3fb8aa3b, v15
	v_fma_f32 v18, v13, s6, -v16
	v_rndne_f32_e32 v19, v16
	v_fma_f32 v20, v15, s6, -v17
	v_rndne_f32_e32 v21, v17
	v_fmac_f32_e32 v18, 0x32a5705f, v13
	v_sub_f32_e32 v16, v16, v19
	v_fmac_f32_e32 v20, 0x32a5705f, v15
	v_sub_f32_e32 v17, v17, v21
	v_add_f32_e32 v16, v16, v18
	v_cvt_i32_f32_e32 v19, v19
	v_add_f32_e32 v17, v17, v20
	v_exp_f32_e32 v16, v16
	v_cvt_i32_f32_e32 v21, v21
	v_exp_f32_e32 v17, v17
	v_cmp_ngt_f32_e32 vcc, s7, v13
	v_ldexp_f32 v16, v16, v19
	v_cndmask_b32_e32 v16, 0, v16, vcc
	v_ldexp_f32 v17, v17, v21
	v_cmp_ngt_f32_e32 vcc, s7, v15
	v_cndmask_b32_e32 v17, 0, v17, vcc
	v_cmp_nlt_f32_e32 vcc, s12, v13
	v_cndmask_b32_e32 v16, v12, v16, vcc
	v_cmp_nlt_f32_e32 vcc, s12, v15
	v_cndmask_b32_e32 v17, v12, v17, vcc
	v_cmp_le_f32_e32 vcc, s13, v13
	v_cndmask_b32_e32 v16, 0, v16, vcc
	v_cmp_le_f32_e32 vcc, s13, v15
	v_cndmask_b32_e32 v15, 0, v17, vcc
	v_mul_f32_e32 v13, s5, v15
	v_fmac_f32_e32 v13, v6, v16
	s_waitcnt vmcnt(0)
	v_mul_f32_e32 v14, v14, v15
	v_fmac_f32_e32 v14, v5, v16
	s_cbranch_execnz .LBB16_19
.LBB16_18:
	s_add_i32 s11, s8, -1
	s_mov_b64 s[0:1], 0
	v_mov_b32_e32 v0, v8
	v_mov_b32_e32 v13, v6
	;; [unrolled: 1-line block ×3, first 2 shown]
	s_waitcnt vmcnt(0)
	v_mov_b32_e32 v14, v5
.LBB16_19:
	s_andn2_b64 vcc, exec, s[0:1]
	s_cbranch_vccz .LBB16_23
; %bb.20:
	v_mov_b32_e32 v8, v0
	s_mov_b32 s8, s11
	v_mov_b32_e32 v6, v13
	v_mov_b32_e32 v7, v1
	s_waitcnt vmcnt(0)
	v_mov_b32_e32 v5, v14
	s_mul_hi_i32 s11, s8, s15
	s_cmp_lg_u64 s[10:11], 0
	s_mul_i32 s4, s8, s15
	s_cbranch_scc1 .LBB16_9
	s_branch .LBB16_15
.LBB16_21:
                                        ; implicit-def: $sgpr20_sgpr21
	s_load_dwordx4 s[16:19], s[4:5], 0x44
	s_branch .LBB16_2
.LBB16_22:
                                        ; implicit-def: $vgpr2_vgpr3
	s_branch .LBB16_5
.LBB16_23:
	v_div_scale_f32 v0, s[0:1], v13, v13, v14
	v_rcp_f32_e32 v1, v0
	v_div_scale_f32 v4, vcc, v14, v13, v14
	s_waitcnt vmcnt(0)
	v_fma_f32 v5, -v0, v1, 1.0
	v_fmac_f32_e32 v1, v5, v1
	v_mul_f32_e32 v5, v4, v1
	v_fma_f32 v6, -v0, v5, v4
	v_fmac_f32_e32 v5, v6, v1
	v_fma_f32 v0, -v0, v5, v4
	v_div_fmas_f32 v0, v0, v1, v5
	v_div_fixup_f32 v0, v0, v13, v14
	global_store_dword v[2:3], v0, off
.LBB16_24:
	s_endpgm
	.section	.rodata,"a",@progbits
	.p2align	6, 0x0
	.amdhsa_kernel _ZL33flash_attn_stream_k_fixup_generalILi256ELi8ELi4EEvPfPK15HIP_vector_typeIfLj2EEiiiiS1_IjLj3EES5_S5_S5_
		.amdhsa_group_segment_fixed_size 0
		.amdhsa_private_segment_fixed_size 0
		.amdhsa_kernarg_size 336
		.amdhsa_user_sgpr_count 6
		.amdhsa_user_sgpr_private_segment_buffer 1
		.amdhsa_user_sgpr_dispatch_ptr 0
		.amdhsa_user_sgpr_queue_ptr 0
		.amdhsa_user_sgpr_kernarg_segment_ptr 1
		.amdhsa_user_sgpr_dispatch_id 0
		.amdhsa_user_sgpr_flat_scratch_init 0
		.amdhsa_user_sgpr_kernarg_preload_length 0
		.amdhsa_user_sgpr_kernarg_preload_offset 0
		.amdhsa_user_sgpr_private_segment_size 0
		.amdhsa_uses_dynamic_stack 0
		.amdhsa_system_sgpr_private_segment_wavefront_offset 0
		.amdhsa_system_sgpr_workgroup_id_x 1
		.amdhsa_system_sgpr_workgroup_id_y 1
		.amdhsa_system_sgpr_workgroup_id_z 1
		.amdhsa_system_sgpr_workgroup_info 0
		.amdhsa_system_vgpr_workitem_id 0
		.amdhsa_next_free_vgpr 22
		.amdhsa_next_free_sgpr 32
		.amdhsa_accum_offset 24
		.amdhsa_reserve_vcc 1
		.amdhsa_reserve_flat_scratch 0
		.amdhsa_float_round_mode_32 0
		.amdhsa_float_round_mode_16_64 0
		.amdhsa_float_denorm_mode_32 3
		.amdhsa_float_denorm_mode_16_64 3
		.amdhsa_dx10_clamp 1
		.amdhsa_ieee_mode 1
		.amdhsa_fp16_overflow 0
		.amdhsa_tg_split 0
		.amdhsa_exception_fp_ieee_invalid_op 0
		.amdhsa_exception_fp_denorm_src 0
		.amdhsa_exception_fp_ieee_div_zero 0
		.amdhsa_exception_fp_ieee_overflow 0
		.amdhsa_exception_fp_ieee_underflow 0
		.amdhsa_exception_fp_ieee_inexact 0
		.amdhsa_exception_int_div_zero 0
	.end_amdhsa_kernel
	.section	.text._ZL33flash_attn_stream_k_fixup_generalILi256ELi8ELi4EEvPfPK15HIP_vector_typeIfLj2EEiiiiS1_IjLj3EES5_S5_S5_,"axG",@progbits,_ZL33flash_attn_stream_k_fixup_generalILi256ELi8ELi4EEvPfPK15HIP_vector_typeIfLj2EEiiiiS1_IjLj3EES5_S5_S5_,comdat
.Lfunc_end16:
	.size	_ZL33flash_attn_stream_k_fixup_generalILi256ELi8ELi4EEvPfPK15HIP_vector_typeIfLj2EEiiiiS1_IjLj3EES5_S5_S5_, .Lfunc_end16-_ZL33flash_attn_stream_k_fixup_generalILi256ELi8ELi4EEvPfPK15HIP_vector_typeIfLj2EEiiiiS1_IjLj3EES5_S5_S5_
                                        ; -- End function
	.section	.AMDGPU.csdata,"",@progbits
; Kernel info:
; codeLenInByte = 2824
; NumSgprs: 36
; NumVgprs: 22
; NumAgprs: 0
; TotalNumVgprs: 22
; ScratchSize: 0
; MemoryBound: 0
; FloatMode: 240
; IeeeMode: 1
; LDSByteSize: 0 bytes/workgroup (compile time only)
; SGPRBlocks: 4
; VGPRBlocks: 2
; NumSGPRsForWavesPerEU: 36
; NumVGPRsForWavesPerEU: 22
; AccumOffset: 24
; Occupancy: 8
; WaveLimiterHint : 0
; COMPUTE_PGM_RSRC2:SCRATCH_EN: 0
; COMPUTE_PGM_RSRC2:USER_SGPR: 6
; COMPUTE_PGM_RSRC2:TRAP_HANDLER: 0
; COMPUTE_PGM_RSRC2:TGID_X_EN: 1
; COMPUTE_PGM_RSRC2:TGID_Y_EN: 1
; COMPUTE_PGM_RSRC2:TGID_Z_EN: 1
; COMPUTE_PGM_RSRC2:TIDIG_COMP_CNT: 0
; COMPUTE_PGM_RSRC3_GFX90A:ACCUM_OFFSET: 5
; COMPUTE_PGM_RSRC3_GFX90A:TG_SPLIT: 0
	.section	.text._ZL15flash_attn_tileILi256ELi256ELi4ELi4ELb0EEvPKcS1_S1_S1_S1_PKiPfP15HIP_vector_typeIfLj2EEffffjfiS5_IjLj3EEiiiiiiiiiiiliiliiiiil,"axG",@progbits,_ZL15flash_attn_tileILi256ELi256ELi4ELi4ELb0EEvPKcS1_S1_S1_S1_PKiPfP15HIP_vector_typeIfLj2EEffffjfiS5_IjLj3EEiiiiiiiiiiiliiliiiiil,comdat
	.globl	_ZL15flash_attn_tileILi256ELi256ELi4ELi4ELb0EEvPKcS1_S1_S1_S1_PKiPfP15HIP_vector_typeIfLj2EEffffjfiS5_IjLj3EEiiiiiiiiiiiliiliiiiil ; -- Begin function _ZL15flash_attn_tileILi256ELi256ELi4ELi4ELb0EEvPKcS1_S1_S1_S1_PKiPfP15HIP_vector_typeIfLj2EEffffjfiS5_IjLj3EEiiiiiiiiiiiliiliiiiil
	.p2align	8
	.type	_ZL15flash_attn_tileILi256ELi256ELi4ELi4ELb0EEvPKcS1_S1_S1_S1_PKiPfP15HIP_vector_typeIfLj2EEffffjfiS5_IjLj3EEiiiiiiiiiiiliiliiiiil,@function
_ZL15flash_attn_tileILi256ELi256ELi4ELi4ELb0EEvPKcS1_S1_S1_S1_PKiPfP15HIP_vector_typeIfLj2EEffffjfiS5_IjLj3EEiiiiiiiiiiiliiliiiiil: ; @_ZL15flash_attn_tileILi256ELi256ELi4ELi4ELb0EEvPKcS1_S1_S1_S1_PKiPfP15HIP_vector_typeIfLj2EEffffjfiS5_IjLj3EEiiiiiiiiiiiliiliiiiil
; %bb.0:
	s_load_dwordx4 s[24:27], s[4:5], 0x5c
	s_load_dwordx2 s[28:29], s[4:5], 0x80
	s_load_dwordx2 s[34:35], s[4:5], 0xb8
	s_mov_b64 s[30:31], 0
	s_waitcnt lgkmcnt(0)
	s_ashr_i32 s0, s27, 31
	s_lshr_b32 s0, s0, 30
	s_add_i32 s0, s27, s0
	s_ashr_i32 s0, s0, 2
	v_cvt_f32_u32_e32 v1, s0
	s_sub_i32 s1, 0, s0
	v_rcp_iflag_f32_e32 v1, v1
	v_mul_f32_e32 v1, 0x4f7ffffe, v1
	v_cvt_u32_f32_e32 v1, v1
	v_readfirstlane_b32 s2, v1
	s_mul_i32 s1, s1, s2
	s_mul_hi_u32 s1, s2, s1
	s_add_i32 s2, s2, s1
	s_mul_hi_u32 s1, s8, s2
	s_mul_i32 s2, s1, s0
	s_sub_i32 s2, s8, s2
	s_add_i32 s3, s1, 1
	s_sub_i32 s9, s2, s0
	s_cmp_ge_u32 s2, s0
	s_cselect_b32 s1, s3, s1
	s_cselect_b32 s2, s9, s2
	s_add_i32 s3, s1, 1
	s_cmp_ge_u32 s2, s0
	s_cselect_b32 s33, s3, s1
	s_abs_i32 s0, s29
	v_cvt_f32_u32_e32 v1, s0
	s_lshl_b32 s1, s8, 2
	s_mul_i32 s8, s33, s27
	s_xor_b32 s2, s27, s29
	v_rcp_iflag_f32_e32 v1, v1
	s_sub_i32 s9, 0, s0
	s_sub_i32 s29, s1, s8
	s_abs_i32 s3, s27
	v_mul_f32_e32 v1, 0x4f7ffffe, v1
	v_cvt_u32_f32_e32 v1, v1
	s_ashr_i32 s2, s2, 31
	v_readfirstlane_b32 s1, v1
	s_mul_i32 s9, s9, s1
	s_mul_hi_u32 s8, s1, s9
	s_add_i32 s1, s1, s8
	s_mul_hi_u32 s1, s3, s1
	s_mul_i32 s8, s1, s0
	s_sub_i32 s3, s3, s8
	s_add_i32 s9, s1, 1
	s_sub_i32 s8, s3, s0
	s_cmp_ge_u32 s3, s0
	s_cselect_b32 s1, s9, s1
	s_cselect_b32 s3, s8, s3
	s_add_i32 s8, s1, 1
	s_cmp_ge_u32 s3, s0
	s_cselect_b32 s0, s8, s1
	s_xor_b32 s0, s0, s2
	s_sub_i32 s37, s0, s2
	s_abs_i32 s36, s37
	v_cvt_f32_u32_e32 v1, s36
	s_load_dwordx16 s[8:23], s[4:5], 0x0
	v_rcp_iflag_f32_e32 v1, v1
	s_waitcnt lgkmcnt(0)
	s_cmp_eq_u64 s[14:15], 0
	v_mul_f32_e32 v1, 0x4f7ffffe, v1
	v_cvt_u32_f32_e32 v1, v1
	v_readfirstlane_b32 s38, v1
	s_cbranch_scc1 .LBB17_2
; %bb.1:
	s_abs_i32 s2, s34
	v_cvt_f32_u32_e32 v1, s2
	s_sub_i32 s31, 0, s2
	s_abs_i32 s30, s33
	s_ashr_i32 s3, s33, 31
	v_rcp_iflag_f32_e32 v1, v1
	s_load_dwordx2 s[0:1], s[4:5], 0xc8
	v_mul_f32_e32 v1, 0x4f7ffffe, v1
	v_cvt_u32_f32_e32 v1, v1
	v_readfirstlane_b32 s34, v1
	s_mul_i32 s31, s31, s34
	s_mul_hi_u32 s31, s34, s31
	s_add_i32 s34, s34, s31
	s_mul_hi_u32 s31, s30, s34
	s_mul_i32 s31, s31, s2
	s_sub_i32 s30, s30, s31
	s_sub_i32 s31, s30, s2
	s_cmp_ge_u32 s30, s2
	s_cselect_b32 s30, s31, s30
	s_sub_i32 s31, s30, s2
	s_cmp_ge_u32 s30, s2
	s_cselect_b32 s2, s31, s30
	s_xor_b32 s2, s2, s3
	s_sub_i32 s2, s2, s3
	s_ashr_i32 s3, s2, 31
	s_waitcnt lgkmcnt(0)
	s_mul_i32 s1, s2, s1
	s_mul_hi_u32 s30, s2, s0
	s_add_i32 s1, s30, s1
	s_mul_i32 s3, s3, s0
	s_add_i32 s1, s1, s3
	s_mul_i32 s2, s2, s0
	s_add_u32 s30, s14, s2
	s_addc_u32 s31, s15, s1
.LBB17_2:
	s_load_dwordx4 s[0:3], s[4:5], 0x70
	v_bfe_u32 v1, v0, 10, 10
	v_lshrrev_b32_e32 v2, 1, v1
	v_lshl_add_u32 v9, s6, 2, v2
	v_mul_hi_u32 v2, s24, v9
	s_waitcnt lgkmcnt(0)
	s_mul_i32 s2, s33, s2
	s_ashr_i32 s14, s2, 31
	s_mul_i32 s3, s29, s1
	s_add_u32 s2, s8, s2
	s_addc_u32 s8, s9, s14
	s_ashr_i32 s9, s3, 31
	v_add_u32_e32 v2, v9, v2
	s_add_u32 s14, s2, s3
	v_lshrrev_b32_e32 v2, s25, v2
	s_addc_u32 s8, s8, s9
	v_mul_lo_u32 v2, v2, s26
	s_ashr_i32 s15, s0, 31
	v_mov_b32_e32 v4, s0
	v_sub_u32_e32 v2, v9, v2
	v_alignbit_b32 v4, s15, v4, 2
	v_mad_u64_u32 v[4:5], s[2:3], v4, v2, 0
	v_mov_b32_e32 v6, v5
	s_lshr_b32 s0, s15, 2
	v_mad_u64_u32 v[6:7], s[2:3], s0, v2, v[6:7]
	v_mov_b32_e32 v5, v6
	v_lshlrev_b64 v[4:5], 2, v[4:5]
	v_and_b32_e32 v8, 0x3ff, v0
	v_mov_b32_e32 v0, s8
	v_add_co_u32_e32 v4, vcc, s14, v4
	v_addc_co_u32_e32 v0, vcc, v0, v5, vcc
	v_lshlrev_b32_e32 v5, 4, v8
	v_lshlrev_b32_e32 v3, 1, v1
	s_ashr_i32 s9, s1, 31
	v_add_co_u32_e32 v10, vcc, v4, v5
	v_mov_b32_e32 v4, s1
	v_and_b32_e32 v11, 2, v3
	s_lshr_b32 s2, s9, 2
	v_alignbit_b32 v18, s9, v4, 2
	v_addc_co_u32_e32 v20, vcc, 0, v0, vcc
	v_mul_lo_u32 v0, s2, v11
	v_mad_u64_u32 v[4:5], s[0:1], v18, v11, 0
	v_or_b32_e32 v5, v5, v0
	v_lshlrev_b64 v[4:5], 2, v[4:5]
	v_add_co_u32_e32 v16, vcc, v10, v4
	v_or_b32_e32 v26, 1, v3
	v_addc_co_u32_e32 v17, vcc, v20, v5, vcc
	v_and_b32_e32 v19, 3, v26
	global_load_dwordx4 v[4:7], v[16:17], off
	global_load_dwordx4 v[12:15], v[16:17], off offset:512
	v_mad_u64_u32 v[16:17], s[0:1], v18, v19, 0
	v_mov_b32_e32 v0, v17
	v_mad_u64_u32 v[18:19], s[0:1], s2, v19, v[0:1]
	v_mov_b32_e32 v17, v18
	v_lshlrev_b64 v[16:17], 2, v[16:17]
	v_add_co_u32_e32 v24, vcc, v10, v16
	v_addc_co_u32_e32 v25, vcc, v20, v17, vcc
	global_load_dwordx4 v[16:19], v[24:25], off
	global_load_dwordx4 v[20:23], v[24:25], off offset:512
	s_load_dword s0, s[4:5], 0x40
	s_mov_b32 s1, 0
	v_lshlrev_b32_e32 v0, 1, v8
	v_lshlrev_b32_e32 v10, 8, v1
	v_add_lshl_u32 v10, v10, v0, 2
	v_add_u32_e32 v10, 0x2000, v10
	v_lshlrev_b32_e32 v24, 7, v26
	v_add_lshl_u32 v24, v24, v0, 2
	s_cmp_eq_u64 s[18:19], 0
	s_waitcnt vmcnt(3) lgkmcnt(0)
	v_pk_mul_f32 v[4:5], v[4:5], s[0:1] op_sel_hi:[1,0]
	v_pk_mul_f32 v[6:7], v[6:7], s[0:1] op_sel_hi:[1,0]
	s_waitcnt vmcnt(2)
	v_pk_mul_f32 v[12:13], v[12:13], s[0:1] op_sel_hi:[1,0]
	v_pk_mul_f32 v[14:15], v[14:15], s[0:1] op_sel_hi:[1,0]
	v_cvt_f16_f32_e32 v25, v5
	v_cvt_f16_f32_e32 v4, v4
	;; [unrolled: 1-line block ×8, first 2 shown]
	s_waitcnt vmcnt(1)
	v_pk_mul_f32 v[16:17], v[16:17], s[0:1] op_sel_hi:[1,0]
	v_pk_mul_f32 v[18:19], v[18:19], s[0:1] op_sel_hi:[1,0]
	s_waitcnt vmcnt(0)
	v_pk_mul_f32 v[20:21], v[20:21], s[0:1] op_sel_hi:[1,0]
	v_pk_mul_f32 v[22:23], v[22:23], s[0:1] op_sel_hi:[1,0]
	v_pack_b32_f16 v5, v6, v5
	v_pack_b32_f16 v4, v4, v25
	;; [unrolled: 1-line block ×4, first 2 shown]
	v_cvt_f16_f32_e32 v15, v17
	v_cvt_f16_f32_e32 v16, v16
	;; [unrolled: 1-line block ×7, first 2 shown]
	ds_write2_b64 v10, v[4:5], v[6:7] offset0:64 offset1:96
	v_cvt_f16_f32_e32 v6, v20
	v_pack_b32_f16 v5, v18, v17
	v_pack_b32_f16 v4, v16, v15
	;; [unrolled: 1-line block ×4, first 2 shown]
	v_add_u32_e32 v10, 0x2000, v24
	ds_write2_b64 v10, v[4:5], v[6:7] offset0:64 offset1:96
	s_waitcnt lgkmcnt(0)
	s_barrier
	s_cbranch_scc1 .LBB17_4
; %bb.3:
	s_load_dword s0, s[4:5], 0xd0
	s_waitcnt lgkmcnt(0)
	s_mul_i32 s0, s0, s33
	s_add_i32 s0, s0, s6
	s_lshl_b64 s[0:1], s[0:1], 2
	s_add_u32 s0, s18, s0
	s_addc_u32 s1, s19, s1
	s_load_dword s28, s[0:1], 0x0
.LBB17_4:
	s_lshl_b32 s14, s7, 5
	v_lshlrev_b32_e32 v13, 2, v8
	s_waitcnt lgkmcnt(0)
	s_cmp_lt_i32 s14, s28
	v_mbcnt_lo_u32_b32 v4, -1, 0
	s_cbranch_scc1 .LBB17_6
; %bb.5:
	v_mbcnt_hi_u32_b32 v41, -1, v4
	v_and_b32_e32 v5, 0x60, v41
	s_mov_b32 s0, 0xfeffffff
	s_mov_b32 s6, 0
	v_add_u32_e32 v42, 32, v5
	v_xor_b32_e32 v47, 16, v41
	v_xor_b32_e32 v46, 8, v41
	;; [unrolled: 1-line block ×5, first 2 shown]
	s_mov_b32 s1, s0
	s_mov_b64 s[2:3], 0
	s_branch .LBB17_7
.LBB17_6:
	s_mov_b64 s[2:3], -1
                                        ; implicit-def: $sgpr6
                                        ; implicit-def: $sgpr0_sgpr1
                                        ; implicit-def: $vgpr41
                                        ; implicit-def: $vgpr42
                                        ; implicit-def: $vgpr47
                                        ; implicit-def: $vgpr46
                                        ; implicit-def: $vgpr45
                                        ; implicit-def: $vgpr44
                                        ; implicit-def: $vgpr43
.LBB17_7:
	s_andn2_b64 vcc, exec, s[2:3]
	v_mov_b32_e32 v17, s6
	v_mov_b32_e32 v49, s6
	v_pk_mov_b32 v[30:31], s[0:1], s[0:1] op_sel:[0,1]
	v_mov_b32_e32 v48, s6
	v_mov_b32_e32 v16, s6
	;; [unrolled: 1-line block ×8, first 2 shown]
	s_cbranch_vccnz .LBB17_10
; %bb.8:
	s_sub_i32 s0, 0, s36
	s_mul_i32 s0, s0, s38
	s_mul_hi_u32 s0, s38, s0
	s_add_i32 s38, s38, s0
	s_load_dwordx2 s[8:9], s[4:5], 0x8c
	s_load_dwordx4 s[0:3], s[4:5], 0x98
	s_abs_i32 s6, s29
	s_ashr_i32 s24, s29, 31
	s_ashr_i32 s25, s37, 31
	s_waitcnt lgkmcnt(0)
	s_ashr_i32 s18, s8, 2
	s_ashr_i32 s8, s33, 31
	s_mul_i32 s1, s33, s1
	s_mul_hi_u32 s34, s33, s0
	s_add_i32 s1, s34, s1
	s_mul_i32 s34, s8, s0
	s_ashr_i32 s15, s2, 2
	s_ashr_i32 s2, s35, 1
	s_add_i32 s1, s1, s34
	s_mul_i32 s0, s33, s0
	s_mul_hi_u32 s19, s6, s38
	s_add_u32 s0, s10, s0
	s_addc_u32 s1, s11, s1
	s_mul_i32 s11, s19, s36
	s_sub_i32 s6, s6, s11
	s_xor_b32 s10, s24, s25
	s_add_i32 s11, s19, 1
	s_sub_i32 s24, s6, s36
	s_cmp_ge_u32 s6, s36
	s_cselect_b32 s11, s11, s19
	s_cselect_b32 s6, s24, s6
	s_add_i32 s19, s11, 1
	s_cmp_ge_u32 s6, s36
	s_cselect_b32 s6, s19, s11
	s_load_dwordx2 s[38:39], s[4:5], 0xa8
	s_xor_b32 s6, s6, s10
	s_sub_i32 s6, s6, s10
	s_mul_i32 s9, s6, s9
	s_ashr_i32 s10, s9, 31
	s_add_u32 s19, s0, s9
	s_addc_u32 s24, s1, s10
	s_waitcnt lgkmcnt(0)
	s_mul_i32 s0, s33, s39
	s_mul_hi_u32 s1, s33, s38
	s_add_i32 s0, s1, s0
	s_mul_i32 s8, s8, s38
	s_add_i32 s0, s0, s8
	s_mul_i32 s1, s33, s38
	s_add_u32 s1, s12, s1
	s_mul_i32 s6, s6, s3
	s_addc_u32 s0, s13, s0
	s_ashr_i32 s3, s6, 31
	s_add_u32 s12, s1, s6
	v_lshrrev_b32_e32 v5, 4, v8
	v_and_b32_e32 v6, 60, v13
	s_addc_u32 s13, s0, s3
	v_add_u32_e32 v3, v5, v3
	v_lshlrev_b32_e32 v5, 2, v6
	s_movk_i32 s0, 0x110
	v_mad_u32_u24 v50, v3, s0, v5
	v_mad_u64_u32 v[18:19], s[0:1], v2, s2, v[8:9]
	v_mov_b32_e32 v2, 0x4200
	v_mul_lo_u32 v16, s18, v3
	v_lshl_add_u32 v54, v1, 7, v2
	v_mul_lo_u32 v2, s15, v1
	v_lshl_add_u32 v22, s18, 4, v16
	v_mov_b32_e32 v3, 0x2200
	v_lshlrev_b32_e32 v56, 2, v13
	v_lshl_add_u32 v26, s15, 3, v2
	v_mbcnt_hi_u32_b32 v41, -1, v4
	v_mov_b32_e32 v15, 0
	v_ashrrev_i32_e32 v17, 31, v16
	v_ashrrev_i32_e32 v23, 31, v22
	v_lshl_add_u32 v53, v1, 10, v3
	v_lshl_add_u32 v55, v0, 1, v54
	;; [unrolled: 1-line block ×3, first 2 shown]
	v_ashrrev_i32_e32 v3, 31, v2
	v_ashrrev_i32_e32 v27, 31, v26
	v_lshlrev_b32_e32 v59, 2, v0
	s_add_u32 s10, s4, 0xd0
	v_mov_b32_e32 v28, 0xfeffffff
	v_and_b32_e32 v0, 0x60, v41
	v_add_u32_e32 v51, 0x1100, v50
	v_mul_u32_u24_e32 v52, 0x110, v8
	v_add_u32_e32 v58, 0x1000, v57
	s_addc_u32 s11, s5, 0
	v_lshlrev_b64 v[20:21], 2, v[16:17]
	v_lshlrev_b32_e32 v60, 2, v6
	v_lshlrev_b64 v[22:23], 2, v[22:23]
	v_mov_b32_e32 v61, s31
	v_add_u32_e32 v42, 32, v0
	v_xor_b32_e32 v47, 16, v41
	v_xor_b32_e32 v46, 8, v41
	;; [unrolled: 1-line block ×5, first 2 shown]
	s_mov_b32 s6, 0x40051340
	s_mov_b32 s25, 0x3fb8aa3b
	;; [unrolled: 1-line block ×4, first 2 shown]
	v_mov_b32_e32 v62, 0x7f800000
	v_lshlrev_b64 v[24:25], 2, v[2:3]
	v_lshlrev_b64 v[26:27], 2, v[26:27]
	v_add_u32_e32 v63, 0x800, v59
	v_add_u32_e32 v64, 0x1000, v59
	;; [unrolled: 1-line block ×3, first 2 shown]
	v_mov_b32_e32 v48, 0
	v_mov_b32_e32 v10, 0
	v_mov_b32_e32 v40, 0
	v_mov_b32_e32 v14, 0
	v_mov_b32_e32 v19, 0
	v_mov_b32_e32 v12, 0
	v_mov_b32_e32 v49, 0
	v_mov_b32_e32 v29, v28
	v_mov_b32_e32 v16, 0
	v_mov_b32_e32 v17, v15
.LBB17_9:                               ; =>This Inner Loop Header: Depth=1
	v_cmp_lt_i32_e32 vcc, v47, v42
	v_cndmask_b32_e32 v2, v41, v47, vcc
	v_cmp_lt_i32_e32 vcc, v46, v42
	v_add_u32_e32 v0, s14, v18
	v_cndmask_b32_e32 v3, v41, v46, vcc
	v_cmp_lt_i32_e32 vcc, v45, v42
	s_mul_hi_i32 s1, s14, s18
	s_mul_i32 s0, s14, s18
	v_cndmask_b32_e32 v4, v41, v45, vcc
	v_cmp_lt_i32_e32 vcc, v44, v42
	v_ashrrev_i32_e32 v1, 31, v0
	v_cndmask_b32_e32 v5, v41, v44, vcc
	v_cmp_lt_i32_e32 vcc, v43, v42
	s_lshl_b64 s[0:1], s[0:1], 2
	v_lshlrev_b64 v[0:1], 1, v[0:1]
	v_cndmask_b32_e32 v6, v41, v43, vcc
	s_add_u32 s0, s19, s0
	v_add_co_u32_e32 v0, vcc, s30, v0
	s_addc_u32 s1, s24, s1
	v_addc_co_u32_e32 v1, vcc, v61, v1, vcc
	v_lshlrev_b32_e32 v72, 2, v2
	v_lshlrev_b32_e32 v71, 2, v3
	;; [unrolled: 1-line block ×4, first 2 shown]
	v_mov_b32_e32 v2, s1
	v_mov_b32_e32 v3, s1
	v_add_co_u32_e32 v4, vcc, s0, v22
	v_add_co_u32_e64 v5, s[0:1], s0, v20
	v_lshlrev_b32_e32 v68, 2, v6
	v_addc_co_u32_e64 v6, s[0:1], v2, v21, s[0:1]
	v_addc_co_u32_e32 v3, vcc, v3, v23, vcc
	v_add_co_u32_e64 v82, s[0:1], v5, v60
	v_add_co_u32_e32 v2, vcc, v4, v60
	v_addc_co_u32_e64 v83, s[0:1], 0, v6, s[0:1]
	v_addc_co_u32_e32 v3, vcc, 0, v3, vcc
	global_load_dwordx4 v[4:7], v[82:83], off
	global_load_dwordx4 v[74:77], v[2:3], off
	v_mov_b32_e32 v30, 0
	v_mov_b32_e32 v31, 0
	s_mul_hi_i32 s3, s14, s15
	s_mul_i32 s2, s14, s15
	s_lshl_b64 s[2:3], s[2:3], 2
	s_add_u32 s2, s12, s2
	s_addc_u32 s3, s13, s3
	s_or_b32 s8, s14, 16
	v_mov_b32_e32 v32, s3
	v_add_co_u32_e32 v33, vcc, s2, v24
	v_mov_b32_e32 v34, s3
	v_add_co_u32_e64 v35, s[0:1], s2, v26
	s_mul_hi_i32 s3, s8, s15
	s_mul_i32 s2, s8, s15
	v_addc_co_u32_e32 v32, vcc, v32, v25, vcc
	v_addc_co_u32_e64 v34, vcc, v34, v27, s[0:1]
	v_add_co_u32_e64 v38, s[0:1], v33, v56
	s_lshl_b64 s[2:3], s[2:3], 2
	v_addc_co_u32_e64 v39, s[0:1], 0, v32, s[0:1]
	v_add_co_u32_e32 v36, vcc, v35, v56
	s_add_u32 s0, s12, s2
	v_addc_co_u32_e32 v37, vcc, 0, v34, vcc
	s_addc_u32 s1, s13, s3
	v_mov_b32_e32 v32, s1
	v_mov_b32_e32 v33, s1
	v_add_co_u32_e32 v34, vcc, s0, v26
	v_add_co_u32_e64 v35, s[0:1], s0, v24
	v_addc_co_u32_e64 v73, s[0:1], v32, v25, s[0:1]
	v_addc_co_u32_e32 v33, vcc, v33, v27, vcc
	v_add_co_u32_e32 v32, vcc, v34, v56
	v_add_co_u32_e64 v34, s[0:1], v35, v56
	s_waitcnt vmcnt(1)
	ds_write_b128 v50, v[4:7]
	s_waitcnt vmcnt(0)
	ds_write_b128 v51, v[74:77]
	s_waitcnt lgkmcnt(0)
	s_barrier
	ds_read_b128 v[4:7], v52
	ds_read_b128 v[74:77], v53
	ds_read_b128 v[78:81], v53 offset:512
	s_waitcnt lgkmcnt(1)
	;;#ASMSTART
	v_dot2_f32_f16 v30, v4, v74, v30
	;;#ASMEND
	;;#ASMSTART
	v_dot2_f32_f16 v30, v5, v75, v30
	;;#ASMEND
	;;#ASMSTART
	v_dot2_f32_f16 v30, v6, v76, v30
	;;#ASMEND
	;;#ASMSTART
	v_dot2_f32_f16 v30, v7, v77, v30
	;;#ASMEND
	s_waitcnt lgkmcnt(0)
	;;#ASMSTART
	v_dot2_f32_f16 v31, v4, v78, v31
	;;#ASMEND
	;;#ASMSTART
	v_dot2_f32_f16 v31, v5, v79, v31
	;;#ASMEND
	;;#ASMSTART
	v_dot2_f32_f16 v31, v6, v80, v31
	;;#ASMEND
	;;#ASMSTART
	v_dot2_f32_f16 v31, v7, v81, v31
	;;#ASMEND
	ds_read_b128 v[4:7], v52 offset:16
	ds_read_b128 v[74:77], v53 offset:16
	ds_read_b128 v[78:81], v53 offset:528
	s_waitcnt lgkmcnt(1)
	;;#ASMSTART
	v_dot2_f32_f16 v30, v4, v74, v30
	;;#ASMEND
	;;#ASMSTART
	v_dot2_f32_f16 v30, v5, v75, v30
	;;#ASMEND
	;;#ASMSTART
	v_dot2_f32_f16 v30, v6, v76, v30
	;;#ASMEND
	;;#ASMSTART
	v_dot2_f32_f16 v30, v7, v77, v30
	;;#ASMEND
	s_waitcnt lgkmcnt(0)
	;;#ASMSTART
	v_dot2_f32_f16 v31, v4, v78, v31
	;;#ASMEND
	;;#ASMSTART
	v_dot2_f32_f16 v31, v5, v79, v31
	;;#ASMEND
	;;#ASMSTART
	v_dot2_f32_f16 v31, v6, v80, v31
	;;#ASMEND
	;;#ASMSTART
	v_dot2_f32_f16 v31, v7, v81, v31
	;;#ASMEND
	ds_read_b128 v[4:7], v52 offset:32
	ds_read_b128 v[74:77], v53 offset:32
	;; [unrolled: 29-line block ×15, first 2 shown]
	ds_read_b128 v[78:81], v53 offset:752
	s_waitcnt lgkmcnt(1)
	;;#ASMSTART
	v_dot2_f32_f16 v30, v4, v74, v30
	;;#ASMEND
	;;#ASMSTART
	v_dot2_f32_f16 v30, v5, v75, v30
	;;#ASMEND
	;; [unrolled: 3-line block ×4, first 2 shown]
	s_waitcnt lgkmcnt(0)
	;;#ASMSTART
	v_dot2_f32_f16 v31, v4, v78, v31
	;;#ASMEND
	;;#ASMSTART
	v_dot2_f32_f16 v31, v5, v79, v31
	;;#ASMEND
	;; [unrolled: 3-line block ×4, first 2 shown]
	s_barrier
	global_load_dwordx4 v[4:7], v[82:83], off offset:256
	global_load_dwordx4 v[74:77], v[2:3], off offset:256
	v_addc_co_u32_e64 v35, s[0:1], 0, v73, s[0:1]
	v_max_f32_e32 v66, v29, v29
	v_max_f32_e32 v67, v28, v28
	v_addc_co_u32_e32 v33, vcc, 0, v33, vcc
	s_waitcnt vmcnt(1)
	ds_write_b128 v50, v[4:7]
	s_waitcnt vmcnt(0)
	ds_write_b128 v51, v[74:77]
	s_waitcnt lgkmcnt(0)
	s_barrier
	ds_read_b128 v[2:5], v52
	ds_read_b128 v[74:77], v53 offset:256
	ds_read_b128 v[78:81], v53 offset:768
	s_waitcnt lgkmcnt(1)
	;;#ASMSTART
	v_dot2_f32_f16 v30, v2, v74, v30
	;;#ASMEND
	;;#ASMSTART
	v_dot2_f32_f16 v30, v3, v75, v30
	;;#ASMEND
	;;#ASMSTART
	v_dot2_f32_f16 v30, v4, v76, v30
	;;#ASMEND
	;;#ASMSTART
	v_dot2_f32_f16 v30, v5, v77, v30
	;;#ASMEND
	s_waitcnt lgkmcnt(0)
	;;#ASMSTART
	v_dot2_f32_f16 v31, v2, v78, v31
	;;#ASMEND
	;;#ASMSTART
	v_dot2_f32_f16 v31, v3, v79, v31
	;;#ASMEND
	;;#ASMSTART
	v_dot2_f32_f16 v31, v4, v80, v31
	;;#ASMEND
	;;#ASMSTART
	v_dot2_f32_f16 v31, v5, v81, v31
	;;#ASMEND
	ds_read_b128 v[2:5], v52 offset:16
	ds_read_b128 v[74:77], v53 offset:272
	ds_read_b128 v[78:81], v53 offset:784
	s_waitcnt lgkmcnt(1)
	;;#ASMSTART
	v_dot2_f32_f16 v30, v2, v74, v30
	;;#ASMEND
	;;#ASMSTART
	v_dot2_f32_f16 v30, v3, v75, v30
	;;#ASMEND
	;;#ASMSTART
	v_dot2_f32_f16 v30, v4, v76, v30
	;;#ASMEND
	;;#ASMSTART
	v_dot2_f32_f16 v30, v5, v77, v30
	;;#ASMEND
	s_waitcnt lgkmcnt(0)
	;;#ASMSTART
	v_dot2_f32_f16 v31, v2, v78, v31
	;;#ASMEND
	;;#ASMSTART
	v_dot2_f32_f16 v31, v3, v79, v31
	;;#ASMEND
	;;#ASMSTART
	v_dot2_f32_f16 v31, v4, v80, v31
	;;#ASMEND
	;;#ASMSTART
	v_dot2_f32_f16 v31, v5, v81, v31
	;;#ASMEND
	ds_read_b128 v[2:5], v52 offset:32
	;; [unrolled: 29-line block ×15, first 2 shown]
	ds_read_b128 v[74:77], v53 offset:496
	ds_read_b128 v[78:81], v53 offset:1008
	s_waitcnt lgkmcnt(1)
	;;#ASMSTART
	v_dot2_f32_f16 v30, v2, v74, v30
	;;#ASMEND
	;;#ASMSTART
	v_dot2_f32_f16 v30, v3, v75, v30
	;;#ASMEND
	;; [unrolled: 3-line block ×4, first 2 shown]
	s_waitcnt lgkmcnt(0)
	;;#ASMSTART
	v_dot2_f32_f16 v31, v2, v78, v31
	;;#ASMEND
	;;#ASMSTART
	v_dot2_f32_f16 v31, v3, v79, v31
	;;#ASMEND
	;; [unrolled: 3-line block ×4, first 2 shown]
	flat_load_ushort v73, v[0:1]
	s_waitcnt lgkmcnt(0)
	s_barrier
	global_load_dwordx4 v[0:3], v[38:39], off
	global_load_dwordx4 v[4:7], v[36:37], off
	s_waitcnt vmcnt(0)
	v_cvt_f32_f16_e32 v36, v73
	v_pk_add_f32 v[36:37], v[30:31], v[36:37] op_sel_hi:[1,0]
	v_pk_add_f32 v[30:31], v[36:37], s[6:7] op_sel_hi:[1,0]
	v_max_f32_e32 v31, v66, v31
	v_max_f32_e32 v30, v67, v30
	ds_bpermute_b32 v38, v72, v31
	ds_bpermute_b32 v39, v72, v30
	s_waitcnt lgkmcnt(1)
	v_max_f32_e32 v38, v38, v38
	s_waitcnt lgkmcnt(0)
	v_max_f32_e32 v39, v39, v39
	v_max_f32_e32 v31, v31, v38
	v_max_f32_e32 v30, v30, v39
	ds_bpermute_b32 v38, v71, v31
	ds_bpermute_b32 v39, v71, v30
	s_waitcnt lgkmcnt(1)
	v_max_f32_e32 v38, v38, v38
	s_waitcnt lgkmcnt(0)
	v_max_f32_e32 v39, v39, v39
	;; [unrolled: 8-line block ×5, first 2 shown]
	v_max_f32_e32 v31, v31, v38
	v_max_f32_e32 v30, v30, v39
	v_pk_add_f32 v[36:37], v[36:37], v[30:31] neg_lo:[0,1] neg_hi:[0,1]
	v_mul_f32_e32 v66, 0x3fb8aa3b, v37
	v_mul_f32_e32 v67, 0x3fb8aa3b, v36
	v_fma_f32 v70, v37, s25, -v66
	v_rndne_f32_e32 v71, v66
	v_fma_f32 v72, v36, s25, -v67
	v_rndne_f32_e32 v73, v67
	v_fmac_f32_e32 v70, 0x32a5705f, v37
	v_sub_f32_e32 v66, v66, v71
	v_fmac_f32_e32 v72, 0x32a5705f, v36
	v_sub_f32_e32 v67, v67, v73
	v_pk_add_f32 v[38:39], v[28:29], v[30:31] neg_lo:[0,1] neg_hi:[0,1]
	v_add_f32_e32 v66, v66, v70
	v_add_f32_e32 v67, v67, v72
	v_mul_f32_e32 v68, 0x3fb8aa3b, v39
	v_mul_f32_e32 v69, 0x3fb8aa3b, v38
	v_cvt_i32_f32_e32 v71, v71
	v_cvt_i32_f32_e32 v73, v73
	v_exp_f32_e32 v66, v66
	v_exp_f32_e32 v67, v67
	v_fma_f32 v74, v39, s25, -v68
	v_rndne_f32_e32 v75, v68
	v_fma_f32 v76, v38, s25, -v69
	v_rndne_f32_e32 v77, v69
	v_fmac_f32_e32 v74, 0x32a5705f, v39
	v_sub_f32_e32 v68, v68, v75
	v_fmac_f32_e32 v76, 0x32a5705f, v38
	v_sub_f32_e32 v69, v69, v77
	v_add_f32_e32 v68, v68, v74
	v_add_f32_e32 v69, v69, v76
	v_cvt_i32_f32_e32 v75, v75
	v_cvt_i32_f32_e32 v77, v77
	v_exp_f32_e32 v68, v68
	v_exp_f32_e32 v69, v69
	v_ldexp_f32 v66, v66, v71
	v_ldexp_f32 v67, v67, v73
	v_cmp_ngt_f32_e32 vcc, s31, v36
	v_cmp_ngt_f32_e64 s[8:9], s31, v37
	v_cndmask_b32_e64 v66, 0, v66, s[8:9]
	v_cndmask_b32_e32 v67, 0, v67, vcc
	v_cmp_nlt_f32_e32 vcc, s34, v36
	v_cmp_nlt_f32_e64 s[8:9], s34, v37
	v_cndmask_b32_e64 v37, v62, v66, s[8:9]
	v_cndmask_b32_e32 v36, v62, v67, vcc
	v_cvt_f16_f32_e32 v66, v37
	v_cvt_f16_f32_e32 v67, v36
	v_ldexp_f32 v68, v68, v75
	v_cmp_ngt_f32_e64 s[0:1], s31, v39
	v_ldexp_f32 v69, v69, v77
	v_cmp_ngt_f32_e64 s[2:3], s31, v38
	v_cndmask_b32_e64 v68, 0, v68, s[0:1]
	v_cmp_nlt_f32_e64 s[0:1], s34, v39
	v_cndmask_b32_e64 v69, 0, v69, s[2:3]
	v_cmp_nlt_f32_e64 s[2:3], s34, v38
	v_cndmask_b32_e64 v39, v62, v68, s[0:1]
	v_cndmask_b32_e64 v38, v62, v69, s[2:3]
	v_pk_fma_f32 v[16:17], v[16:17], v[38:39], v[36:37]
	v_pack_b32_f16 v36, v67, v66
	v_cvt_f16_f32_e32 v138, v38
	v_cvt_f16_f32_e32 v139, v39
	ds_write_b32 v55, v36
	ds_write_b128 v57, v[0:3]
	ds_write_b128 v58, v[4:7]
	s_waitcnt lgkmcnt(0)
	s_barrier
	ds_read2_b64 v[0:3], v59 offset1:32
	ds_read_b128 v[4:7], v54
	ds_read_b128 v[36:39], v54 offset:16
	ds_read_b128 v[66:69], v54 offset:32
	;; [unrolled: 1-line block ×3, first 2 shown]
	ds_read2_b64 v[74:77], v59 offset0:64 offset1:96
	ds_read2_b64 v[78:81], v59 offset0:128 offset1:160
	ds_read2_b64 v[82:85], v59 offset0:192 offset1:224
	ds_read2_b64 v[86:89], v63 offset1:32
	ds_read2_b64 v[90:93], v63 offset0:64 offset1:96
	ds_read2_b64 v[94:97], v63 offset0:128 offset1:160
	ds_read2_b64 v[98:101], v63 offset0:192 offset1:224
	ds_read2_b64 v[102:105], v64 offset1:32
	;; [unrolled: 4-line block ×3, first 2 shown]
	ds_read2_b64 v[122:125], v65 offset0:64 offset1:96
	ds_read2_b64 v[126:129], v65 offset0:128 offset1:160
	;; [unrolled: 1-line block ×3, first 2 shown]
	s_waitcnt lgkmcnt(0)
	s_barrier
	global_load_dwordx4 v[134:137], v[34:35], off
	s_nop 0
	global_load_dwordx4 v[32:35], v[32:33], off
	v_pk_mul_f16 v49, v138, v49 op_sel_hi:[0,1]
	v_pk_mul_f16 v14, v138, v14 op_sel_hi:[0,1]
	;; [unrolled: 1-line block ×6, first 2 shown]
	v_pk_mul_f16 v0, v0, v4 op_sel:[0,1]
	v_pk_mul_f16 v141, v1, v4 op_sel_hi:[1,0]
	v_pk_fma_f16 v1, v1, v4, v10 op_sel:[0,1,0]
	v_pk_fma_f16 v10, v2, v4, v49 op_sel_hi:[1,0,1]
	v_pk_fma_f16 v2, v2, v4, v40 op_sel:[0,1,0]
	v_pk_fma_f16 v14, v3, v4, v14 op_sel_hi:[1,0,1]
	;; [unrolled: 2-line block ×3, first 2 shown]
	v_pk_fma_f16 v0, v139, v19, v0 op_sel_hi:[0,1,1]
	v_pk_fma_f16 v12, v138, v12, v141 op_sel_hi:[0,1,1]
	v_pk_fma_f16 v1, v75, v5, v1 op_sel:[0,1,0]
	v_pk_fma_f16 v10, v76, v5, v10 op_sel_hi:[1,0,1]
	v_pk_fma_f16 v2, v76, v5, v2 op_sel:[0,1,0]
	;; [unrolled: 2-line block ×60, first 2 shown]
	v_pk_fma_f16 v49, v131, v73, v5 op_sel_hi:[1,0,1]
	s_waitcnt vmcnt(1)
	ds_write_b128 v57, v[134:137]
	s_waitcnt vmcnt(0)
	ds_write_b128 v58, v[32:35]
	s_waitcnt lgkmcnt(0)
	s_barrier
	ds_read2_b64 v[0:3], v59 offset1:32
	ds_read_b128 v[4:7], v54 offset:64
	ds_read_b128 v[32:35], v54 offset:80
	;; [unrolled: 1-line block ×4, first 2 shown]
	ds_read2_b64 v[70:73], v59 offset0:64 offset1:96
	ds_read2_b64 v[74:77], v59 offset0:128 offset1:160
	ds_read2_b64 v[78:81], v59 offset0:192 offset1:224
	ds_read2_b64 v[82:85], v63 offset1:32
	ds_read2_b64 v[86:89], v63 offset0:64 offset1:96
	ds_read2_b64 v[90:93], v63 offset0:128 offset1:160
	ds_read2_b64 v[94:97], v63 offset0:192 offset1:224
	ds_read2_b64 v[98:101], v64 offset1:32
	;; [unrolled: 4-line block ×3, first 2 shown]
	ds_read2_b64 v[118:121], v65 offset0:64 offset1:96
	ds_read2_b64 v[122:125], v65 offset0:128 offset1:160
	;; [unrolled: 1-line block ×3, first 2 shown]
	s_waitcnt lgkmcnt(14)
	v_pk_fma_f16 v40, v0, v4, v40 op_sel_hi:[1,0,1]
	v_pk_fma_f16 v0, v0, v4, v48 op_sel:[0,1,0]
	v_pk_fma_f16 v48, v1, v4, v49 op_sel_hi:[1,0,1]
	v_pk_fma_f16 v1, v1, v4, v10 op_sel:[0,1,0]
	v_pk_fma_f16 v10, v2, v4, v12 op_sel_hi:[1,0,1]
	v_pk_fma_f16 v2, v2, v4, v14 op_sel:[0,1,0]
	v_pk_fma_f16 v12, v3, v4, v15 op_sel_hi:[1,0,1]
	v_pk_fma_f16 v3, v3, v4, v19 op_sel:[0,1,0]
	v_pk_fma_f16 v4, v70, v5, v40 op_sel_hi:[1,0,1]
	v_pk_fma_f16 v0, v70, v5, v0 op_sel:[0,1,0]
	v_pk_fma_f16 v14, v71, v5, v48 op_sel_hi:[1,0,1]
	v_pk_fma_f16 v1, v71, v5, v1 op_sel:[0,1,0]
	v_pk_fma_f16 v10, v72, v5, v10 op_sel_hi:[1,0,1]
	v_pk_fma_f16 v2, v72, v5, v2 op_sel:[0,1,0]
	v_pk_fma_f16 v12, v73, v5, v12 op_sel_hi:[1,0,1]
	v_pk_fma_f16 v3, v73, v5, v3 op_sel:[0,1,0]
	s_waitcnt lgkmcnt(13)
	v_pk_fma_f16 v4, v74, v6, v4 op_sel_hi:[1,0,1]
	v_pk_fma_f16 v0, v74, v6, v0 op_sel:[0,1,0]
	v_pk_fma_f16 v5, v75, v6, v14 op_sel_hi:[1,0,1]
	v_pk_fma_f16 v1, v75, v6, v1 op_sel:[0,1,0]
	v_pk_fma_f16 v10, v76, v6, v10 op_sel_hi:[1,0,1]
	v_pk_fma_f16 v2, v76, v6, v2 op_sel:[0,1,0]
	v_pk_fma_f16 v12, v77, v6, v12 op_sel_hi:[1,0,1]
	v_pk_fma_f16 v3, v77, v6, v3 op_sel:[0,1,0]
	s_waitcnt lgkmcnt(12)
	v_pk_fma_f16 v4, v78, v7, v4 op_sel_hi:[1,0,1]
	v_pk_fma_f16 v0, v78, v7, v0 op_sel:[0,1,0]
	v_pk_fma_f16 v5, v79, v7, v5 op_sel_hi:[1,0,1]
	v_pk_fma_f16 v1, v79, v7, v1 op_sel:[0,1,0]
	v_pk_fma_f16 v6, v80, v7, v10 op_sel_hi:[1,0,1]
	v_pk_fma_f16 v2, v80, v7, v2 op_sel:[0,1,0]
	v_pk_fma_f16 v10, v81, v7, v12 op_sel_hi:[1,0,1]
	v_pk_fma_f16 v3, v81, v7, v3 op_sel:[0,1,0]
	s_waitcnt lgkmcnt(11)
	v_pk_fma_f16 v4, v82, v32, v4 op_sel_hi:[1,0,1]
	v_pk_fma_f16 v0, v82, v32, v0 op_sel:[0,1,0]
	v_pk_fma_f16 v5, v83, v32, v5 op_sel_hi:[1,0,1]
	v_pk_fma_f16 v1, v83, v32, v1 op_sel:[0,1,0]
	v_pk_fma_f16 v6, v84, v32, v6 op_sel_hi:[1,0,1]
	v_pk_fma_f16 v2, v84, v32, v2 op_sel:[0,1,0]
	v_pk_fma_f16 v7, v85, v32, v10 op_sel_hi:[1,0,1]
	v_pk_fma_f16 v3, v85, v32, v3 op_sel:[0,1,0]
	s_waitcnt lgkmcnt(10)
	v_pk_fma_f16 v4, v86, v33, v4 op_sel_hi:[1,0,1]
	v_pk_fma_f16 v0, v86, v33, v0 op_sel:[0,1,0]
	v_pk_fma_f16 v5, v87, v33, v5 op_sel_hi:[1,0,1]
	v_pk_fma_f16 v1, v87, v33, v1 op_sel:[0,1,0]
	v_pk_fma_f16 v6, v88, v33, v6 op_sel_hi:[1,0,1]
	v_pk_fma_f16 v2, v88, v33, v2 op_sel:[0,1,0]
	v_pk_fma_f16 v7, v89, v33, v7 op_sel_hi:[1,0,1]
	v_pk_fma_f16 v3, v89, v33, v3 op_sel:[0,1,0]
	s_waitcnt lgkmcnt(9)
	v_pk_fma_f16 v4, v90, v34, v4 op_sel_hi:[1,0,1]
	v_pk_fma_f16 v0, v90, v34, v0 op_sel:[0,1,0]
	v_pk_fma_f16 v5, v91, v34, v5 op_sel_hi:[1,0,1]
	v_pk_fma_f16 v1, v91, v34, v1 op_sel:[0,1,0]
	v_pk_fma_f16 v6, v92, v34, v6 op_sel_hi:[1,0,1]
	v_pk_fma_f16 v2, v92, v34, v2 op_sel:[0,1,0]
	v_pk_fma_f16 v7, v93, v34, v7 op_sel_hi:[1,0,1]
	v_pk_fma_f16 v3, v93, v34, v3 op_sel:[0,1,0]
	s_waitcnt lgkmcnt(8)
	v_pk_fma_f16 v4, v94, v35, v4 op_sel_hi:[1,0,1]
	v_pk_fma_f16 v0, v94, v35, v0 op_sel:[0,1,0]
	v_pk_fma_f16 v5, v95, v35, v5 op_sel_hi:[1,0,1]
	v_pk_fma_f16 v1, v95, v35, v1 op_sel:[0,1,0]
	v_pk_fma_f16 v6, v96, v35, v6 op_sel_hi:[1,0,1]
	v_pk_fma_f16 v2, v96, v35, v2 op_sel:[0,1,0]
	v_pk_fma_f16 v7, v97, v35, v7 op_sel_hi:[1,0,1]
	v_pk_fma_f16 v3, v97, v35, v3 op_sel:[0,1,0]
	s_waitcnt lgkmcnt(0)
	s_barrier
	s_load_dword s0, s[10:11], 0x4
	v_pk_fma_f16 v4, v98, v36, v4 op_sel_hi:[1,0,1]
	v_pk_fma_f16 v0, v98, v36, v0 op_sel:[0,1,0]
	v_pk_fma_f16 v5, v99, v36, v5 op_sel_hi:[1,0,1]
	v_pk_fma_f16 v1, v99, v36, v1 op_sel:[0,1,0]
	v_pk_fma_f16 v6, v100, v36, v6 op_sel_hi:[1,0,1]
	v_pk_fma_f16 v2, v100, v36, v2 op_sel:[0,1,0]
	v_pk_fma_f16 v7, v101, v36, v7 op_sel_hi:[1,0,1]
	v_pk_fma_f16 v3, v101, v36, v3 op_sel:[0,1,0]
	v_pk_fma_f16 v4, v102, v37, v4 op_sel_hi:[1,0,1]
	v_pk_fma_f16 v0, v102, v37, v0 op_sel:[0,1,0]
	v_pk_fma_f16 v5, v103, v37, v5 op_sel_hi:[1,0,1]
	v_pk_fma_f16 v1, v103, v37, v1 op_sel:[0,1,0]
	v_pk_fma_f16 v6, v104, v37, v6 op_sel_hi:[1,0,1]
	v_pk_fma_f16 v2, v104, v37, v2 op_sel:[0,1,0]
	v_pk_fma_f16 v7, v105, v37, v7 op_sel_hi:[1,0,1]
	v_pk_fma_f16 v3, v105, v37, v3 op_sel:[0,1,0]
	v_pk_fma_f16 v4, v106, v38, v4 op_sel_hi:[1,0,1]
	v_pk_fma_f16 v0, v106, v38, v0 op_sel:[0,1,0]
	v_pk_fma_f16 v5, v107, v38, v5 op_sel_hi:[1,0,1]
	v_pk_fma_f16 v1, v107, v38, v1 op_sel:[0,1,0]
	v_pk_fma_f16 v6, v108, v38, v6 op_sel_hi:[1,0,1]
	v_pk_fma_f16 v2, v108, v38, v2 op_sel:[0,1,0]
	v_pk_fma_f16 v7, v109, v38, v7 op_sel_hi:[1,0,1]
	v_pk_fma_f16 v3, v109, v38, v3 op_sel:[0,1,0]
	v_pk_fma_f16 v4, v110, v39, v4 op_sel_hi:[1,0,1]
	v_pk_fma_f16 v0, v110, v39, v0 op_sel:[0,1,0]
	v_pk_fma_f16 v5, v111, v39, v5 op_sel_hi:[1,0,1]
	v_pk_fma_f16 v1, v111, v39, v1 op_sel:[0,1,0]
	v_pk_fma_f16 v6, v112, v39, v6 op_sel_hi:[1,0,1]
	v_pk_fma_f16 v2, v112, v39, v2 op_sel:[0,1,0]
	v_pk_fma_f16 v7, v113, v39, v7 op_sel_hi:[1,0,1]
	v_pk_fma_f16 v3, v113, v39, v3 op_sel:[0,1,0]
	v_pk_fma_f16 v4, v114, v66, v4 op_sel_hi:[1,0,1]
	v_pk_fma_f16 v0, v114, v66, v0 op_sel:[0,1,0]
	v_pk_fma_f16 v5, v115, v66, v5 op_sel_hi:[1,0,1]
	v_pk_fma_f16 v1, v115, v66, v1 op_sel:[0,1,0]
	v_pk_fma_f16 v6, v116, v66, v6 op_sel_hi:[1,0,1]
	v_pk_fma_f16 v2, v116, v66, v2 op_sel:[0,1,0]
	v_pk_fma_f16 v7, v117, v66, v7 op_sel_hi:[1,0,1]
	v_pk_fma_f16 v3, v117, v66, v3 op_sel:[0,1,0]
	s_waitcnt lgkmcnt(0)
	s_lshl_b32 s0, s0, 5
	v_pk_fma_f16 v4, v118, v67, v4 op_sel_hi:[1,0,1]
	v_pk_fma_f16 v0, v118, v67, v0 op_sel:[0,1,0]
	v_pk_fma_f16 v5, v119, v67, v5 op_sel_hi:[1,0,1]
	v_pk_fma_f16 v1, v119, v67, v1 op_sel:[0,1,0]
	;; [unrolled: 2-line block ×4, first 2 shown]
	s_add_i32 s14, s0, s14
	v_pk_fma_f16 v4, v122, v68, v4 op_sel_hi:[1,0,1]
	v_pk_fma_f16 v0, v122, v68, v0 op_sel:[0,1,0]
	v_pk_fma_f16 v5, v123, v68, v5 op_sel_hi:[1,0,1]
	v_pk_fma_f16 v1, v123, v68, v1 op_sel:[0,1,0]
	;; [unrolled: 2-line block ×4, first 2 shown]
	v_mov_b32_e32 v28, v30
	v_mov_b32_e32 v29, v31
	s_cmp_ge_i32 s14, s28
	v_pk_fma_f16 v48, v126, v69, v4 op_sel_hi:[1,0,1]
	v_pk_fma_f16 v19, v126, v69, v0 op_sel:[0,1,0]
	v_pk_fma_f16 v12, v127, v69, v5 op_sel_hi:[1,0,1]
	v_pk_fma_f16 v10, v127, v69, v1 op_sel:[0,1,0]
	;; [unrolled: 2-line block ×4, first 2 shown]
	s_cbranch_scc0 .LBB17_9
.LBB17_10:
	v_cmp_lt_i32_e32 vcc, v47, v42
	v_cndmask_b32_e32 v0, v41, v47, vcc
	v_lshlrev_b32_e32 v1, 2, v0
	ds_bpermute_b32 v0, v1, v16
	ds_bpermute_b32 v1, v1, v17
	v_cmp_lt_i32_e32 vcc, v46, v42
	v_cndmask_b32_e32 v2, v41, v46, vcc
	v_lshlrev_b32_e32 v3, 2, v2
	v_cmp_lt_i32_e32 vcc, v45, v42
	s_waitcnt lgkmcnt(0)
	v_pk_add_f32 v[0:1], v[16:17], v[0:1]
	ds_bpermute_b32 v2, v3, v0
	ds_bpermute_b32 v3, v3, v1
	v_cndmask_b32_e32 v4, v41, v45, vcc
	v_lshlrev_b32_e32 v4, 2, v4
	v_cmp_lt_i32_e32 vcc, v44, v42
	s_cmp_lg_u64 s[16:17], 0
	s_waitcnt lgkmcnt(0)
	v_pk_add_f32 v[0:1], v[0:1], v[2:3]
	ds_bpermute_b32 v2, v4, v0
	ds_bpermute_b32 v3, v4, v1
	v_cndmask_b32_e32 v4, v41, v44, vcc
	v_lshlrev_b32_e32 v4, 2, v4
	v_cmp_lt_i32_e32 vcc, v43, v42
	s_cselect_b64 s[0:1], -1, 0
	s_waitcnt lgkmcnt(0)
	v_pk_add_f32 v[0:1], v[0:1], v[2:3]
	ds_bpermute_b32 v2, v4, v0
	ds_bpermute_b32 v3, v4, v1
	v_cndmask_b32_e32 v4, v41, v43, vcc
	v_lshlrev_b32_e32 v4, 2, v4
	s_cmp_eq_u32 s7, 0
	s_cselect_b64 s[2:3], -1, 0
	s_waitcnt lgkmcnt(0)
	v_pk_add_f32 v[0:1], v[0:1], v[2:3]
	ds_bpermute_b32 v2, v4, v0
	ds_bpermute_b32 v3, v4, v1
	s_and_b64 s[0:1], s[2:3], s[0:1]
	s_and_b64 vcc, exec, s[0:1]
	s_waitcnt lgkmcnt(0)
	v_pk_add_f32 v[0:1], v[0:1], v[2:3]
	s_cbranch_vccz .LBB17_12
; %bb.11:
	v_add_u32_e32 v2, s29, v11
	v_ashrrev_i32_e32 v3, 31, v2
	v_lshlrev_b64 v[2:3], 2, v[2:3]
	v_mov_b32_e32 v4, s17
	v_add_co_u32_e32 v2, vcc, s16, v2
	v_addc_co_u32_e32 v3, vcc, v4, v3, vcc
	global_load_dwordx2 v[2:3], v[2:3], off
	v_max_f32_e32 v4, v31, v31
	v_max_f32_e32 v6, v30, v30
	s_mov_b32 s0, 0x3fb8aa3b
	s_mov_b32 s1, 0xc2ce8ed0
	;; [unrolled: 1-line block ×3, first 2 shown]
	v_mov_b32_e32 v16, 0x7f800000
	s_waitcnt vmcnt(0)
	v_max_f32_e32 v5, v3, v3
	v_max_f32_e32 v7, v2, v2
	;; [unrolled: 1-line block ×4, first 2 shown]
	v_pk_add_f32 v[6:7], v[30:31], v[4:5] neg_lo:[0,1] neg_hi:[0,1]
	v_mul_f32_e32 v17, 0x3fb8aa3b, v7
	v_pk_add_f32 v[2:3], v[2:3], v[4:5] neg_lo:[0,1] neg_hi:[0,1]
	v_mul_f32_e32 v18, 0x3fb8aa3b, v6
	v_fma_f32 v22, v7, s0, -v17
	v_rndne_f32_e32 v23, v17
	v_mul_f32_e32 v20, 0x3fb8aa3b, v3
	v_fma_f32 v24, v6, s0, -v18
	v_rndne_f32_e32 v25, v18
	v_fmac_f32_e32 v22, 0x32a5705f, v7
	v_sub_f32_e32 v17, v17, v23
	v_mul_f32_e32 v21, 0x3fb8aa3b, v2
	v_fma_f32 v26, v3, s0, -v20
	v_rndne_f32_e32 v27, v20
	v_fmac_f32_e32 v24, 0x32a5705f, v6
	v_sub_f32_e32 v18, v18, v25
	v_add_f32_e32 v17, v17, v22
	v_fma_f32 v28, v2, s0, -v21
	v_rndne_f32_e32 v29, v21
	v_cvt_i32_f32_e32 v23, v23
	v_fmac_f32_e32 v26, 0x32a5705f, v3
	v_sub_f32_e32 v20, v20, v27
	v_add_f32_e32 v18, v18, v24
	v_exp_f32_e32 v17, v17
	v_cvt_i32_f32_e32 v25, v25
	v_fmac_f32_e32 v28, 0x32a5705f, v2
	v_sub_f32_e32 v21, v21, v29
	v_add_f32_e32 v20, v20, v26
	v_exp_f32_e32 v18, v18
	v_cvt_i32_f32_e32 v27, v27
	v_add_f32_e32 v21, v21, v28
	v_exp_f32_e32 v20, v20
	v_cvt_i32_f32_e32 v29, v29
	v_exp_f32_e32 v21, v21
	v_ldexp_f32 v17, v17, v23
	v_cmp_ngt_f32_e32 vcc, s1, v7
	v_ldexp_f32 v18, v18, v25
	v_cndmask_b32_e32 v17, 0, v17, vcc
	v_cmp_ngt_f32_e32 vcc, s1, v6
	v_ldexp_f32 v20, v20, v27
	v_cndmask_b32_e32 v18, 0, v18, vcc
	;; [unrolled: 3-line block ×3, first 2 shown]
	v_cmp_ngt_f32_e32 vcc, s1, v2
	v_cndmask_b32_e32 v21, 0, v21, vcc
	v_cmp_nlt_f32_e32 vcc, s2, v7
	v_cndmask_b32_e32 v7, v16, v17, vcc
	v_cmp_nlt_f32_e32 vcc, s2, v6
	;; [unrolled: 2-line block ×4, first 2 shown]
	v_cndmask_b32_e32 v2, v16, v21, vcc
	v_cvt_f16_f32_e32 v17, v6
	v_pk_fma_f32 v[0:1], v[0:1], v[6:7], v[2:3]
	v_cvt_f16_f32_e32 v2, v7
	v_pk_mov_b32 v[30:31], v[4:5], v[4:5] op_sel:[0,1]
	v_pk_mul_f16 v48, v17, v48 op_sel_hi:[0,1]
	v_pk_mul_f16 v12, v17, v12 op_sel_hi:[0,1]
	;; [unrolled: 1-line block ×8, first 2 shown]
.LBB17_12:
	v_cmp_gt_i32_e32 vcc, s26, v9
	s_and_saveexec_b64 s[0:1], vcc
	s_cbranch_execz .LBB17_21
; %bb.13:
	s_load_dword s6, s[4:5], 0xd4
	v_mov_b32_e32 v4, 1.0
	s_waitcnt lgkmcnt(0)
	s_cmp_lg_u32 s6, 1
	s_cselect_b64 s[0:1], -1, 0
	s_cmp_eq_u32 s6, 1
	s_cselect_b64 s[2:3], -1, 0
	s_and_b64 vcc, exec, s[0:1]
	s_cbranch_vccnz .LBB17_15
; %bb.14:
	v_div_scale_f32 v2, s[4:5], v0, v0, 1.0
	v_rcp_f32_e32 v3, v2
	v_div_scale_f32 v4, vcc, 1.0, v0, 1.0
	v_fma_f32 v5, -v2, v3, 1.0
	v_fmac_f32_e32 v3, v5, v3
	v_mul_f32_e32 v5, v4, v3
	v_fma_f32 v6, -v2, v5, v4
	v_fmac_f32_e32 v5, v6, v3
	v_fma_f32 v2, -v2, v5, v4
	v_div_fmas_f32 v2, v2, v3, v5
	v_div_fixup_f32 v4, v2, v0, 1.0
.LBB17_15:
	s_mul_i32 s33, s33, s26
	v_add_u32_e32 v2, s33, v9
	v_mul_lo_u32 v2, v2, s27
	v_add3_u32 v2, s29, v11, v2
	v_mul_lo_u32 v2, s6, v2
	v_cmp_eq_u32_e32 vcc, 0, v8
	v_add_u32_e32 v2, s7, v2
	v_cvt_f32_f16_sdwa v9, v48 dst_sel:DWORD dst_unused:UNUSED_PAD src0_sel:WORD_1
	v_cvt_f32_f16_e32 v8, v48
	v_cvt_f32_f16_sdwa v21, v12 dst_sel:DWORD dst_unused:UNUSED_PAD src0_sel:WORD_1
	v_cvt_f32_f16_e32 v20, v12
	v_lshl_add_u32 v16, v2, 8, v13
	v_mov_b32_e32 v17, 0
	v_lshlrev_b64 v[6:7], 2, v[16:17]
	s_and_b64 s[0:1], vcc, s[0:1]
	v_mov_b32_e32 v3, s21
	v_add_co_u32_e32 v22, vcc, s20, v6
	v_addc_co_u32_e32 v23, vcc, v3, v7, vcc
	v_pk_mul_f32 v[6:7], v[4:5], v[8:9] op_sel_hi:[0,1]
	v_pk_mul_f32 v[8:9], v[4:5], v[20:21] op_sel_hi:[0,1]
	v_add_u32_e32 v16, 0x80, v16
	global_store_dwordx4 v[22:23], v[6:9], off
	s_nop 0
	v_lshlrev_b64 v[6:7], 2, v[16:17]
	v_cvt_f32_f16_sdwa v9, v49 dst_sel:DWORD dst_unused:UNUSED_PAD src0_sel:WORD_1
	v_cvt_f32_f16_e32 v8, v49
	v_cvt_f32_f16_sdwa v17, v14 dst_sel:DWORD dst_unused:UNUSED_PAD src0_sel:WORD_1
	v_cvt_f32_f16_e32 v16, v14
	v_add_co_u32_e32 v20, vcc, s20, v6
	v_addc_co_u32_e32 v21, vcc, v3, v7, vcc
	v_pk_mul_f32 v[6:7], v[4:5], v[8:9] op_sel_hi:[0,1]
	v_pk_mul_f32 v[8:9], v[4:5], v[16:17] op_sel_hi:[0,1]
	global_store_dwordx4 v[20:21], v[6:9], off
	s_and_saveexec_b64 s[4:5], s[0:1]
	s_cbranch_execz .LBB17_17
; %bb.16:
	v_ashrrev_i32_e32 v3, 31, v2
	v_lshlrev_b64 v[4:5], 3, v[2:3]
	v_mov_b32_e32 v3, s23
	v_add_co_u32_e32 v4, vcc, s22, v4
	v_addc_co_u32_e32 v5, vcc, v3, v5, vcc
	v_mov_b32_e32 v6, v30
	v_mov_b32_e32 v7, v0
	global_store_dwordx2 v[4:5], v[6:7], off
.LBB17_17:
	s_or_b64 exec, exec, s[4:5]
	s_andn2_b64 vcc, exec, s[2:3]
	v_mov_b32_e32 v0, 1.0
	s_cbranch_vccnz .LBB17_19
; %bb.18:
	v_div_scale_f32 v0, s[2:3], v1, v1, 1.0
	v_rcp_f32_e32 v3, v0
	v_div_scale_f32 v4, vcc, 1.0, v1, 1.0
	v_fma_f32 v5, -v0, v3, 1.0
	v_fmac_f32_e32 v3, v5, v3
	v_mul_f32_e32 v5, v4, v3
	v_fma_f32 v6, -v0, v5, v4
	v_fmac_f32_e32 v5, v6, v3
	v_fma_f32 v0, -v0, v5, v4
	v_div_fmas_f32 v0, v0, v3, v5
	v_div_fixup_f32 v0, v0, v1, 1.0
.LBB17_19:
	v_add_u32_e32 v2, s6, v2
	v_cvt_f32_f16_sdwa v7, v19 dst_sel:DWORD dst_unused:UNUSED_PAD src0_sel:WORD_1
	v_cvt_f32_f16_e32 v6, v19
	v_cvt_f32_f16_sdwa v11, v10 dst_sel:DWORD dst_unused:UNUSED_PAD src0_sel:WORD_1
	v_cvt_f32_f16_e32 v10, v10
	v_lshl_add_u32 v8, v2, 8, v13
	v_mov_b32_e32 v9, 0
	v_lshlrev_b64 v[4:5], 2, v[8:9]
	v_mov_b32_e32 v3, s21
	v_add_co_u32_e32 v12, vcc, s20, v4
	v_addc_co_u32_e32 v13, vcc, v3, v5, vcc
	v_pk_mul_f32 v[4:5], v[0:1], v[6:7] op_sel_hi:[0,1]
	v_pk_mul_f32 v[6:7], v[0:1], v[10:11] op_sel_hi:[0,1]
	v_add_u32_e32 v8, 0x80, v8
	global_store_dwordx4 v[12:13], v[4:7], off
	s_nop 0
	v_lshlrev_b64 v[4:5], 2, v[8:9]
	v_cvt_f32_f16_sdwa v7, v40 dst_sel:DWORD dst_unused:UNUSED_PAD src0_sel:WORD_1
	v_cvt_f32_f16_e32 v6, v40
	v_cvt_f32_f16_sdwa v9, v15 dst_sel:DWORD dst_unused:UNUSED_PAD src0_sel:WORD_1
	v_cvt_f32_f16_e32 v8, v15
	v_add_co_u32_e32 v10, vcc, s20, v4
	v_addc_co_u32_e32 v11, vcc, v3, v5, vcc
	v_pk_mul_f32 v[4:5], v[0:1], v[6:7] op_sel_hi:[0,1]
	v_pk_mul_f32 v[6:7], v[0:1], v[8:9] op_sel_hi:[0,1]
	global_store_dwordx4 v[10:11], v[4:7], off
	s_and_b64 exec, exec, s[0:1]
	s_cbranch_execz .LBB17_21
; %bb.20:
	v_ashrrev_i32_e32 v3, 31, v2
	v_lshlrev_b64 v[2:3], 3, v[2:3]
	v_mov_b32_e32 v0, s23
	v_add_co_u32_e32 v2, vcc, s22, v2
	v_addc_co_u32_e32 v3, vcc, v0, v3, vcc
	v_mov_b32_e32 v0, v31
	global_store_dwordx2 v[2:3], v[0:1], off
.LBB17_21:
	s_endpgm
	.section	.rodata,"a",@progbits
	.p2align	6, 0x0
	.amdhsa_kernel _ZL15flash_attn_tileILi256ELi256ELi4ELi4ELb0EEvPKcS1_S1_S1_S1_PKiPfP15HIP_vector_typeIfLj2EEffffjfiS5_IjLj3EEiiiiiiiiiiiliiliiiiil
		.amdhsa_group_segment_fixed_size 17920
		.amdhsa_private_segment_fixed_size 0
		.amdhsa_kernarg_size 464
		.amdhsa_user_sgpr_count 6
		.amdhsa_user_sgpr_private_segment_buffer 1
		.amdhsa_user_sgpr_dispatch_ptr 0
		.amdhsa_user_sgpr_queue_ptr 0
		.amdhsa_user_sgpr_kernarg_segment_ptr 1
		.amdhsa_user_sgpr_dispatch_id 0
		.amdhsa_user_sgpr_flat_scratch_init 0
		.amdhsa_user_sgpr_kernarg_preload_length 0
		.amdhsa_user_sgpr_kernarg_preload_offset 0
		.amdhsa_user_sgpr_private_segment_size 0
		.amdhsa_uses_dynamic_stack 0
		.amdhsa_system_sgpr_private_segment_wavefront_offset 0
		.amdhsa_system_sgpr_workgroup_id_x 1
		.amdhsa_system_sgpr_workgroup_id_y 1
		.amdhsa_system_sgpr_workgroup_id_z 1
		.amdhsa_system_sgpr_workgroup_info 0
		.amdhsa_system_vgpr_workitem_id 1
		.amdhsa_next_free_vgpr 142
		.amdhsa_next_free_sgpr 40
		.amdhsa_accum_offset 144
		.amdhsa_reserve_vcc 1
		.amdhsa_reserve_flat_scratch 0
		.amdhsa_float_round_mode_32 0
		.amdhsa_float_round_mode_16_64 0
		.amdhsa_float_denorm_mode_32 3
		.amdhsa_float_denorm_mode_16_64 3
		.amdhsa_dx10_clamp 1
		.amdhsa_ieee_mode 1
		.amdhsa_fp16_overflow 0
		.amdhsa_tg_split 0
		.amdhsa_exception_fp_ieee_invalid_op 0
		.amdhsa_exception_fp_denorm_src 0
		.amdhsa_exception_fp_ieee_div_zero 0
		.amdhsa_exception_fp_ieee_overflow 0
		.amdhsa_exception_fp_ieee_underflow 0
		.amdhsa_exception_fp_ieee_inexact 0
		.amdhsa_exception_int_div_zero 0
	.end_amdhsa_kernel
	.section	.text._ZL15flash_attn_tileILi256ELi256ELi4ELi4ELb0EEvPKcS1_S1_S1_S1_PKiPfP15HIP_vector_typeIfLj2EEffffjfiS5_IjLj3EEiiiiiiiiiiiliiliiiiil,"axG",@progbits,_ZL15flash_attn_tileILi256ELi256ELi4ELi4ELb0EEvPKcS1_S1_S1_S1_PKiPfP15HIP_vector_typeIfLj2EEffffjfiS5_IjLj3EEiiiiiiiiiiiliiliiiiil,comdat
.Lfunc_end17:
	.size	_ZL15flash_attn_tileILi256ELi256ELi4ELi4ELb0EEvPKcS1_S1_S1_S1_PKiPfP15HIP_vector_typeIfLj2EEffffjfiS5_IjLj3EEiiiiiiiiiiiliiliiiiil, .Lfunc_end17-_ZL15flash_attn_tileILi256ELi256ELi4ELi4ELb0EEvPKcS1_S1_S1_S1_PKiPfP15HIP_vector_typeIfLj2EEffffjfiS5_IjLj3EEiiiiiiiiiiiliiliiiiil
                                        ; -- End function
	.section	.AMDGPU.csdata,"",@progbits
; Kernel info:
; codeLenInByte = 9952
; NumSgprs: 44
; NumVgprs: 142
; NumAgprs: 0
; TotalNumVgprs: 142
; ScratchSize: 0
; MemoryBound: 0
; FloatMode: 240
; IeeeMode: 1
; LDSByteSize: 17920 bytes/workgroup (compile time only)
; SGPRBlocks: 5
; VGPRBlocks: 17
; NumSGPRsForWavesPerEU: 44
; NumVGPRsForWavesPerEU: 142
; AccumOffset: 144
; Occupancy: 3
; WaveLimiterHint : 1
; COMPUTE_PGM_RSRC2:SCRATCH_EN: 0
; COMPUTE_PGM_RSRC2:USER_SGPR: 6
; COMPUTE_PGM_RSRC2:TRAP_HANDLER: 0
; COMPUTE_PGM_RSRC2:TGID_X_EN: 1
; COMPUTE_PGM_RSRC2:TGID_Y_EN: 1
; COMPUTE_PGM_RSRC2:TGID_Z_EN: 1
; COMPUTE_PGM_RSRC2:TIDIG_COMP_CNT: 1
; COMPUTE_PGM_RSRC3_GFX90A:ACCUM_OFFSET: 35
; COMPUTE_PGM_RSRC3_GFX90A:TG_SPLIT: 0
	.section	.text._ZL33flash_attn_stream_k_fixup_uniformILi256ELi4ELi4EEvPfPK15HIP_vector_typeIfLj2EEiiiiiiS1_IjLj3EES5_S5_,"axG",@progbits,_ZL33flash_attn_stream_k_fixup_uniformILi256ELi4ELi4EEvPfPK15HIP_vector_typeIfLj2EEiiiiiiS1_IjLj3EES5_S5_,comdat
	.globl	_ZL33flash_attn_stream_k_fixup_uniformILi256ELi4ELi4EEvPfPK15HIP_vector_typeIfLj2EEiiiiiiS1_IjLj3EES5_S5_ ; -- Begin function _ZL33flash_attn_stream_k_fixup_uniformILi256ELi4ELi4EEvPfPK15HIP_vector_typeIfLj2EEiiiiiiS1_IjLj3EES5_S5_
	.p2align	8
	.type	_ZL33flash_attn_stream_k_fixup_uniformILi256ELi4ELi4EEvPfPK15HIP_vector_typeIfLj2EEiiiiiiS1_IjLj3EES5_S5_,@function
_ZL33flash_attn_stream_k_fixup_uniformILi256ELi4ELi4EEvPfPK15HIP_vector_typeIfLj2EEiiiiiiS1_IjLj3EES5_S5_: ; @_ZL33flash_attn_stream_k_fixup_uniformILi256ELi4ELi4EEvPfPK15HIP_vector_typeIfLj2EEiiiiiiS1_IjLj3EES5_S5_
; %bb.0:
	s_load_dwordx8 s[12:19], s[4:5], 0x1c
	s_load_dwordx2 s[10:11], s[4:5], 0x10
	s_load_dwordx4 s[0:3], s[4:5], 0x3c
	s_waitcnt lgkmcnt(0)
	s_mul_hi_u32 s9, s15, s6
	s_add_i32 s9, s6, s9
	s_lshr_b32 s9, s9, s16
	s_mul_i32 s15, s9, s17
	s_sub_i32 s15, s6, s15
	s_mul_hi_u32 s16, s15, s18
	s_add_i32 s16, s15, s16
	s_lshr_b32 s16, s16, s19
	s_mul_i32 s0, s16, s0
	s_sub_i32 s0, s15, s0
	;; [unrolled: 5-line block ×3, first 2 shown]
	s_lshl_b32 s0, s17, 2
	s_lshl_b32 s15, s1, 2
	s_add_i32 s0, s0, s7
	s_cmp_lt_i32 s0, s10
	s_cselect_b64 s[0:1], -1, 0
	s_add_i32 s2, s15, s8
	s_cmp_lt_i32 s2, s13
	s_cselect_b64 s[2:3], -1, 0
	s_and_b64 s[0:1], s[0:1], s[2:3]
	s_andn2_b64 vcc, exec, s[0:1]
	s_cbranch_vccnz .LBB18_6
; %bb.1:
	s_load_dwordx4 s[0:3], s[4:5], 0x0
	s_mul_i32 s4, s9, s10
	s_add_i32 s4, s4, s7
	s_mul_i32 s4, s4, s11
	s_mul_i32 s16, s16, s13
	s_add_i32 s4, s4, s8
	s_add_i32 s4, s4, s16
	s_mul_i32 s5, s11, s17
	s_add_i32 s4, s4, s15
	s_lshl_b32 s5, s5, 10
	s_lshl_b32 s4, s4, 8
	s_add_i32 s5, s5, s4
	v_or_b32_e32 v2, s5, v0
	v_ashrrev_i32_e32 v3, 31, v2
	v_lshlrev_b64 v[2:3], 2, v[2:3]
	s_waitcnt lgkmcnt(0)
	v_mov_b32_e32 v1, s1
	v_add_co_u32_e32 v2, vcc, s0, v2
	v_addc_co_u32_e32 v3, vcc, v1, v3, vcc
	global_load_dword v8, v[2:3], off
	s_mul_i32 s9, s6, s14
	s_lshl_b32 s4, s7, 2
	s_add_i32 s11, s9, s14
	s_add_i32 s0, s4, s8
	s_lshl_b32 s1, s11, 4
	s_add_i32 s0, s0, s1
	s_add_i32 s0, s0, -16
	s_ashr_i32 s1, s0, 31
	s_lshl_b64 s[0:1], s[0:1], 3
	s_add_u32 s0, s2, s0
	s_addc_u32 s1, s3, s1
	s_load_dword s5, s[0:1], 0x4
	s_add_i32 s10, s11, -2
	s_cmp_lt_i32 s10, s9
	s_cbranch_scc1 .LBB18_4
; %bb.2:
	s_lshl_b32 s16, s12, 6
	s_ashr_i32 s17, s16, 31
	s_lshl_b64 s[16:17], s[16:17], 2
	s_add_u32 s10, s2, s16
	s_addc_u32 s13, s3, s17
	s_add_i32 s6, s6, 1
	s_load_dword s0, s[0:1], 0x0
	s_mul_i32 s1, s14, s6
	s_lshl_b32 s7, s7, 10
	s_lshl_b32 s14, s8, 8
	s_lshl_b32 s6, s1, 12
	s_add_i32 s7, s14, s7
	s_lshl_b32 s1, s1, 4
	s_add_i32 s7, s7, s6
	s_add_i32 s1, s8, s1
	s_lshl_b32 s6, s12, 4
	s_add_i32 s1, s1, s6
	v_or_b32_e32 v0, s7, v0
	s_add_i32 s1, s1, s4
	s_add_i32 s11, s11, -1
	v_add_u32_e32 v0, 0xffffe000, v0
	s_sub_i32 s4, s1, 32
	s_waitcnt lgkmcnt(0)
	v_mov_b32_e32 v7, s5
	v_mov_b32_e32 v6, s0
	;; [unrolled: 1-line block ×3, first 2 shown]
	s_mov_b32 s6, 0x3fb8aa3b
	s_mov_b32 s7, 0xc2ce8ed0
	;; [unrolled: 1-line block ×3, first 2 shown]
	v_mov_b32_e32 v5, 0x7f800000
	s_mov_b32 s12, 0xc1a00000
.LBB18_3:                               ; =>This Inner Loop Header: Depth=1
	v_ashrrev_i32_e32 v1, 31, v0
	v_lshlrev_b64 v[10:11], 2, v[0:1]
	v_add_co_u32_e32 v10, vcc, s10, v10
	v_addc_co_u32_e32 v11, vcc, v4, v11, vcc
	global_load_dword v1, v[10:11], off
	s_ashr_i32 s5, s4, 31
	s_lshl_b64 s[0:1], s[4:5], 3
	s_add_u32 s0, s2, s0
	s_addc_u32 s1, s3, s1
	s_load_dwordx2 s[14:15], s[0:1], 0x0
	s_waitcnt vmcnt(1)
	v_mov_b32_e32 v9, v8
	v_max_f32_e32 v8, v6, v6
	v_mov_b32_e32 v10, v7
	s_add_i32 s11, s11, -1
	s_waitcnt lgkmcnt(0)
	v_max_f32_e64 v7, s14, s14
	v_max_f32_e32 v7, v8, v7
	v_sub_f32_e32 v11, s14, v7
	v_sub_f32_e32 v8, v6, v7
	v_mul_f32_e32 v12, 0x3fb8aa3b, v11
	v_mov_b32_e32 v6, v7
	v_mul_f32_e32 v7, 0x3fb8aa3b, v8
	v_fma_f32 v15, v11, s6, -v12
	v_rndne_f32_e32 v16, v12
	v_fma_f32 v13, v8, s6, -v7
	v_rndne_f32_e32 v14, v7
	v_fmac_f32_e32 v15, 0x32a5705f, v11
	v_sub_f32_e32 v12, v12, v16
	v_fmac_f32_e32 v13, 0x32a5705f, v8
	v_sub_f32_e32 v7, v7, v14
	v_add_f32_e32 v12, v12, v15
	v_cvt_i32_f32_e32 v16, v16
	v_add_f32_e32 v7, v7, v13
	v_exp_f32_e32 v12, v12
	v_cvt_i32_f32_e32 v14, v14
	v_exp_f32_e32 v7, v7
	v_cmp_ngt_f32_e32 vcc, s7, v11
	v_ldexp_f32 v12, v12, v16
	v_cmp_ngt_f32_e64 s[0:1], s7, v8
	v_ldexp_f32 v7, v7, v14
	v_cndmask_b32_e32 v12, 0, v12, vcc
	v_cmp_nlt_f32_e32 vcc, s8, v11
	v_cndmask_b32_e64 v7, 0, v7, s[0:1]
	v_cmp_nlt_f32_e64 s[0:1], s8, v8
	v_cndmask_b32_e32 v12, v5, v12, vcc
	v_cmp_le_f32_e32 vcc, s12, v11
	v_cndmask_b32_e64 v7, v5, v7, s[0:1]
	v_cmp_le_f32_e64 s[0:1], s12, v8
	v_cndmask_b32_e32 v8, 0, v12, vcc
	s_add_i32 s4, s4, -16
	v_cndmask_b32_e64 v11, 0, v7, s[0:1]
	v_mul_f32_e32 v7, s15, v8
	v_add_u32_e32 v0, 0xfffff000, v0
	s_cmp_le_i32 s11, s9
	v_fmac_f32_e32 v7, v10, v11
	s_waitcnt vmcnt(0)
	v_mul_f32_e32 v8, v1, v8
	v_fmac_f32_e32 v8, v9, v11
	s_cbranch_scc0 .LBB18_3
	s_branch .LBB18_5
.LBB18_4:
	s_waitcnt lgkmcnt(0)
	v_mov_b32_e32 v7, s5
.LBB18_5:
	s_waitcnt vmcnt(0)
	v_div_scale_f32 v0, s[0:1], v7, v7, v8
	v_rcp_f32_e32 v1, v0
	v_div_scale_f32 v4, vcc, v8, v7, v8
	v_fma_f32 v5, -v0, v1, 1.0
	v_fmac_f32_e32 v1, v5, v1
	v_mul_f32_e32 v5, v4, v1
	v_fma_f32 v6, -v0, v5, v4
	v_fmac_f32_e32 v5, v6, v1
	v_fma_f32 v0, -v0, v5, v4
	v_div_fmas_f32 v0, v0, v1, v5
	v_div_fixup_f32 v0, v0, v7, v8
	global_store_dword v[2:3], v0, off
.LBB18_6:
	s_endpgm
	.section	.rodata,"a",@progbits
	.p2align	6, 0x0
	.amdhsa_kernel _ZL33flash_attn_stream_k_fixup_uniformILi256ELi4ELi4EEvPfPK15HIP_vector_typeIfLj2EEiiiiiiS1_IjLj3EES5_S5_
		.amdhsa_group_segment_fixed_size 0
		.amdhsa_private_segment_fixed_size 0
		.amdhsa_kernarg_size 76
		.amdhsa_user_sgpr_count 6
		.amdhsa_user_sgpr_private_segment_buffer 1
		.amdhsa_user_sgpr_dispatch_ptr 0
		.amdhsa_user_sgpr_queue_ptr 0
		.amdhsa_user_sgpr_kernarg_segment_ptr 1
		.amdhsa_user_sgpr_dispatch_id 0
		.amdhsa_user_sgpr_flat_scratch_init 0
		.amdhsa_user_sgpr_kernarg_preload_length 0
		.amdhsa_user_sgpr_kernarg_preload_offset 0
		.amdhsa_user_sgpr_private_segment_size 0
		.amdhsa_uses_dynamic_stack 0
		.amdhsa_system_sgpr_private_segment_wavefront_offset 0
		.amdhsa_system_sgpr_workgroup_id_x 1
		.amdhsa_system_sgpr_workgroup_id_y 1
		.amdhsa_system_sgpr_workgroup_id_z 1
		.amdhsa_system_sgpr_workgroup_info 0
		.amdhsa_system_vgpr_workitem_id 0
		.amdhsa_next_free_vgpr 17
		.amdhsa_next_free_sgpr 20
		.amdhsa_accum_offset 20
		.amdhsa_reserve_vcc 1
		.amdhsa_reserve_flat_scratch 0
		.amdhsa_float_round_mode_32 0
		.amdhsa_float_round_mode_16_64 0
		.amdhsa_float_denorm_mode_32 3
		.amdhsa_float_denorm_mode_16_64 3
		.amdhsa_dx10_clamp 1
		.amdhsa_ieee_mode 1
		.amdhsa_fp16_overflow 0
		.amdhsa_tg_split 0
		.amdhsa_exception_fp_ieee_invalid_op 0
		.amdhsa_exception_fp_denorm_src 0
		.amdhsa_exception_fp_ieee_div_zero 0
		.amdhsa_exception_fp_ieee_overflow 0
		.amdhsa_exception_fp_ieee_underflow 0
		.amdhsa_exception_fp_ieee_inexact 0
		.amdhsa_exception_int_div_zero 0
	.end_amdhsa_kernel
	.section	.text._ZL33flash_attn_stream_k_fixup_uniformILi256ELi4ELi4EEvPfPK15HIP_vector_typeIfLj2EEiiiiiiS1_IjLj3EES5_S5_,"axG",@progbits,_ZL33flash_attn_stream_k_fixup_uniformILi256ELi4ELi4EEvPfPK15HIP_vector_typeIfLj2EEiiiiiiS1_IjLj3EES5_S5_,comdat
.Lfunc_end18:
	.size	_ZL33flash_attn_stream_k_fixup_uniformILi256ELi4ELi4EEvPfPK15HIP_vector_typeIfLj2EEiiiiiiS1_IjLj3EES5_S5_, .Lfunc_end18-_ZL33flash_attn_stream_k_fixup_uniformILi256ELi4ELi4EEvPfPK15HIP_vector_typeIfLj2EEiiiiiiS1_IjLj3EES5_S5_
                                        ; -- End function
	.section	.AMDGPU.csdata,"",@progbits
; Kernel info:
; codeLenInByte = 856
; NumSgprs: 24
; NumVgprs: 17
; NumAgprs: 0
; TotalNumVgprs: 17
; ScratchSize: 0
; MemoryBound: 0
; FloatMode: 240
; IeeeMode: 1
; LDSByteSize: 0 bytes/workgroup (compile time only)
; SGPRBlocks: 2
; VGPRBlocks: 2
; NumSGPRsForWavesPerEU: 24
; NumVGPRsForWavesPerEU: 17
; AccumOffset: 20
; Occupancy: 8
; WaveLimiterHint : 0
; COMPUTE_PGM_RSRC2:SCRATCH_EN: 0
; COMPUTE_PGM_RSRC2:USER_SGPR: 6
; COMPUTE_PGM_RSRC2:TRAP_HANDLER: 0
; COMPUTE_PGM_RSRC2:TGID_X_EN: 1
; COMPUTE_PGM_RSRC2:TGID_Y_EN: 1
; COMPUTE_PGM_RSRC2:TGID_Z_EN: 1
; COMPUTE_PGM_RSRC2:TIDIG_COMP_CNT: 0
; COMPUTE_PGM_RSRC3_GFX90A:ACCUM_OFFSET: 4
; COMPUTE_PGM_RSRC3_GFX90A:TG_SPLIT: 0
	.section	.text._ZL33flash_attn_stream_k_fixup_generalILi256ELi4ELi4EEvPfPK15HIP_vector_typeIfLj2EEiiiiS1_IjLj3EES5_S5_S5_,"axG",@progbits,_ZL33flash_attn_stream_k_fixup_generalILi256ELi4ELi4EEvPfPK15HIP_vector_typeIfLj2EEiiiiS1_IjLj3EES5_S5_S5_,comdat
	.globl	_ZL33flash_attn_stream_k_fixup_generalILi256ELi4ELi4EEvPfPK15HIP_vector_typeIfLj2EEiiiiS1_IjLj3EES5_S5_S5_ ; -- Begin function _ZL33flash_attn_stream_k_fixup_generalILi256ELi4ELi4EEvPfPK15HIP_vector_typeIfLj2EEiiiiS1_IjLj3EES5_S5_S5_
	.p2align	8
	.type	_ZL33flash_attn_stream_k_fixup_generalILi256ELi4ELi4EEvPfPK15HIP_vector_typeIfLj2EEiiiiS1_IjLj3EES5_S5_S5_,@function
_ZL33flash_attn_stream_k_fixup_generalILi256ELi4ELi4EEvPfPK15HIP_vector_typeIfLj2EEiiiiS1_IjLj3EES5_S5_S5_: ; @_ZL33flash_attn_stream_k_fixup_generalILi256ELi4ELi4EEvPfPK15HIP_vector_typeIfLj2EEiiiiS1_IjLj3EES5_S5_S5_
; %bb.0:
	s_load_dwordx4 s[12:15], s[4:5], 0x10
	s_load_dword s9, s[4:5], 0x50
	s_mov_b32 s2, 0
	s_waitcnt lgkmcnt(0)
	s_mul_hi_i32 s3, s15, s6
	s_cmp_lg_u64 s[2:3], 0
	s_mul_i32 s2, s15, s6
	s_cbranch_scc0 .LBB19_21
; %bb.1:
	v_cvt_f32_u32_e32 v1, s9
	v_cvt_f32_ubyte0_e32 v2, 0
	s_sub_u32 s10, 0, s9
	s_subb_u32 s11, 0, 0
	v_madmk_f32 v1, v2, 0x4f800000, v1
	v_rcp_f32_e32 v1, v1
	v_mul_f32_e32 v1, 0x5f7ffffc, v1
	v_mul_f32_e32 v2, 0x2f800000, v1
	v_trunc_f32_e32 v2, v2
	v_madmk_f32 v1, v2, 0xcf800000, v1
	v_cvt_u32_f32_e32 v2, v2
	v_cvt_u32_f32_e32 v1, v1
	v_readfirstlane_b32 s16, v2
	v_readfirstlane_b32 s17, v1
	s_mul_i32 s18, s10, s16
	s_mul_hi_u32 s20, s10, s17
	s_mul_i32 s19, s11, s17
	s_add_i32 s18, s20, s18
	s_add_i32 s18, s18, s19
	s_mul_i32 s21, s10, s17
	s_mul_hi_u32 s19, s17, s18
	s_mul_i32 s20, s17, s18
	s_mul_hi_u32 s17, s17, s21
	s_add_u32 s17, s17, s20
	s_addc_u32 s19, 0, s19
	s_mul_hi_u32 s22, s16, s21
	s_mul_i32 s21, s16, s21
	s_add_u32 s17, s17, s21
	s_mul_hi_u32 s20, s16, s18
	s_addc_u32 s17, s19, s22
	s_addc_u32 s19, s20, 0
	s_mul_i32 s18, s16, s18
	s_add_u32 s17, s17, s18
	s_addc_u32 s18, 0, s19
	v_add_co_u32_e32 v1, vcc, s17, v1
	s_cmp_lg_u64 vcc, 0
	s_addc_u32 s16, s16, s18
	v_readfirstlane_b32 s18, v1
	s_mul_i32 s17, s10, s16
	s_mul_hi_u32 s19, s10, s18
	s_add_i32 s17, s19, s17
	s_mul_i32 s11, s11, s18
	s_add_i32 s17, s17, s11
	s_mul_i32 s10, s10, s18
	s_mul_hi_u32 s19, s16, s10
	s_mul_i32 s20, s16, s10
	s_mul_i32 s22, s18, s17
	s_mul_hi_u32 s10, s18, s10
	s_mul_hi_u32 s21, s18, s17
	s_add_u32 s10, s10, s22
	s_addc_u32 s18, 0, s21
	s_add_u32 s10, s10, s20
	s_mul_hi_u32 s11, s16, s17
	s_addc_u32 s10, s18, s19
	s_addc_u32 s11, s11, 0
	s_mul_i32 s17, s16, s17
	s_add_u32 s10, s10, s17
	s_addc_u32 s11, 0, s11
	v_add_co_u32_e32 v1, vcc, s10, v1
	s_cmp_lg_u64 vcc, 0
	s_addc_u32 s18, s16, s11
	s_ashr_i32 s10, s3, 31
	s_add_u32 s16, s2, s10
	s_mov_b32 s11, s10
	s_addc_u32 s17, s3, s10
	s_xor_b64 s[16:17], s[16:17], s[10:11]
	v_readfirstlane_b32 s20, v1
	s_mul_i32 s19, s16, s18
	s_mul_hi_u32 s21, s16, s20
	s_mul_hi_u32 s3, s16, s18
	s_add_u32 s19, s21, s19
	s_addc_u32 s3, 0, s3
	s_mul_hi_u32 s22, s17, s20
	s_mul_i32 s20, s17, s20
	s_add_u32 s19, s19, s20
	s_mul_hi_u32 s21, s17, s18
	s_addc_u32 s3, s3, s22
	s_addc_u32 s19, s21, 0
	s_mul_i32 s18, s17, s18
	s_add_u32 s3, s3, s18
	s_addc_u32 s18, 0, s19
	s_add_u32 s19, s3, 1
	s_addc_u32 s20, s18, 0
	s_add_u32 s21, s3, 2
	s_mul_i32 s23, s9, s18
	s_mul_hi_u32 s24, s9, s3
	s_addc_u32 s22, s18, 0
	s_add_i32 s24, s24, s23
	s_mul_i32 s23, s9, s3
	v_mov_b32_e32 v1, s23
	v_sub_co_u32_e32 v1, vcc, s16, v1
	s_cmp_lg_u64 vcc, 0
	s_subb_u32 s16, s17, s24
	v_subrev_co_u32_e32 v2, vcc, s9, v1
	s_cmp_lg_u64 vcc, 0
	s_subb_u32 s17, s16, 0
	v_readfirstlane_b32 s23, v2
	s_cmp_ge_u32 s23, s9
	s_cselect_b32 s23, -1, 0
	s_cmp_eq_u32 s17, 0
	s_cselect_b32 s17, s23, -1
	s_cmp_lg_u32 s17, 0
	s_cselect_b32 s17, s22, s20
	v_readfirstlane_b32 s20, v1
	s_cselect_b32 s19, s21, s19
	s_cmp_ge_u32 s20, s9
	s_cselect_b32 s20, -1, 0
	s_cmp_eq_u32 s16, 0
	s_cselect_b32 s16, s20, -1
	s_cmp_lg_u32 s16, 0
	s_cselect_b32 s17, s17, s18
	s_cselect_b32 s16, s19, s3
	s_xor_b64 s[16:17], s[16:17], s[10:11]
	s_sub_u32 s20, s16, s10
	s_load_dwordx4 s[16:19], s[4:5], 0x44
	s_cbranch_execnz .LBB19_3
.LBB19_2:
	v_cvt_f32_u32_e32 v1, s9
	s_sub_i32 s0, 0, s9
	v_rcp_iflag_f32_e32 v1, v1
	v_mul_f32_e32 v1, 0x4f7ffffe, v1
	v_cvt_u32_f32_e32 v1, v1
	v_readfirstlane_b32 s1, v1
	s_mul_i32 s0, s0, s1
	s_mul_hi_u32 s0, s1, s0
	s_add_i32 s1, s1, s0
	s_mul_hi_u32 s0, s2, s1
	s_mul_i32 s3, s0, s9
	s_sub_i32 s2, s2, s3
	s_add_i32 s1, s0, 1
	s_sub_i32 s3, s2, s9
	s_cmp_ge_u32 s2, s9
	s_cselect_b32 s0, s1, s0
	s_cselect_b32 s2, s3, s2
	s_add_i32 s1, s0, 1
	s_cmp_ge_u32 s2, s9
	s_cselect_b32 s20, s1, s0
.LBB19_3:
	s_add_i32 s0, s6, 1
	s_mul_hi_i32 s3, s15, s0
	s_mov_b32 s2, 0
	s_cmp_lg_u64 s[2:3], 0
	s_mul_i32 s2, s15, s0
	s_cbranch_scc0 .LBB19_22
; %bb.4:
	v_cvt_f32_u32_e32 v1, s9
	v_cvt_f32_ubyte0_e32 v2, 0
	s_sub_u32 s10, 0, s9
	s_subb_u32 s11, 0, 0
	v_madmk_f32 v1, v2, 0x4f800000, v1
	v_rcp_f32_e32 v1, v1
	v_mul_f32_e32 v1, 0x5f7ffffc, v1
	v_mul_f32_e32 v2, 0x2f800000, v1
	v_trunc_f32_e32 v2, v2
	v_madmk_f32 v1, v2, 0xcf800000, v1
	v_cvt_u32_f32_e32 v2, v2
	v_cvt_u32_f32_e32 v1, v1
	s_waitcnt lgkmcnt(0)
	v_readfirstlane_b32 s19, v2
	v_readfirstlane_b32 s21, v1
	s_mul_i32 s22, s10, s19
	s_mul_hi_u32 s24, s10, s21
	s_mul_i32 s23, s11, s21
	s_add_i32 s22, s24, s22
	s_add_i32 s22, s22, s23
	s_mul_i32 s25, s10, s21
	s_mul_hi_u32 s23, s21, s22
	s_mul_i32 s24, s21, s22
	s_mul_hi_u32 s21, s21, s25
	s_add_u32 s21, s21, s24
	s_addc_u32 s23, 0, s23
	s_mul_hi_u32 s26, s19, s25
	s_mul_i32 s25, s19, s25
	s_add_u32 s21, s21, s25
	s_mul_hi_u32 s24, s19, s22
	s_addc_u32 s21, s23, s26
	s_addc_u32 s23, s24, 0
	s_mul_i32 s22, s19, s22
	s_add_u32 s21, s21, s22
	s_addc_u32 s22, 0, s23
	v_add_co_u32_e32 v1, vcc, s21, v1
	s_cmp_lg_u64 vcc, 0
	s_addc_u32 s19, s19, s22
	v_readfirstlane_b32 s22, v1
	s_mul_i32 s21, s10, s19
	s_mul_hi_u32 s23, s10, s22
	s_add_i32 s21, s23, s21
	s_mul_i32 s11, s11, s22
	s_add_i32 s21, s21, s11
	s_mul_i32 s10, s10, s22
	s_mul_hi_u32 s23, s19, s10
	s_mul_i32 s24, s19, s10
	s_mul_i32 s26, s22, s21
	s_mul_hi_u32 s10, s22, s10
	s_mul_hi_u32 s25, s22, s21
	s_add_u32 s10, s10, s26
	s_addc_u32 s22, 0, s25
	s_add_u32 s10, s10, s24
	s_mul_hi_u32 s11, s19, s21
	s_addc_u32 s10, s22, s23
	s_addc_u32 s11, s11, 0
	s_mul_i32 s21, s19, s21
	s_add_u32 s10, s10, s21
	s_addc_u32 s11, 0, s11
	v_add_co_u32_e32 v1, vcc, s10, v1
	s_cmp_lg_u64 vcc, 0
	s_addc_u32 s19, s19, s11
	s_ashr_i32 s10, s3, 31
	s_add_u32 s22, s2, s10
	s_mov_b32 s11, s10
	s_addc_u32 s23, s3, s10
	s_xor_b64 s[22:23], s[22:23], s[10:11]
	v_readfirstlane_b32 s21, v1
	s_mul_i32 s11, s22, s19
	s_mul_hi_u32 s24, s22, s21
	s_mul_hi_u32 s3, s22, s19
	s_add_u32 s11, s24, s11
	s_addc_u32 s3, 0, s3
	s_mul_hi_u32 s25, s23, s21
	s_mul_i32 s21, s23, s21
	s_add_u32 s11, s11, s21
	s_mul_hi_u32 s24, s23, s19
	s_addc_u32 s3, s3, s25
	s_addc_u32 s11, s24, 0
	s_mul_i32 s19, s23, s19
	s_add_u32 s3, s3, s19
	s_addc_u32 s11, 0, s11
	s_mul_i32 s11, s9, s11
	s_mul_hi_u32 s24, s9, s3
	s_add_i32 s24, s24, s11
	s_mul_i32 s11, s9, s3
	v_mov_b32_e32 v1, s11
	s_add_u32 s19, s3, 1
	s_add_u32 s21, s3, 2
	v_sub_co_u32_e32 v1, vcc, s22, v1
	s_cmp_lg_u64 vcc, 0
	s_subb_u32 s11, s23, s24
	v_subrev_co_u32_e32 v2, vcc, s9, v1
	s_cmp_lg_u64 vcc, 0
	s_subb_u32 s22, s11, 0
	v_cmp_le_u32_e32 vcc, s9, v2
	s_cmp_eq_u32 s22, 0
	v_cndmask_b32_e64 v2, 0, -1, vcc
	s_cselect_b64 vcc, -1, 0
	v_cndmask_b32_e32 v2, -1, v2, vcc
	v_mov_b32_e32 v3, s19
	v_mov_b32_e32 v4, s21
	v_cmp_ne_u32_e32 vcc, 0, v2
	v_cndmask_b32_e32 v2, v3, v4, vcc
	v_cmp_le_u32_e32 vcc, s9, v1
	s_cmp_eq_u32 s11, 0
	v_cndmask_b32_e64 v1, 0, -1, vcc
	s_cselect_b64 vcc, -1, 0
	v_cndmask_b32_e32 v1, -1, v1, vcc
	v_mov_b32_e32 v3, s3
	v_cmp_ne_u32_e32 vcc, 0, v1
	v_cndmask_b32_e32 v1, v3, v2, vcc
	v_xor_b32_e32 v1, s10, v1
	v_subrev_co_u32_e32 v2, vcc, s10, v1
	s_cbranch_execnz .LBB19_6
.LBB19_5:
	v_cvt_f32_u32_e32 v1, s9
	s_sub_i32 s0, 0, s9
	s_mov_b32 s1, 0
	v_rcp_iflag_f32_e32 v1, v1
	v_mul_f32_e32 v1, 0x4f7ffffe, v1
	v_cvt_u32_f32_e32 v1, v1
	v_readfirstlane_b32 s3, v1
	s_mul_i32 s0, s0, s3
	s_mul_hi_u32 s0, s3, s0
	s_add_i32 s3, s3, s0
	s_mul_hi_u32 s0, s2, s3
	s_mul_i32 s10, s0, s9
	s_sub_i32 s2, s2, s10
	s_add_i32 s3, s0, 1
	s_sub_i32 s10, s2, s9
	s_cmp_ge_u32 s2, s9
	s_cselect_b32 s0, s3, s0
	s_cselect_b32 s2, s10, s2
	s_add_i32 s3, s0, 1
	s_cmp_ge_u32 s2, s9
	s_cselect_b32 s0, s3, s0
	v_pk_mov_b32 v[2:3], s[0:1], s[0:1] op_sel:[0,1]
.LBB19_6:
	s_waitcnt lgkmcnt(0)
	s_mul_hi_u32 s0, s20, s16
	s_add_i32 s0, s0, s20
	v_mul_hi_u32 v1, v2, s16
	s_lshr_b32 s19, s0, s17
	v_add_u32_e32 v1, v1, v2
	s_mul_i32 s0, s19, s18
	v_lshrrev_b32_e32 v1, s17, v1
	s_cmp_eq_u32 s0, s20
	v_cmp_eq_u32_e64 s[0:1], s19, v1
	v_mul_lo_u32 v1, v1, s18
	v_cmp_eq_u32_e32 vcc, s20, v2
	s_cselect_b64 s[10:11], -1, 0
	v_cmp_ne_u32_e64 s[2:3], v1, v2
	s_and_b64 s[0:1], s[0:1], s[2:3]
	s_or_b64 s[2:3], vcc, s[10:11]
	s_or_b64 s[0:1], s[2:3], s[0:1]
	s_and_b64 vcc, exec, s[0:1]
	s_cbranch_vccnz .LBB19_24
; %bb.7:
	s_load_dwordx8 s[24:31], s[4:5], 0x20
	s_load_dword s0, s[4:5], 0x40
	s_mov_b32 s10, 0
	s_waitcnt lgkmcnt(0)
	s_mul_hi_u32 s1, s20, s24
	s_add_i32 s1, s1, s20
	s_lshr_b32 s11, s1, s25
	s_mul_i32 s1, s11, s26
	s_sub_i32 s1, s20, s1
	s_mul_hi_u32 s2, s1, s27
	s_add_i32 s2, s1, s2
	s_lshr_b32 s24, s2, s28
	s_mul_i32 s2, s24, s29
	s_sub_i32 s1, s1, s2
	;; [unrolled: 5-line block ×3, first 2 shown]
	s_mul_hi_u32 s1, s0, s16
	s_add_i32 s0, s0, s1
	s_lshr_b32 s26, s0, s17
	s_lshl_b32 s0, s26, 2
	s_lshl_b32 s25, s2, 2
	s_add_i32 s0, s0, s7
	s_cmp_lt_i32 s0, s12
	s_cselect_b64 s[0:1], -1, 0
	s_add_i32 s2, s25, s8
	s_cmp_lt_i32 s2, s14
	s_cselect_b64 s[2:3], -1, 0
	s_and_b64 s[0:1], s[0:1], s[2:3]
	s_andn2_b64 vcc, exec, s[0:1]
	s_cbranch_vccnz .LBB19_24
; %bb.8:
	s_load_dwordx4 s[0:3], s[4:5], 0x0
	s_lshl_b32 s21, s7, 2
	s_lshl_b32 s4, s9, 6
	s_mov_b32 s5, s10
	s_add_i32 s21, s21, s8
	s_lshl_b64 s[4:5], s[4:5], 2
	s_waitcnt lgkmcnt(0)
	s_add_u32 s22, s2, s4
	s_mul_i32 s4, s11, s12
	s_addc_u32 s23, s3, s5
	s_add_i32 s4, s4, s7
	s_mul_i32 s4, s4, s13
	s_mul_i32 s24, s24, s14
	s_add_i32 s4, s4, s8
	s_add_i32 s4, s4, s24
	s_mul_i32 s5, s13, s26
	s_add_i32 s4, s4, s25
	s_lshl_b32 s5, s5, 10
	s_lshl_b32 s4, s4, 8
	s_add_i32 s5, s5, s4
	v_or_b32_e32 v2, s5, v0
	v_ashrrev_i32_e32 v3, 31, v2
	v_lshlrev_b64 v[2:3], 2, v[2:3]
	v_mov_b32_e32 v1, s1
	v_add_co_u32_e32 v2, vcc, s0, v2
	v_addc_co_u32_e32 v3, vcc, v1, v3, vcc
	global_load_dword v5, v[2:3], off
	v_lshl_or_b32 v4, s21, 8, v0
	v_cvt_f32_u32_e32 v0, s9
	v_cvt_f32_ubyte0_e32 v1, 0
	s_lshl_b32 s0, s6, 4
	s_add_i32 s0, s21, s0
	v_mac_f32_e32 v0, 0x4f800000, v1
	v_rcp_f32_e32 v0, v0
	v_cvt_f32_u32_e32 v1, s9
	s_ashr_i32 s1, s0, 31
	s_lshl_b64 s[0:1], s[0:1], 3
	v_mul_f32_e32 v0, 0x5f7ffffc, v0
	v_rcp_iflag_f32_e32 v1, v1
	s_add_u32 s0, s2, s0
	v_mul_f32_e32 v9, 0x2f800000, v0
	s_addc_u32 s1, s3, s1
	v_trunc_f32_e32 v10, v9
	s_load_dwordx2 s[0:1], s[0:1], 0x0
	v_mac_f32_e32 v0, 0xcf800000, v10
	v_cvt_u32_f32_e32 v9, v0
	v_mul_f32_e32 v0, 0x4f7ffffe, v1
	v_cvt_u32_f32_e32 v10, v10
	v_cvt_u32_f32_e32 v11, v0
	s_add_i32 s8, s6, -1
	s_waitcnt lgkmcnt(0)
	v_mov_b32_e32 v6, s1
	v_mov_b32_e32 v7, s0
	;; [unrolled: 1-line block ×3, first 2 shown]
	s_mov_b32 s6, 0x3fb8aa3b
	s_mov_b32 s7, 0xc2ce8ed0
	;; [unrolled: 1-line block ×4, first 2 shown]
	v_mov_b32_e32 v12, 0x7f800000
	s_mul_hi_i32 s11, s8, s15
	s_cmp_lg_u64 s[10:11], 0
	s_mul_i32 s4, s8, s15
	s_cbranch_scc0 .LBB19_15
.LBB19_9:
	s_sub_u32 s0, 0, s9
	v_readfirstlane_b32 s5, v9
	v_readfirstlane_b32 s24, v10
	s_subb_u32 s1, 0, 0
	s_mul_hi_u32 s20, s0, s5
	s_mul_i32 s25, s0, s24
	s_mul_i32 s14, s1, s5
	s_add_i32 s20, s20, s25
	s_add_i32 s20, s20, s14
	s_mul_i32 s26, s0, s5
	s_mul_hi_u32 s14, s5, s20
	s_mul_i32 s25, s5, s20
	s_mul_hi_u32 s5, s5, s26
	s_add_u32 s5, s5, s25
	s_addc_u32 s14, 0, s14
	s_mul_hi_u32 s27, s24, s26
	s_mul_i32 s26, s24, s26
	s_add_u32 s5, s5, s26
	s_mul_hi_u32 s25, s24, s20
	s_addc_u32 s5, s14, s27
	s_addc_u32 s14, s25, 0
	s_mul_i32 s20, s24, s20
	s_add_u32 s5, s5, s20
	s_addc_u32 s14, 0, s14
	v_add_co_u32_e32 v0, vcc, s5, v9
	s_cmp_lg_u64 vcc, 0
	s_addc_u32 s5, s24, s14
	v_readfirstlane_b32 s20, v0
	s_mul_i32 s14, s0, s5
	s_mul_hi_u32 s24, s0, s20
	s_add_i32 s14, s24, s14
	s_mul_i32 s1, s1, s20
	s_add_i32 s14, s14, s1
	s_mul_i32 s0, s0, s20
	s_mul_hi_u32 s24, s5, s0
	s_mul_i32 s25, s5, s0
	s_mul_i32 s27, s20, s14
	s_mul_hi_u32 s0, s20, s0
	s_mul_hi_u32 s26, s20, s14
	s_add_u32 s0, s0, s27
	s_addc_u32 s20, 0, s26
	s_add_u32 s0, s0, s25
	s_mul_hi_u32 s1, s5, s14
	s_addc_u32 s0, s20, s24
	s_addc_u32 s1, s1, 0
	s_mul_i32 s14, s5, s14
	s_add_u32 s0, s0, s14
	s_addc_u32 s1, 0, s1
	v_add_co_u32_e32 v0, vcc, s0, v0
	s_cmp_lg_u64 vcc, 0
	s_addc_u32 s5, s5, s1
	s_ashr_i32 s0, s11, 31
	s_add_u32 s24, s4, s0
	s_mov_b32 s1, s0
	s_addc_u32 s25, s11, s0
	s_xor_b64 s[24:25], s[24:25], s[0:1]
	v_readfirstlane_b32 s14, v0
	s_mul_i32 s11, s24, s5
	s_mul_hi_u32 s20, s24, s14
	s_mul_hi_u32 s1, s24, s5
	s_add_u32 s11, s20, s11
	s_addc_u32 s1, 0, s1
	s_mul_hi_u32 s26, s25, s14
	s_mul_i32 s14, s25, s14
	s_add_u32 s11, s11, s14
	s_mul_hi_u32 s20, s25, s5
	s_addc_u32 s1, s1, s26
	s_addc_u32 s11, s20, 0
	s_mul_i32 s5, s25, s5
	s_add_u32 s1, s1, s5
	s_addc_u32 s5, 0, s11
	s_mul_i32 s5, s9, s5
	s_mul_hi_u32 s20, s9, s1
	s_add_i32 s20, s20, s5
	s_mul_i32 s5, s9, s1
	v_mov_b32_e32 v0, s5
	s_add_u32 s11, s1, 1
	s_add_u32 s14, s1, 2
	v_sub_co_u32_e32 v0, vcc, s24, v0
	s_cmp_lg_u64 vcc, 0
	s_subb_u32 s5, s25, s20
	v_subrev_co_u32_e32 v1, vcc, s9, v0
	s_cmp_lg_u64 vcc, 0
	s_subb_u32 s20, s5, 0
	v_cmp_le_u32_e32 vcc, s9, v1
	s_cmp_eq_u32 s20, 0
	v_cndmask_b32_e64 v1, 0, -1, vcc
	s_cselect_b64 vcc, -1, 0
	v_cndmask_b32_e32 v1, -1, v1, vcc
	v_mov_b32_e32 v13, s11
	v_mov_b32_e32 v14, s14
	v_cmp_ne_u32_e32 vcc, 0, v1
	v_cndmask_b32_e32 v1, v13, v14, vcc
	v_cmp_le_u32_e32 vcc, s9, v0
	s_cmp_eq_u32 s5, 0
	v_cndmask_b32_e64 v0, 0, -1, vcc
	s_cselect_b64 vcc, -1, 0
	v_cndmask_b32_e32 v0, -1, v0, vcc
	v_mov_b32_e32 v13, s1
	v_cmp_ne_u32_e32 vcc, 0, v0
	v_cndmask_b32_e32 v0, v13, v1, vcc
	v_xor_b32_e32 v0, s0, v0
	v_subrev_co_u32_e32 v0, vcc, s0, v0
	s_cbranch_execnz .LBB19_11
.LBB19_10:
	s_sub_i32 s0, 0, s9
	v_mul_lo_u32 v0, s0, v11
	v_mul_hi_u32 v0, v11, v0
	v_add_u32_e32 v0, v11, v0
	v_mul_hi_u32 v0, s4, v0
	v_mul_lo_u32 v13, v0, s9
	v_sub_u32_e32 v13, s4, v13
	v_add_u32_e32 v1, 1, v0
	v_subrev_u32_e32 v14, s9, v13
	v_cmp_le_u32_e32 vcc, s9, v13
	v_cndmask_b32_e32 v13, v13, v14, vcc
	v_cndmask_b32_e32 v0, v0, v1, vcc
	v_add_u32_e32 v1, 1, v0
	v_cmp_le_u32_e32 vcc, s9, v13
	v_cndmask_b32_e32 v0, v0, v1, vcc
.LBB19_11:
	v_cmp_ne_u32_e32 vcc, v8, v0
	s_cbranch_vccz .LBB19_14
; %bb.12:
	s_add_i32 s0, s8, s9
	s_lshl_b32 s0, s0, 4
	v_mul_hi_u32 v1, v0, s16
	s_add_i32 s0, s0, s21
	s_mov_b32 s1, s10
	v_add_u32_e32 v1, v1, v0
	s_lshl_b64 s[0:1], s[0:1], 3
	v_lshrrev_b32_e32 v1, s17, v1
	s_add_u32 s4, s2, s0
	v_mul_lo_u32 v13, v1, s18
	s_addc_u32 s5, s3, s1
	v_cmp_eq_u32_e32 vcc, v13, v0
	v_cmp_gt_u32_e64 s[0:1], s19, v1
	s_or_b64 s[0:1], s[0:1], vcc
	s_and_b64 vcc, exec, s[0:1]
	s_cbranch_vccnz .LBB19_16
; %bb.13:
	s_add_i32 s11, s8, -1
	s_mov_b64 s[0:1], 0
	s_branch .LBB19_17
.LBB19_14:
                                        ; implicit-def: $sgpr0_sgpr1
                                        ; implicit-def: $vgpr14
                                        ; implicit-def: $vgpr1
                                        ; implicit-def: $vgpr13
                                        ; implicit-def: $sgpr11
                                        ; implicit-def: $vgpr0
	s_branch .LBB19_18
.LBB19_15:
                                        ; implicit-def: $vgpr0_vgpr1
	s_branch .LBB19_10
.LBB19_16:
	s_mov_b64 s[0:1], -1
	s_mov_b32 s11, s8
	v_mov_b32_e32 v0, v8
.LBB19_17:
	v_lshl_add_u32 v14, s8, 12, v4
	v_ashrrev_i32_e32 v15, 31, v14
	v_lshlrev_b64 v[14:15], 2, v[14:15]
	v_mov_b32_e32 v1, s23
	v_add_co_u32_e32 v14, vcc, s22, v14
	v_addc_co_u32_e32 v15, vcc, v1, v15, vcc
	global_load_dword v14, v[14:15], off
	s_load_dwordx2 s[4:5], s[4:5], 0x0
	v_max_f32_e32 v1, v7, v7
	s_waitcnt lgkmcnt(0)
	v_max_f32_e64 v13, s4, s4
	v_max_f32_e32 v1, v1, v13
	v_sub_f32_e32 v13, v7, v1
	v_sub_f32_e32 v15, s4, v1
	v_mul_f32_e32 v16, 0x3fb8aa3b, v13
	v_mul_f32_e32 v17, 0x3fb8aa3b, v15
	v_fma_f32 v18, v13, s6, -v16
	v_rndne_f32_e32 v19, v16
	v_fma_f32 v20, v15, s6, -v17
	v_rndne_f32_e32 v21, v17
	v_fmac_f32_e32 v18, 0x32a5705f, v13
	v_sub_f32_e32 v16, v16, v19
	v_fmac_f32_e32 v20, 0x32a5705f, v15
	v_sub_f32_e32 v17, v17, v21
	v_add_f32_e32 v16, v16, v18
	v_cvt_i32_f32_e32 v19, v19
	v_add_f32_e32 v17, v17, v20
	v_exp_f32_e32 v16, v16
	v_cvt_i32_f32_e32 v21, v21
	v_exp_f32_e32 v17, v17
	v_cmp_ngt_f32_e32 vcc, s7, v13
	v_ldexp_f32 v16, v16, v19
	v_cndmask_b32_e32 v16, 0, v16, vcc
	v_ldexp_f32 v17, v17, v21
	v_cmp_ngt_f32_e32 vcc, s7, v15
	v_cndmask_b32_e32 v17, 0, v17, vcc
	v_cmp_nlt_f32_e32 vcc, s12, v13
	v_cndmask_b32_e32 v16, v12, v16, vcc
	v_cmp_nlt_f32_e32 vcc, s12, v15
	v_cndmask_b32_e32 v17, v12, v17, vcc
	v_cmp_le_f32_e32 vcc, s13, v13
	v_cndmask_b32_e32 v16, 0, v16, vcc
	v_cmp_le_f32_e32 vcc, s13, v15
	v_cndmask_b32_e32 v15, 0, v17, vcc
	v_mul_f32_e32 v13, s5, v15
	v_fmac_f32_e32 v13, v6, v16
	s_waitcnt vmcnt(0)
	v_mul_f32_e32 v14, v14, v15
	v_fmac_f32_e32 v14, v5, v16
	s_cbranch_execnz .LBB19_19
.LBB19_18:
	s_add_i32 s11, s8, -1
	s_mov_b64 s[0:1], 0
	v_mov_b32_e32 v0, v8
	v_mov_b32_e32 v13, v6
	v_mov_b32_e32 v1, v7
	s_waitcnt vmcnt(0)
	v_mov_b32_e32 v14, v5
.LBB19_19:
	s_andn2_b64 vcc, exec, s[0:1]
	s_cbranch_vccz .LBB19_23
; %bb.20:
	v_mov_b32_e32 v8, v0
	s_mov_b32 s8, s11
	v_mov_b32_e32 v6, v13
	v_mov_b32_e32 v7, v1
	s_waitcnt vmcnt(0)
	v_mov_b32_e32 v5, v14
	s_mul_hi_i32 s11, s8, s15
	s_cmp_lg_u64 s[10:11], 0
	s_mul_i32 s4, s8, s15
	s_cbranch_scc1 .LBB19_9
	s_branch .LBB19_15
.LBB19_21:
                                        ; implicit-def: $sgpr20_sgpr21
	s_load_dwordx4 s[16:19], s[4:5], 0x44
	s_branch .LBB19_2
.LBB19_22:
                                        ; implicit-def: $vgpr2_vgpr3
	s_branch .LBB19_5
.LBB19_23:
	v_div_scale_f32 v0, s[0:1], v13, v13, v14
	v_rcp_f32_e32 v1, v0
	v_div_scale_f32 v4, vcc, v14, v13, v14
	s_waitcnt vmcnt(0)
	v_fma_f32 v5, -v0, v1, 1.0
	v_fmac_f32_e32 v1, v5, v1
	v_mul_f32_e32 v5, v4, v1
	v_fma_f32 v6, -v0, v5, v4
	v_fmac_f32_e32 v5, v6, v1
	v_fma_f32 v0, -v0, v5, v4
	v_div_fmas_f32 v0, v0, v1, v5
	v_div_fixup_f32 v0, v0, v13, v14
	global_store_dword v[2:3], v0, off
.LBB19_24:
	s_endpgm
	.section	.rodata,"a",@progbits
	.p2align	6, 0x0
	.amdhsa_kernel _ZL33flash_attn_stream_k_fixup_generalILi256ELi4ELi4EEvPfPK15HIP_vector_typeIfLj2EEiiiiS1_IjLj3EES5_S5_S5_
		.amdhsa_group_segment_fixed_size 0
		.amdhsa_private_segment_fixed_size 0
		.amdhsa_kernarg_size 336
		.amdhsa_user_sgpr_count 6
		.amdhsa_user_sgpr_private_segment_buffer 1
		.amdhsa_user_sgpr_dispatch_ptr 0
		.amdhsa_user_sgpr_queue_ptr 0
		.amdhsa_user_sgpr_kernarg_segment_ptr 1
		.amdhsa_user_sgpr_dispatch_id 0
		.amdhsa_user_sgpr_flat_scratch_init 0
		.amdhsa_user_sgpr_kernarg_preload_length 0
		.amdhsa_user_sgpr_kernarg_preload_offset 0
		.amdhsa_user_sgpr_private_segment_size 0
		.amdhsa_uses_dynamic_stack 0
		.amdhsa_system_sgpr_private_segment_wavefront_offset 0
		.amdhsa_system_sgpr_workgroup_id_x 1
		.amdhsa_system_sgpr_workgroup_id_y 1
		.amdhsa_system_sgpr_workgroup_id_z 1
		.amdhsa_system_sgpr_workgroup_info 0
		.amdhsa_system_vgpr_workitem_id 0
		.amdhsa_next_free_vgpr 22
		.amdhsa_next_free_sgpr 32
		.amdhsa_accum_offset 24
		.amdhsa_reserve_vcc 1
		.amdhsa_reserve_flat_scratch 0
		.amdhsa_float_round_mode_32 0
		.amdhsa_float_round_mode_16_64 0
		.amdhsa_float_denorm_mode_32 3
		.amdhsa_float_denorm_mode_16_64 3
		.amdhsa_dx10_clamp 1
		.amdhsa_ieee_mode 1
		.amdhsa_fp16_overflow 0
		.amdhsa_tg_split 0
		.amdhsa_exception_fp_ieee_invalid_op 0
		.amdhsa_exception_fp_denorm_src 0
		.amdhsa_exception_fp_ieee_div_zero 0
		.amdhsa_exception_fp_ieee_overflow 0
		.amdhsa_exception_fp_ieee_underflow 0
		.amdhsa_exception_fp_ieee_inexact 0
		.amdhsa_exception_int_div_zero 0
	.end_amdhsa_kernel
	.section	.text._ZL33flash_attn_stream_k_fixup_generalILi256ELi4ELi4EEvPfPK15HIP_vector_typeIfLj2EEiiiiS1_IjLj3EES5_S5_S5_,"axG",@progbits,_ZL33flash_attn_stream_k_fixup_generalILi256ELi4ELi4EEvPfPK15HIP_vector_typeIfLj2EEiiiiS1_IjLj3EES5_S5_S5_,comdat
.Lfunc_end19:
	.size	_ZL33flash_attn_stream_k_fixup_generalILi256ELi4ELi4EEvPfPK15HIP_vector_typeIfLj2EEiiiiS1_IjLj3EES5_S5_S5_, .Lfunc_end19-_ZL33flash_attn_stream_k_fixup_generalILi256ELi4ELi4EEvPfPK15HIP_vector_typeIfLj2EEiiiiS1_IjLj3EES5_S5_S5_
                                        ; -- End function
	.section	.AMDGPU.csdata,"",@progbits
; Kernel info:
; codeLenInByte = 2824
; NumSgprs: 36
; NumVgprs: 22
; NumAgprs: 0
; TotalNumVgprs: 22
; ScratchSize: 0
; MemoryBound: 0
; FloatMode: 240
; IeeeMode: 1
; LDSByteSize: 0 bytes/workgroup (compile time only)
; SGPRBlocks: 4
; VGPRBlocks: 2
; NumSGPRsForWavesPerEU: 36
; NumVGPRsForWavesPerEU: 22
; AccumOffset: 24
; Occupancy: 8
; WaveLimiterHint : 0
; COMPUTE_PGM_RSRC2:SCRATCH_EN: 0
; COMPUTE_PGM_RSRC2:USER_SGPR: 6
; COMPUTE_PGM_RSRC2:TRAP_HANDLER: 0
; COMPUTE_PGM_RSRC2:TGID_X_EN: 1
; COMPUTE_PGM_RSRC2:TGID_Y_EN: 1
; COMPUTE_PGM_RSRC2:TGID_Z_EN: 1
; COMPUTE_PGM_RSRC2:TIDIG_COMP_CNT: 0
; COMPUTE_PGM_RSRC3_GFX90A:ACCUM_OFFSET: 5
; COMPUTE_PGM_RSRC3_GFX90A:TG_SPLIT: 0
	.section	.text._ZL15flash_attn_tileILi256ELi256ELi2ELi4ELb0EEvPKcS1_S1_S1_S1_PKiPfP15HIP_vector_typeIfLj2EEffffjfiS5_IjLj3EEiiiiiiiiiiiliiliiiiil,"axG",@progbits,_ZL15flash_attn_tileILi256ELi256ELi2ELi4ELb0EEvPKcS1_S1_S1_S1_PKiPfP15HIP_vector_typeIfLj2EEffffjfiS5_IjLj3EEiiiiiiiiiiiliiliiiiil,comdat
	.globl	_ZL15flash_attn_tileILi256ELi256ELi2ELi4ELb0EEvPKcS1_S1_S1_S1_PKiPfP15HIP_vector_typeIfLj2EEffffjfiS5_IjLj3EEiiiiiiiiiiiliiliiiiil ; -- Begin function _ZL15flash_attn_tileILi256ELi256ELi2ELi4ELb0EEvPKcS1_S1_S1_S1_PKiPfP15HIP_vector_typeIfLj2EEffffjfiS5_IjLj3EEiiiiiiiiiiiliiliiiiil
	.p2align	8
	.type	_ZL15flash_attn_tileILi256ELi256ELi2ELi4ELb0EEvPKcS1_S1_S1_S1_PKiPfP15HIP_vector_typeIfLj2EEffffjfiS5_IjLj3EEiiiiiiiiiiiliiliiiiil,@function
_ZL15flash_attn_tileILi256ELi256ELi2ELi4ELb0EEvPKcS1_S1_S1_S1_PKiPfP15HIP_vector_typeIfLj2EEffffjfiS5_IjLj3EEiiiiiiiiiiiliiliiiiil: ; @_ZL15flash_attn_tileILi256ELi256ELi2ELi4ELb0EEvPKcS1_S1_S1_S1_PKiPfP15HIP_vector_typeIfLj2EEffffjfiS5_IjLj3EEiiiiiiiiiiiliiliiiiil
; %bb.0:
	s_load_dwordx4 s[24:27], s[4:5], 0x5c
	s_load_dwordx2 s[28:29], s[4:5], 0x80
	s_mov_b64 s[30:31], 0
	s_waitcnt lgkmcnt(0)
	s_ashr_i32 s0, s27, 31
	s_lshr_b32 s0, s0, 30
	s_add_i32 s0, s27, s0
	s_ashr_i32 s0, s0, 2
	v_cvt_f32_u32_e32 v1, s0
	s_sub_i32 s1, 0, s0
	v_rcp_iflag_f32_e32 v1, v1
	v_mul_f32_e32 v1, 0x4f7ffffe, v1
	v_cvt_u32_f32_e32 v1, v1
	v_readfirstlane_b32 s2, v1
	s_mul_i32 s1, s1, s2
	s_mul_hi_u32 s1, s2, s1
	s_add_i32 s2, s2, s1
	s_mul_hi_u32 s1, s8, s2
	s_mul_i32 s2, s1, s0
	s_sub_i32 s2, s8, s2
	s_add_i32 s3, s1, 1
	s_sub_i32 s9, s2, s0
	s_cmp_ge_u32 s2, s0
	s_cselect_b32 s1, s3, s1
	s_cselect_b32 s2, s9, s2
	s_add_i32 s3, s1, 1
	s_cmp_ge_u32 s2, s0
	s_cselect_b32 s33, s3, s1
	s_abs_i32 s0, s29
	v_cvt_f32_u32_e32 v1, s0
	s_lshl_b32 s1, s8, 2
	s_mul_i32 s8, s33, s27
	s_xor_b32 s2, s27, s29
	v_rcp_iflag_f32_e32 v1, v1
	s_sub_i32 s9, 0, s0
	s_sub_i32 s29, s1, s8
	s_abs_i32 s3, s27
	v_mul_f32_e32 v1, 0x4f7ffffe, v1
	v_cvt_u32_f32_e32 v1, v1
	s_ashr_i32 s2, s2, 31
	v_readfirstlane_b32 s1, v1
	s_mul_i32 s9, s9, s1
	s_mul_hi_u32 s8, s1, s9
	s_add_i32 s1, s1, s8
	s_mul_hi_u32 s1, s3, s1
	s_mul_i32 s8, s1, s0
	s_sub_i32 s3, s3, s8
	s_add_i32 s9, s1, 1
	s_sub_i32 s8, s3, s0
	s_cmp_ge_u32 s3, s0
	s_cselect_b32 s1, s9, s1
	s_cselect_b32 s3, s8, s3
	s_add_i32 s8, s1, 1
	s_cmp_ge_u32 s3, s0
	s_cselect_b32 s0, s8, s1
	s_xor_b32 s0, s0, s2
	s_sub_i32 s35, s0, s2
	s_abs_i32 s34, s35
	v_cvt_f32_u32_e32 v1, s34
	s_load_dwordx16 s[8:23], s[4:5], 0x0
	s_load_dwordx2 s[0:1], s[4:5], 0xb8
	v_rcp_iflag_f32_e32 v1, v1
	s_waitcnt lgkmcnt(0)
	s_cmp_eq_u64 s[14:15], 0
	v_mul_f32_e32 v1, 0x4f7ffffe, v1
	v_cvt_u32_f32_e32 v1, v1
	v_readfirstlane_b32 s36, v1
	s_cbranch_scc1 .LBB20_2
; %bb.1:
	s_abs_i32 s0, s0
	v_cvt_f32_u32_e32 v1, s0
	s_sub_i32 s37, 0, s0
	s_abs_i32 s31, s33
	s_ashr_i32 s30, s33, 31
	v_rcp_iflag_f32_e32 v1, v1
	s_load_dwordx2 s[2:3], s[4:5], 0xc8
	v_mul_f32_e32 v1, 0x4f7ffffe, v1
	v_cvt_u32_f32_e32 v1, v1
	v_readfirstlane_b32 s38, v1
	s_mul_i32 s37, s37, s38
	s_mul_hi_u32 s37, s38, s37
	s_add_i32 s38, s38, s37
	s_mul_hi_u32 s37, s31, s38
	s_mul_i32 s37, s37, s0
	s_sub_i32 s31, s31, s37
	s_sub_i32 s37, s31, s0
	s_cmp_ge_u32 s31, s0
	s_cselect_b32 s31, s37, s31
	s_sub_i32 s37, s31, s0
	s_cmp_ge_u32 s31, s0
	s_cselect_b32 s0, s37, s31
	s_xor_b32 s0, s0, s30
	s_sub_i32 s0, s0, s30
	s_ashr_i32 s30, s0, 31
	s_waitcnt lgkmcnt(0)
	s_mul_i32 s3, s0, s3
	s_mul_hi_u32 s31, s0, s2
	s_add_i32 s3, s31, s3
	s_mul_i32 s30, s30, s2
	s_add_i32 s3, s3, s30
	s_mul_i32 s0, s0, s2
	s_add_u32 s30, s14, s0
	s_addc_u32 s31, s15, s3
.LBB20_2:
	s_load_dwordx4 s[40:43], s[4:5], 0x70
	v_bfe_u32 v1, v0, 10, 10
	v_and_b32_e32 v17, 3, v1
	v_lshrrev_b32_e32 v6, 2, v1
	v_lshl_add_u32 v48, s6, 1, v6
	s_waitcnt lgkmcnt(0)
	s_mul_i32 s0, s33, s42
	s_ashr_i32 s3, s0, 31
	s_mul_i32 s2, s29, s41
	s_add_u32 s0, s8, s0
	s_addc_u32 s3, s9, s3
	s_ashr_i32 s8, s2, 31
	s_add_u32 s0, s0, s2
	s_addc_u32 s8, s3, s8
	s_ashr_i32 s9, s41, 31
	v_mov_b32_e32 v2, s41
	v_alignbit_b32 v2, s9, v2, 2
	v_mad_u64_u32 v[4:5], s[2:3], v2, v17, 0
	v_mov_b32_e32 v2, v5
	s_lshr_b32 s2, s9, 2
	v_mad_u64_u32 v[2:3], s[2:3], s2, v17, v[2:3]
	v_mov_b32_e32 v5, v2
	v_mul_hi_u32 v2, s24, v48
	v_add_u32_e32 v2, v48, v2
	v_lshrrev_b32_e32 v2, s25, v2
	v_mul_lo_u32 v2, v2, s26
	s_ashr_i32 s9, s40, 31
	v_mov_b32_e32 v3, s40
	v_sub_u32_e32 v2, v48, v2
	v_alignbit_b32 v3, s9, v3, 2
	v_mad_u64_u32 v[6:7], s[2:3], v3, v2, 0
	v_mov_b32_e32 v8, v7
	s_lshr_b32 s2, s9, 2
	v_mad_u64_u32 v[8:9], s[2:3], s2, v2, v[8:9]
	v_lshlrev_b64 v[4:5], 2, v[4:5]
	v_mov_b32_e32 v7, v8
	v_and_b32_e32 v16, 0x3ff, v0
	v_mov_b32_e32 v0, s8
	v_add_co_u32_e32 v3, vcc, s0, v4
	v_addc_co_u32_e32 v0, vcc, v0, v5, vcc
	v_lshlrev_b64 v[4:5], 2, v[6:7]
	v_add_co_u32_e32 v3, vcc, v3, v4
	v_addc_co_u32_e32 v0, vcc, v0, v5, vcc
	v_lshlrev_b32_e32 v4, 4, v16
	v_add_co_u32_e32 v12, vcc, v3, v4
	v_addc_co_u32_e32 v13, vcc, 0, v0, vcc
	global_load_dwordx4 v[4:7], v[12:13], off
	global_load_dwordx4 v[8:11], v[12:13], off offset:512
	s_load_dword s0, s[4:5], 0x40
	v_lshlrev_b32_e32 v0, 7, v1
	v_lshlrev_b32_e32 v3, 1, v16
	v_add_lshl_u32 v3, v3, v0, 2
	s_mov_b32 s3, 0
	v_add_u32_e32 v3, 0x4000, v3
	s_cmp_eq_u64 s[18:19], 0
	s_waitcnt vmcnt(1) lgkmcnt(0)
	v_pk_mul_f32 v[4:5], v[4:5], s[0:1] op_sel_hi:[1,0]
	v_pk_mul_f32 v[6:7], v[6:7], s[0:1] op_sel_hi:[1,0]
	s_waitcnt vmcnt(0)
	v_pk_mul_f32 v[8:9], v[8:9], s[0:1] op_sel_hi:[1,0]
	v_pk_mul_f32 v[10:11], v[10:11], s[0:1] op_sel_hi:[1,0]
	v_cvt_f16_f32_e32 v12, v5
	v_cvt_f16_f32_e32 v4, v4
	;; [unrolled: 1-line block ×8, first 2 shown]
	v_pack_b32_f16 v5, v6, v5
	v_pack_b32_f16 v4, v4, v12
	;; [unrolled: 1-line block ×4, first 2 shown]
	ds_write2_b64 v3, v[4:5], v[6:7] offset0:128 offset1:160
	s_waitcnt lgkmcnt(0)
	s_barrier
	s_cbranch_scc1 .LBB20_4
; %bb.3:
	s_load_dword s0, s[4:5], 0xd0
	s_waitcnt lgkmcnt(0)
	s_mul_i32 s0, s0, s33
	s_add_i32 s2, s0, s6
	s_lshl_b64 s[2:3], s[2:3], 2
	s_add_u32 s2, s18, s2
	s_addc_u32 s3, s19, s3
	s_load_dword s28, s[2:3], 0x0
.LBB20_4:
	s_lshl_b32 s6, s7, 6
	v_lshlrev_b32_e32 v49, 2, v16
	s_waitcnt lgkmcnt(0)
	s_cmp_lt_i32 s6, s28
	v_mbcnt_lo_u32_b32 v3, -1, 0
	s_cbranch_scc1 .LBB20_6
; %bb.5:
	v_mbcnt_hi_u32_b32 v19, -1, v3
	v_and_b32_e32 v4, 0x60, v19
	s_mov_b32 s0, 0
	v_add_u32_e32 v50, 32, v4
	v_xor_b32_e32 v55, 16, v19
	v_xor_b32_e32 v54, 8, v19
	;; [unrolled: 1-line block ×5, first 2 shown]
	s_mov_b64 s[2:3], 0
	s_mov_b32 s8, 0xfeffffff
	s_branch .LBB20_7
.LBB20_6:
	s_mov_b64 s[2:3], -1
                                        ; implicit-def: $sgpr8
                                        ; implicit-def: $sgpr0
                                        ; implicit-def: $vgpr19
                                        ; implicit-def: $vgpr50
                                        ; implicit-def: $vgpr55
                                        ; implicit-def: $vgpr54
                                        ; implicit-def: $vgpr53
                                        ; implicit-def: $vgpr52
                                        ; implicit-def: $vgpr51
.LBB20_7:
	s_andn2_b64 vcc, exec, s[2:3]
	v_mov_b32_e32 v36, s8
	v_mov_b32_e32 v37, s0
	;; [unrolled: 1-line block ×6, first 2 shown]
	s_cbranch_vccnz .LBB20_10
; %bb.8:
	s_sub_i32 s0, 0, s34
	s_mul_i32 s0, s0, s36
	s_mul_hi_u32 s0, s36, s0
	s_add_i32 s0, s36, s0
	s_load_dwordx2 s[2:3], s[4:5], 0x8c
	s_load_dwordx4 s[36:39], s[4:5], 0x98
	s_ashr_i32 s24, s35, 31
	s_abs_i32 s18, s29
	s_ashr_i32 s19, s29, 31
	s_waitcnt lgkmcnt(0)
	s_ashr_i32 s15, s2, 2
	s_ashr_i32 s2, s33, 31
	s_mul_i32 s25, s33, s37
	s_mul_hi_u32 s35, s33, s36
	s_add_i32 s25, s35, s25
	s_mul_i32 s35, s2, s36
	s_ashr_i32 s14, s38, 2
	s_ashr_i32 s1, s1, 1
	s_add_i32 s25, s25, s35
	s_mul_i32 s35, s33, s36
	s_mul_hi_u32 s0, s18, s0
	s_add_u32 s10, s10, s35
	s_addc_u32 s11, s11, s25
	s_xor_b32 s19, s19, s24
	s_mul_i32 s24, s0, s34
	s_sub_i32 s18, s18, s24
	s_add_i32 s24, s0, 1
	s_sub_i32 s25, s18, s34
	s_cmp_ge_u32 s18, s34
	s_cselect_b32 s0, s24, s0
	s_cselect_b32 s18, s25, s18
	s_add_i32 s24, s0, 1
	s_cmp_ge_u32 s18, s34
	s_load_dwordx2 s[8:9], s[4:5], 0xa8
	s_cselect_b32 s0, s24, s0
	s_xor_b32 s0, s0, s19
	s_sub_i32 s0, s0, s19
	s_mul_i32 s3, s0, s3
	s_ashr_i32 s19, s3, 31
	s_add_u32 s18, s10, s3
	s_waitcnt lgkmcnt(0)
	s_mul_i32 s3, s33, s9
	s_mul_hi_u32 s9, s33, s8
	s_addc_u32 s19, s11, s19
	s_add_i32 s3, s9, s3
	s_mul_i32 s2, s2, s8
	s_add_i32 s3, s3, s2
	s_mul_i32 s2, s33, s8
	s_add_u32 s2, s12, s2
	s_mul_i32 s0, s0, s39
	v_lshrrev_b32_e32 v4, 4, v16
	s_addc_u32 s3, s13, s3
	s_ashr_i32 s8, s0, 31
	v_lshl_add_u32 v5, v1, 1, v4
	v_and_b32_e32 v4, 60, v49
	s_add_u32 s12, s2, s0
	v_lshlrev_b32_e32 v6, 2, v4
	s_movk_i32 s0, 0x110
	s_addc_u32 s13, s3, s8
	v_mad_u32_u24 v56, v5, s0, v6
	v_mul_lo_u32 v6, s15, v5
	s_lshl_b32 s0, s15, 4
	v_add_u32_e32 v8, s0, v6
	v_add_u32_e32 v10, s0, v8
	;; [unrolled: 1-line block ×3, first 2 shown]
	v_mad_u64_u32 v[18:19], s[0:1], v2, s1, v[16:17]
	v_add_u32_e32 v62, 0x5400, v0
	v_mul_lo_u32 v0, s14, v1
	s_lshl_b32 s0, s14, 3
	v_add_u32_e32 v14, s0, v0
	v_add_u32_e32 v32, s0, v14
	v_lshlrev_b32_e32 v5, 9, v1
	v_add_u32_e32 v34, s0, v32
	v_mbcnt_hi_u32_b32 v19, -1, v3
	v_ashrrev_i32_e32 v7, 31, v6
	v_ashrrev_i32_e32 v9, 31, v8
	;; [unrolled: 1-line block ×4, first 2 shown]
	v_lshl_add_u32 v64, v49, 2, v5
	v_ashrrev_i32_e32 v1, 31, v0
	v_ashrrev_i32_e32 v15, 31, v14
	;; [unrolled: 1-line block ×4, first 2 shown]
	v_lshlrev_b32_e32 v68, 3, v16
	s_add_u32 s10, s4, 0xd0
	v_and_b32_e32 v2, 0x60, v19
	v_mov_b32_e32 v80, 0
	v_add_u32_e32 v57, 0x1100, v56
	v_add_u32_e32 v58, 0x2200, v56
	;; [unrolled: 1-line block ×4, first 2 shown]
	v_mul_u32_u24_e32 v61, 0x110, v16
	v_lshl_add_u32 v63, v16, 1, v62
	v_add_u32_e32 v65, 0x1000, v64
	v_add_u32_e32 v66, 0x2000, v64
	;; [unrolled: 1-line block ×3, first 2 shown]
	s_addc_u32 s11, s5, 0
	v_mov_b32_e32 v36, 0xfeffffff
	v_lshlrev_b64 v[20:21], 2, v[6:7]
	v_lshlrev_b32_e32 v69, 2, v4
	v_lshlrev_b64 v[22:23], 2, v[8:9]
	v_lshlrev_b64 v[24:25], 2, v[10:11]
	;; [unrolled: 1-line block ×3, first 2 shown]
	v_mov_b32_e32 v70, s31
	v_add_u32_e32 v50, 32, v2
	v_xor_b32_e32 v55, 16, v19
	v_xor_b32_e32 v54, 8, v19
	;; [unrolled: 1-line block ×5, first 2 shown]
	s_mov_b32 s24, 0x3fb8aa3b
	s_mov_b32 s25, 0xc2ce8ed0
	;; [unrolled: 1-line block ×3, first 2 shown]
	v_mov_b32_e32 v71, 0x7f800000
	v_lshlrev_b64 v[28:29], 2, v[0:1]
	v_lshlrev_b32_e32 v72, 2, v49
	v_lshlrev_b64 v[30:31], 2, v[14:15]
	v_lshlrev_b64 v[32:33], 2, v[32:33]
	;; [unrolled: 1-line block ×3, first 2 shown]
	v_add_u32_e32 v73, 0x800, v68
	v_add_u32_e32 v74, 0x1000, v68
	;; [unrolled: 1-line block ×7, first 2 shown]
	v_mov_b32_e32 v83, 0
	v_mov_b32_e32 v81, 0
	;; [unrolled: 1-line block ×4, first 2 shown]
.LBB20_9:                               ; =>This Inner Loop Header: Depth=1
	v_cmp_lt_i32_e32 vcc, v55, v50
	v_cndmask_b32_e32 v4, v19, v55, vcc
	v_cmp_lt_i32_e32 vcc, v54, v50
	v_add_u32_e32 v2, s6, v18
	v_cndmask_b32_e32 v5, v19, v54, vcc
	v_cmp_lt_i32_e32 vcc, v53, v50
	s_mul_hi_i32 s1, s6, s15
	s_mul_i32 s0, s6, s15
	v_cndmask_b32_e32 v6, v19, v53, vcc
	v_cmp_lt_i32_e32 vcc, v52, v50
	v_ashrrev_i32_e32 v3, 31, v2
	v_cndmask_b32_e32 v7, v19, v52, vcc
	v_cmp_lt_i32_e32 vcc, v51, v50
	s_lshl_b64 s[0:1], s[0:1], 2
	v_lshlrev_b64 v[2:3], 1, v[2:3]
	v_cndmask_b32_e32 v8, v19, v51, vcc
	s_add_u32 s8, s18, s0
	v_add_co_u32_e32 v2, vcc, s30, v2
	s_mul_hi_i32 s3, s6, s14
	s_mul_i32 s2, s6, s14
	s_addc_u32 s9, s19, s1
	v_addc_co_u32_e32 v3, vcc, v70, v3, vcc
	v_lshlrev_b32_e32 v90, 2, v4
	v_lshlrev_b32_e32 v89, 2, v5
	;; [unrolled: 1-line block ×5, first 2 shown]
	s_lshl_b64 s[34:35], s[2:3], 2
	v_mov_b32_e32 v4, s9
	v_mov_b32_e32 v5, s9
	v_add_co_u32_e32 v6, vcc, s8, v22
	v_mov_b32_e32 v7, s9
	v_add_co_u32_e64 v8, s[0:1], s8, v24
	v_mov_b32_e32 v9, s9
	v_add_co_u32_e64 v10, s[2:3], s8, v26
	v_add_co_u32_e64 v11, s[8:9], s8, v20
	v_addc_co_u32_e64 v12, s[8:9], v4, v21, s[8:9]
	v_addc_co_u32_e32 v5, vcc, v5, v23, vcc
	v_addc_co_u32_e64 v7, s[0:1], v7, v25, s[0:1]
	v_addc_co_u32_e64 v9, s[2:3], v9, v27, s[2:3]
	v_add_co_u32_e64 v46, s[8:9], v11, v69
	v_add_co_u32_e32 v4, vcc, v6, v69
	v_add_co_u32_e64 v6, s[0:1], v8, v69
	v_add_co_u32_e64 v8, s[2:3], v10, v69
	v_addc_co_u32_e64 v47, s[8:9], 0, v12, s[8:9]
	v_addc_co_u32_e32 v5, vcc, 0, v5, vcc
	v_addc_co_u32_e64 v7, vcc, 0, v7, s[0:1]
	v_addc_co_u32_e64 v9, vcc, 0, v9, s[2:3]
	global_load_dwordx4 v[92:95], v[46:47], off
	global_load_dwordx4 v[96:99], v[4:5], off
	;; [unrolled: 1-line block ×4, first 2 shown]
	v_mov_b32_e32 v0, 0
	v_mov_b32_e32 v1, 0
	s_add_u32 s34, s12, s34
	s_addc_u32 s35, s13, s35
	v_mov_b32_e32 v10, s35
	v_add_co_u32_e32 v11, vcc, s34, v28
	v_mov_b32_e32 v12, s35
	v_add_co_u32_e64 v13, s[0:1], s34, v30
	v_mov_b32_e32 v85, v37
	v_mov_b32_e32 v14, s35
	v_add_co_u32_e64 v15, s[2:3], s34, v32
	v_mov_b32_e32 v37, s35
	v_add_co_u32_e64 v38, s[8:9], s34, v34
	v_addc_co_u32_e32 v10, vcc, v10, v29, vcc
	v_addc_co_u32_e64 v12, vcc, v12, v31, s[0:1]
	v_mov_b32_e32 v84, v36
	v_add_co_u32_e32 v36, vcc, v13, v72
	s_waitcnt vmcnt(3)
	ds_write_b128 v56, v[92:95]
	s_waitcnt vmcnt(2)
	ds_write_b128 v57, v[96:99]
	;; [unrolled: 2-line block ×4, first 2 shown]
	s_waitcnt lgkmcnt(0)
	s_barrier
	ds_read_b128 v[92:95], v61
	ds_read_b128 v[96:99], v60
	ds_read_b128 v[100:103], v61 offset:8704
	s_waitcnt lgkmcnt(1)
	;;#ASMSTART
	v_dot2_f32_f16 v0, v92, v96, v0
	;;#ASMEND
	;;#ASMSTART
	v_dot2_f32_f16 v0, v93, v97, v0
	;;#ASMEND
	;;#ASMSTART
	v_dot2_f32_f16 v0, v94, v98, v0
	;;#ASMEND
	;;#ASMSTART
	v_dot2_f32_f16 v0, v95, v99, v0
	;;#ASMEND
	s_waitcnt lgkmcnt(0)
	;;#ASMSTART
	v_dot2_f32_f16 v1, v100, v96, v1
	;;#ASMEND
	;;#ASMSTART
	v_dot2_f32_f16 v1, v101, v97, v1
	;;#ASMEND
	;;#ASMSTART
	v_dot2_f32_f16 v1, v102, v98, v1
	;;#ASMEND
	;;#ASMSTART
	v_dot2_f32_f16 v1, v103, v99, v1
	;;#ASMEND
	ds_read_b128 v[92:95], v61 offset:16
	ds_read_b128 v[96:99], v60 offset:16
	ds_read_b128 v[100:103], v61 offset:8720
	s_waitcnt lgkmcnt(1)
	;;#ASMSTART
	v_dot2_f32_f16 v0, v92, v96, v0
	;;#ASMEND
	;;#ASMSTART
	v_dot2_f32_f16 v0, v93, v97, v0
	;;#ASMEND
	;;#ASMSTART
	v_dot2_f32_f16 v0, v94, v98, v0
	;;#ASMEND
	;;#ASMSTART
	v_dot2_f32_f16 v0, v95, v99, v0
	;;#ASMEND
	s_waitcnt lgkmcnt(0)
	;;#ASMSTART
	v_dot2_f32_f16 v1, v100, v96, v1
	;;#ASMEND
	;;#ASMSTART
	v_dot2_f32_f16 v1, v101, v97, v1
	;;#ASMEND
	;;#ASMSTART
	v_dot2_f32_f16 v1, v102, v98, v1
	;;#ASMEND
	;;#ASMSTART
	v_dot2_f32_f16 v1, v103, v99, v1
	;;#ASMEND
	ds_read_b128 v[92:95], v61 offset:32
	ds_read_b128 v[96:99], v60 offset:32
	;; [unrolled: 29-line block ×15, first 2 shown]
	ds_read_b128 v[100:103], v61 offset:8944
	s_waitcnt lgkmcnt(1)
	;;#ASMSTART
	v_dot2_f32_f16 v0, v92, v96, v0
	;;#ASMEND
	;;#ASMSTART
	v_dot2_f32_f16 v0, v93, v97, v0
	;;#ASMEND
	;; [unrolled: 3-line block ×4, first 2 shown]
	s_waitcnt lgkmcnt(0)
	;;#ASMSTART
	v_dot2_f32_f16 v1, v100, v96, v1
	;;#ASMEND
	;;#ASMSTART
	v_dot2_f32_f16 v1, v101, v97, v1
	;;#ASMEND
	;; [unrolled: 3-line block ×4, first 2 shown]
	s_barrier
	global_load_dwordx4 v[92:95], v[46:47], off offset:256
	global_load_dwordx4 v[96:99], v[4:5], off offset:256
	global_load_dwordx4 v[100:103], v[6:7], off offset:256
	global_load_dwordx4 v[104:107], v[8:9], off offset:256
	s_waitcnt vmcnt(3)
	ds_write_b128 v56, v[92:95]
	s_waitcnt vmcnt(2)
	ds_write_b128 v57, v[96:99]
	;; [unrolled: 2-line block ×4, first 2 shown]
	s_waitcnt lgkmcnt(0)
	s_barrier
	ds_read_b128 v[4:7], v61
	ds_read_b128 v[92:95], v60 offset:256
	ds_read_b128 v[96:99], v61 offset:8704
	s_waitcnt lgkmcnt(1)
	;;#ASMSTART
	v_dot2_f32_f16 v0, v4, v92, v0
	;;#ASMEND
	;;#ASMSTART
	v_dot2_f32_f16 v0, v5, v93, v0
	;;#ASMEND
	;;#ASMSTART
	v_dot2_f32_f16 v0, v6, v94, v0
	;;#ASMEND
	;;#ASMSTART
	v_dot2_f32_f16 v0, v7, v95, v0
	;;#ASMEND
	s_waitcnt lgkmcnt(0)
	;;#ASMSTART
	v_dot2_f32_f16 v1, v96, v92, v1
	;;#ASMEND
	;;#ASMSTART
	v_dot2_f32_f16 v1, v97, v93, v1
	;;#ASMEND
	;;#ASMSTART
	v_dot2_f32_f16 v1, v98, v94, v1
	;;#ASMEND
	;;#ASMSTART
	v_dot2_f32_f16 v1, v99, v95, v1
	;;#ASMEND
	ds_read_b128 v[4:7], v61 offset:16
	ds_read_b128 v[92:95], v60 offset:272
	ds_read_b128 v[96:99], v61 offset:8720
	s_waitcnt lgkmcnt(1)
	;;#ASMSTART
	v_dot2_f32_f16 v0, v4, v92, v0
	;;#ASMEND
	;;#ASMSTART
	v_dot2_f32_f16 v0, v5, v93, v0
	;;#ASMEND
	;;#ASMSTART
	v_dot2_f32_f16 v0, v6, v94, v0
	;;#ASMEND
	;;#ASMSTART
	v_dot2_f32_f16 v0, v7, v95, v0
	;;#ASMEND
	s_waitcnt lgkmcnt(0)
	;;#ASMSTART
	v_dot2_f32_f16 v1, v96, v92, v1
	;;#ASMEND
	;;#ASMSTART
	v_dot2_f32_f16 v1, v97, v93, v1
	;;#ASMEND
	;;#ASMSTART
	v_dot2_f32_f16 v1, v98, v94, v1
	;;#ASMEND
	;;#ASMSTART
	v_dot2_f32_f16 v1, v99, v95, v1
	;;#ASMEND
	ds_read_b128 v[4:7], v61 offset:32
	;; [unrolled: 29-line block ×15, first 2 shown]
	ds_read_b128 v[92:95], v60 offset:496
	ds_read_b128 v[96:99], v61 offset:8944
	s_waitcnt lgkmcnt(1)
	;;#ASMSTART
	v_dot2_f32_f16 v0, v4, v92, v0
	;;#ASMEND
	;;#ASMSTART
	v_dot2_f32_f16 v0, v5, v93, v0
	;;#ASMEND
	;; [unrolled: 3-line block ×4, first 2 shown]
	s_waitcnt lgkmcnt(0)
	;;#ASMSTART
	v_dot2_f32_f16 v1, v96, v92, v1
	;;#ASMEND
	;;#ASMSTART
	v_dot2_f32_f16 v1, v97, v93, v1
	;;#ASMEND
	;; [unrolled: 3-line block ×4, first 2 shown]
	flat_load_ushort v46, v[2:3] offset:64
	flat_load_ushort v47, v[2:3]
	v_addc_co_u32_e64 v13, s[0:1], v14, v33, s[2:3]
	v_addc_co_u32_e64 v14, s[2:3], v37, v35, s[8:9]
	v_add_co_u32_e64 v44, s[8:9], v11, v72
	v_add_co_u32_e64 v40, s[0:1], v15, v72
	;; [unrolled: 1-line block ×3, first 2 shown]
	v_addc_co_u32_e64 v45, s[8:9], 0, v10, s[8:9]
	v_addc_co_u32_e32 v37, vcc, 0, v12, vcc
	v_addc_co_u32_e64 v41, vcc, 0, v13, s[0:1]
	v_addc_co_u32_e64 v43, vcc, 0, v14, s[2:3]
	s_waitcnt lgkmcnt(0)
	s_barrier
	global_load_dwordx4 v[2:5], v[44:45], off
	global_load_dwordx4 v[6:9], v[36:37], off
	;; [unrolled: 1-line block ×4, first 2 shown]
	s_or_b32 s36, s6, 32
	s_mul_hi_i32 s35, s36, s14
	s_mul_i32 s34, s36, s14
	s_lshl_b64 s[34:35], s[34:35], 2
	s_add_u32 s8, s12, s34
	s_addc_u32 s2, s13, s35
	v_mov_b32_e32 v10, s2
	v_mov_b32_e32 v11, s2
	v_add_co_u32_e32 v12, vcc, s8, v30
	v_mov_b32_e32 v13, s2
	v_add_co_u32_e64 v14, s[0:1], s8, v32
	v_mov_b32_e32 v15, s2
	v_add_co_u32_e64 v38, s[2:3], s8, v34
	v_add_co_u32_e64 v39, s[8:9], s8, v28
	v_addc_co_u32_e32 v11, vcc, v11, v31, vcc
	v_addc_co_u32_e64 v13, s[0:1], v13, v33, s[0:1]
	v_addc_co_u32_e64 v108, s[2:3], v15, v35, s[2:3]
	;; [unrolled: 1-line block ×3, first 2 shown]
	v_add_co_u32_e32 v10, vcc, v12, v72
	v_add_co_u32_e64 v14, s[0:1], v14, v72
	v_add_co_u32_e64 v12, s[2:3], v38, v72
	v_addc_co_u32_e32 v11, vcc, 0, v11, vcc
	v_addc_co_u32_e64 v15, vcc, 0, v13, s[0:1]
	v_addc_co_u32_e64 v13, vcc, 0, v108, s[2:3]
	v_add_co_u32_e64 v38, s[8:9], v39, v72
	v_addc_co_u32_e64 v39, s[8:9], 0, v91, s[8:9]
	s_waitcnt vmcnt(0)
	v_cvt_f32_f16_e32 v37, v46
	v_cvt_f32_f16_e32 v36, v47
	v_pk_add_f32 v[0:1], v[0:1], v[36:37]
	v_add_f32_e32 v36, 0x40051340, v0
	v_add_f32_e32 v37, 0x40051340, v1
	v_max3_f32 v36, v84, v36, v37
	ds_bpermute_b32 v37, v90, v36
	s_waitcnt lgkmcnt(0)
	v_max_f32_e32 v37, v37, v37
	v_max_f32_e32 v36, v36, v37
	ds_bpermute_b32 v37, v89, v36
	s_waitcnt lgkmcnt(0)
	v_max_f32_e32 v37, v37, v37
	v_max_f32_e32 v36, v36, v37
	;; [unrolled: 4-line block ×5, first 2 shown]
	v_sub_f32_e32 v37, v84, v36
	v_pk_add_f32 v[0:1], v[0:1], v[36:37] op_sel_hi:[1,0] neg_lo:[0,1] neg_hi:[0,1]
	v_mul_f32_e32 v41, 0x3fb8aa3b, v0
	v_mul_f32_e32 v40, 0x3fb8aa3b, v1
	;; [unrolled: 1-line block ×3, first 2 shown]
	v_fma_f32 v45, v0, s24, -v41
	v_rndne_f32_e32 v46, v41
	v_fma_f32 v43, v1, s24, -v40
	v_rndne_f32_e32 v44, v40
	;; [unrolled: 2-line block ×3, first 2 shown]
	v_fmac_f32_e32 v45, 0x32a5705f, v0
	v_sub_f32_e32 v41, v41, v46
	v_fmac_f32_e32 v43, 0x32a5705f, v1
	v_sub_f32_e32 v40, v40, v44
	;; [unrolled: 2-line block ×3, first 2 shown]
	v_add_f32_e32 v41, v41, v45
	v_cvt_i32_f32_e32 v46, v46
	v_add_f32_e32 v40, v40, v43
	v_add_f32_e32 v42, v42, v47
	v_exp_f32_e32 v41, v41
	v_cvt_i32_f32_e32 v44, v44
	v_cvt_i32_f32_e32 v84, v84
	v_exp_f32_e32 v40, v40
	v_exp_f32_e32 v42, v42
	v_ldexp_f32 v41, v41, v46
	v_cmp_ngt_f32_e32 vcc, s25, v0
	v_ldexp_f32 v40, v40, v44
	v_ldexp_f32 v42, v42, v84
	v_cmp_ngt_f32_e64 s[0:1], s25, v37
	v_cmp_ngt_f32_e64 s[2:3], s25, v1
	v_cndmask_b32_e32 v41, 0, v41, vcc
	v_cmp_nlt_f32_e32 vcc, s31, v0
	v_cndmask_b32_e64 v40, 0, v40, s[2:3]
	v_cndmask_b32_e64 v0, 0, v42, s[0:1]
	v_cmp_nlt_f32_e64 s[0:1], s31, v37
	v_cmp_nlt_f32_e64 s[2:3], s31, v1
	v_cndmask_b32_e32 v37, v71, v41, vcc
	v_cndmask_b32_e64 v1, v71, v40, s[2:3]
	v_cvt_f16_f32_e32 v40, v37
	v_add_f32_e32 v37, v37, v1
	v_cvt_f16_f32_e32 v1, v1
	v_cndmask_b32_e64 v0, v71, v0, s[0:1]
	v_cvt_f16_f32_e32 v220, v0
	v_fmac_f32_e32 v37, v85, v0
	ds_write_b16 v63, v40
	ds_write_b16 v63, v1 offset:64
	ds_write_b128 v64, v[2:5]
	ds_write_b128 v65, v[6:9]
	ds_write_b128 v66, v[92:95]
	ds_write_b128 v67, v[96:99]
	s_waitcnt lgkmcnt(0)
	s_barrier
	ds_read2_b64 v[0:3], v68 offset1:32
	ds_read_b128 v[4:7], v62
	ds_read_b128 v[40:43], v62 offset:16
	ds_read_b128 v[44:47], v62 offset:32
	;; [unrolled: 1-line block ×3, first 2 shown]
	ds_read2_b64 v[88:91], v68 offset0:64 offset1:96
	ds_read2_b64 v[92:95], v68 offset0:128 offset1:160
	ds_read2_b64 v[96:99], v68 offset0:192 offset1:224
	ds_read2_b64 v[100:103], v73 offset1:32
	ds_read2_b64 v[104:107], v73 offset0:64 offset1:96
	ds_read2_b64 v[108:111], v73 offset0:128 offset1:160
	ds_read2_b64 v[112:115], v73 offset0:192 offset1:224
	ds_read2_b64 v[116:119], v74 offset1:32
	;; [unrolled: 4-line block ×7, first 2 shown]
	ds_read2_b64 v[200:203], v79 offset0:64 offset1:96
	ds_read2_b64 v[204:207], v79 offset0:128 offset1:160
	;; [unrolled: 1-line block ×3, first 2 shown]
	s_waitcnt lgkmcnt(0)
	s_barrier
	global_load_dwordx4 v[212:215], v[38:39], off
	s_nop 0
	global_load_dwordx4 v[8:11], v[10:11], off
	s_nop 0
	;; [unrolled: 2-line block ×3, first 2 shown]
	global_load_dwordx4 v[12:15], v[12:13], off
	v_pk_mul_f16 v83, v220, v83 op_sel_hi:[0,1]
	v_pk_mul_f16 v80, v220, v80 op_sel_hi:[0,1]
	;; [unrolled: 1-line block ×4, first 2 shown]
	v_pk_fma_f16 v2, v2, v4, v83 op_sel_hi:[1,0,1]
	v_pk_fma_f16 v3, v3, v4, v80 op_sel_hi:[1,0,1]
	v_pk_fma_f16 v0, v82, v220, v0 op_sel_hi:[1,0,1]
	v_pk_fma_f16 v1, v81, v220, v1 op_sel_hi:[1,0,1]
	v_pk_fma_f16 v2, v90, v4, v2 op_sel:[0,1,0]
	v_pk_fma_f16 v3, v91, v4, v3 op_sel:[0,1,0]
	v_pk_fma_f16 v0, v88, v4, v0 op_sel:[0,1,0]
	v_pk_fma_f16 v1, v89, v4, v1 op_sel:[0,1,0]
	v_pk_fma_f16 v2, v94, v5, v2 op_sel_hi:[1,0,1]
	v_pk_fma_f16 v3, v95, v5, v3 op_sel_hi:[1,0,1]
	v_pk_fma_f16 v0, v92, v5, v0 op_sel_hi:[1,0,1]
	v_pk_fma_f16 v1, v93, v5, v1 op_sel_hi:[1,0,1]
	v_pk_fma_f16 v2, v98, v5, v2 op_sel:[0,1,0]
	v_pk_fma_f16 v3, v99, v5, v3 op_sel:[0,1,0]
	v_pk_fma_f16 v0, v96, v5, v0 op_sel:[0,1,0]
	v_pk_fma_f16 v1, v97, v5, v1 op_sel:[0,1,0]
	;; [unrolled: 8-line block ×16, first 2 shown]
	s_waitcnt vmcnt(3)
	ds_write_b128 v64, v[212:215]
	s_waitcnt vmcnt(2)
	ds_write_b128 v65, v[8:11]
	;; [unrolled: 2-line block ×4, first 2 shown]
	s_waitcnt lgkmcnt(0)
	s_barrier
	ds_read2_b64 v[38:41], v68 offset1:32
	ds_read_b128 v[12:15], v62 offset:64
	ds_read_b128 v[8:11], v62 offset:80
	;; [unrolled: 1-line block ×4, first 2 shown]
	ds_read2_b64 v[42:45], v68 offset0:64 offset1:96
	ds_read2_b64 v[80:83], v68 offset0:128 offset1:160
	ds_read2_b64 v[84:87], v68 offset0:192 offset1:224
	ds_read2_b64 v[88:91], v73 offset1:32
	ds_read2_b64 v[92:95], v73 offset0:64 offset1:96
	ds_read2_b64 v[96:99], v73 offset0:128 offset1:160
	ds_read2_b64 v[100:103], v73 offset0:192 offset1:224
	ds_read2_b64 v[104:107], v74 offset1:32
	;; [unrolled: 4-line block ×7, first 2 shown]
	ds_read2_b64 v[188:191], v79 offset0:64 offset1:96
	ds_read2_b64 v[192:195], v79 offset0:128 offset1:160
	;; [unrolled: 1-line block ×3, first 2 shown]
	s_waitcnt lgkmcnt(14)
	v_pk_fma_f16 v38, v38, v12, v200 op_sel_hi:[1,0,1]
	v_pk_fma_f16 v39, v39, v12, v201 op_sel_hi:[1,0,1]
	v_pk_fma_f16 v40, v40, v12, v46 op_sel_hi:[1,0,1]
	v_pk_fma_f16 v41, v41, v12, v47 op_sel_hi:[1,0,1]
	v_pk_fma_f16 v38, v42, v12, v38 op_sel:[0,1,0]
	v_pk_fma_f16 v39, v43, v12, v39 op_sel:[0,1,0]
	v_pk_fma_f16 v40, v44, v12, v40 op_sel:[0,1,0]
	v_pk_fma_f16 v12, v45, v12, v41 op_sel:[0,1,0]
	v_pk_fma_f16 v38, v80, v13, v38 op_sel_hi:[1,0,1]
	v_pk_fma_f16 v39, v81, v13, v39 op_sel_hi:[1,0,1]
	v_pk_fma_f16 v40, v82, v13, v40 op_sel_hi:[1,0,1]
	v_pk_fma_f16 v12, v83, v13, v12 op_sel_hi:[1,0,1]
	v_pk_fma_f16 v38, v84, v13, v38 op_sel:[0,1,0]
	v_pk_fma_f16 v39, v85, v13, v39 op_sel:[0,1,0]
	v_pk_fma_f16 v40, v86, v13, v40 op_sel:[0,1,0]
	v_pk_fma_f16 v12, v87, v13, v12 op_sel:[0,1,0]
	;; [unrolled: 8-line block ×9, first 2 shown]
	s_waitcnt lgkmcnt(13)
	v_pk_fma_f16 v8, v144, v5, v9 op_sel_hi:[1,0,1]
	v_pk_fma_f16 v9, v145, v5, v10 op_sel_hi:[1,0,1]
	v_pk_fma_f16 v10, v146, v5, v11 op_sel_hi:[1,0,1]
	v_pk_fma_f16 v4, v147, v5, v4 op_sel_hi:[1,0,1]
	s_waitcnt lgkmcnt(12)
	v_pk_fma_f16 v8, v148, v5, v8 op_sel:[0,1,0]
	v_pk_fma_f16 v9, v149, v5, v9 op_sel:[0,1,0]
	v_pk_fma_f16 v10, v150, v5, v10 op_sel:[0,1,0]
	v_pk_fma_f16 v4, v151, v5, v4 op_sel:[0,1,0]
	s_waitcnt lgkmcnt(11)
	v_pk_fma_f16 v5, v152, v6, v8 op_sel_hi:[1,0,1]
	v_pk_fma_f16 v8, v153, v6, v9 op_sel_hi:[1,0,1]
	v_pk_fma_f16 v9, v154, v6, v10 op_sel_hi:[1,0,1]
	v_pk_fma_f16 v4, v155, v6, v4 op_sel_hi:[1,0,1]
	s_waitcnt lgkmcnt(10)
	v_pk_fma_f16 v5, v156, v6, v5 op_sel:[0,1,0]
	v_pk_fma_f16 v8, v157, v6, v8 op_sel:[0,1,0]
	v_pk_fma_f16 v9, v158, v6, v9 op_sel:[0,1,0]
	v_pk_fma_f16 v4, v159, v6, v4 op_sel:[0,1,0]
	;; [unrolled: 10-line block ×3, first 2 shown]
	s_waitcnt lgkmcnt(0)
	s_barrier
	s_load_dword s0, s[10:11], 0x4
	v_pk_fma_f16 v5, v168, v0, v5 op_sel_hi:[1,0,1]
	v_pk_fma_f16 v6, v169, v0, v6 op_sel_hi:[1,0,1]
	v_pk_fma_f16 v7, v170, v0, v8 op_sel_hi:[1,0,1]
	v_pk_fma_f16 v4, v171, v0, v4 op_sel_hi:[1,0,1]
	v_pk_fma_f16 v5, v172, v0, v5 op_sel:[0,1,0]
	v_pk_fma_f16 v6, v173, v0, v6 op_sel:[0,1,0]
	;; [unrolled: 1-line block ×4, first 2 shown]
	v_pk_fma_f16 v4, v176, v1, v5 op_sel_hi:[1,0,1]
	v_pk_fma_f16 v5, v177, v1, v6 op_sel_hi:[1,0,1]
	v_pk_fma_f16 v6, v178, v1, v7 op_sel_hi:[1,0,1]
	v_pk_fma_f16 v0, v179, v1, v0 op_sel_hi:[1,0,1]
	v_pk_fma_f16 v4, v180, v1, v4 op_sel:[0,1,0]
	v_pk_fma_f16 v5, v181, v1, v5 op_sel:[0,1,0]
	;; [unrolled: 1-line block ×4, first 2 shown]
	v_pk_fma_f16 v1, v184, v2, v4 op_sel_hi:[1,0,1]
	v_pk_fma_f16 v4, v185, v2, v5 op_sel_hi:[1,0,1]
	;; [unrolled: 1-line block ×4, first 2 shown]
	s_waitcnt lgkmcnt(0)
	s_lshl_b32 s0, s0, 6
	v_pk_fma_f16 v1, v188, v2, v1 op_sel:[0,1,0]
	v_pk_fma_f16 v4, v189, v2, v4 op_sel:[0,1,0]
	;; [unrolled: 1-line block ×4, first 2 shown]
	s_add_i32 s6, s0, s6
	v_pk_fma_f16 v1, v192, v3, v1 op_sel_hi:[1,0,1]
	v_pk_fma_f16 v2, v193, v3, v4 op_sel_hi:[1,0,1]
	;; [unrolled: 1-line block ×4, first 2 shown]
	s_cmp_lt_i32 s6, s28
	v_pk_fma_f16 v82, v196, v3, v1 op_sel:[0,1,0]
	v_pk_fma_f16 v81, v197, v3, v2 op_sel:[0,1,0]
	;; [unrolled: 1-line block ×4, first 2 shown]
	s_cbranch_scc1 .LBB20_9
.LBB20_10:
	v_cmp_lt_i32_e32 vcc, v55, v50
	v_cndmask_b32_e32 v0, v19, v55, vcc
	v_lshlrev_b32_e32 v0, 2, v0
	ds_bpermute_b32 v0, v0, v37
	v_cmp_lt_i32_e32 vcc, v54, v50
	v_cndmask_b32_e32 v1, v19, v54, vcc
	v_lshlrev_b32_e32 v1, 2, v1
	v_cmp_lt_i32_e32 vcc, v53, v50
	s_waitcnt lgkmcnt(0)
	v_add_f32_e32 v0, v37, v0
	ds_bpermute_b32 v1, v1, v0
	v_cndmask_b32_e32 v2, v19, v53, vcc
	v_lshlrev_b32_e32 v2, 2, v2
	v_cmp_lt_i32_e32 vcc, v52, v50
	s_cmp_eq_u64 s[16:17], 0
	s_waitcnt lgkmcnt(0)
	v_add_f32_e32 v0, v0, v1
	ds_bpermute_b32 v1, v2, v0
	v_cndmask_b32_e32 v2, v19, v52, vcc
	v_lshlrev_b32_e32 v2, 2, v2
	v_cmp_lt_i32_e32 vcc, v51, v50
	s_cselect_b64 s[0:1], -1, 0
	s_waitcnt lgkmcnt(0)
	v_add_f32_e32 v0, v0, v1
	ds_bpermute_b32 v1, v2, v0
	v_cndmask_b32_e32 v2, v19, v51, vcc
	v_lshlrev_b32_e32 v2, 2, v2
	s_cmp_lg_u32 s7, 0
	s_cselect_b64 s[2:3], -1, 0
	s_waitcnt lgkmcnt(0)
	v_add_f32_e32 v0, v0, v1
	ds_bpermute_b32 v1, v2, v0
	s_or_b64 s[0:1], s[2:3], s[0:1]
	s_and_b64 vcc, exec, s[0:1]
	s_waitcnt lgkmcnt(0)
	v_add_f32_e32 v37, v0, v1
	s_cbranch_vccnz .LBB20_13
; %bb.11:
	v_add_u32_e32 v0, s29, v17
	v_ashrrev_i32_e32 v1, 31, v0
	v_lshlrev_b64 v[0:1], 2, v[0:1]
	v_mov_b32_e32 v2, s17
	v_add_co_u32_e32 v0, vcc, s16, v0
	v_addc_co_u32_e32 v1, vcc, v2, v1, vcc
	global_load_dword v1, v[0:1], off
	v_max_f32_e32 v0, v36, v36
	s_mov_b32 s0, 0x3fb8aa3b
	s_mov_b32 s1, 0xc2ce8ed0
	s_waitcnt vmcnt(0)
	v_max_f32_e32 v2, v1, v1
	v_max_f32_e32 v0, v0, v2
	v_sub_f32_e32 v2, v36, v0
	v_sub_f32_e32 v1, v1, v0
	v_mul_f32_e32 v3, 0x3fb8aa3b, v2
	v_mul_f32_e32 v4, 0x3fb8aa3b, v1
	v_fma_f32 v5, v2, s0, -v3
	v_rndne_f32_e32 v6, v3
	v_fma_f32 v7, v1, s0, -v4
	v_rndne_f32_e32 v8, v4
	v_fmac_f32_e32 v5, 0x32a5705f, v2
	v_sub_f32_e32 v3, v3, v6
	v_fmac_f32_e32 v7, 0x32a5705f, v1
	v_sub_f32_e32 v4, v4, v8
	v_add_f32_e32 v3, v3, v5
	v_cvt_i32_f32_e32 v6, v6
	v_add_f32_e32 v4, v4, v7
	v_exp_f32_e32 v3, v3
	v_cvt_i32_f32_e32 v8, v8
	v_exp_f32_e32 v4, v4
	v_cmp_ngt_f32_e32 vcc, s1, v2
	v_ldexp_f32 v3, v3, v6
	s_mov_b32 s0, 0x42b17218
	v_ldexp_f32 v4, v4, v8
	v_cndmask_b32_e32 v3, 0, v3, vcc
	v_cmp_ngt_f32_e32 vcc, s1, v1
	v_mov_b32_e32 v5, 0x7f800000
	v_cndmask_b32_e32 v4, 0, v4, vcc
	v_cmp_nlt_f32_e32 vcc, s0, v2
	v_cndmask_b32_e32 v2, v5, v3, vcc
	v_cvt_f16_f32_e32 v3, v2
	v_cmp_nlt_f32_e32 vcc, s0, v1
	v_cndmask_b32_e32 v1, v5, v4, vcc
	v_fmac_f32_e32 v1, v37, v2
	v_pk_mul_f16 v82, v3, v82 op_sel_hi:[0,1]
	v_pk_mul_f16 v81, v3, v81 op_sel_hi:[0,1]
	;; [unrolled: 1-line block ×4, first 2 shown]
	v_pk_mov_b32 v[36:37], v[0:1], v[0:1] op_sel:[0,1]
	v_cmp_gt_i32_e32 vcc, s26, v48
	s_and_saveexec_b64 s[0:1], vcc
	s_cbranch_execnz .LBB20_14
.LBB20_12:
	s_endpgm
.LBB20_13:
	v_mov_b32_e32 v1, v37
	v_cmp_gt_i32_e32 vcc, s26, v48
	s_and_saveexec_b64 s[0:1], vcc
	s_cbranch_execz .LBB20_12
.LBB20_14:
	v_div_scale_f32 v0, s[0:1], v1, v1, 1.0
	v_rcp_f32_e32 v2, v0
	s_load_dword s2, s[4:5], 0xd4
	s_mul_i32 s33, s33, s26
	v_cvt_f32_f16_sdwa v11, v81 dst_sel:DWORD dst_unused:UNUSED_PAD src0_sel:WORD_1
	v_fma_f32 v3, -v0, v2, 1.0
	v_fmac_f32_e32 v2, v3, v2
	v_div_scale_f32 v3, vcc, 1.0, v1, 1.0
	v_mul_f32_e32 v4, v3, v2
	v_fma_f32 v5, -v0, v4, v3
	v_fmac_f32_e32 v4, v5, v2
	v_fma_f32 v0, -v0, v4, v3
	s_waitcnt lgkmcnt(0)
	s_cmp_lg_u32 s2, 1
	v_div_fmas_f32 v0, v0, v2, v4
	v_div_fixup_f32 v0, v0, v1, 1.0
	s_cselect_b64 s[0:1], -1, 0
	v_cndmask_b32_e64 v6, v0, 1.0, s[0:1]
	v_add_u32_e32 v0, s33, v48
	v_mul_lo_u32 v0, v0, s27
	v_add3_u32 v0, s29, v17, v0
	v_mul_lo_u32 v0, s2, v0
	v_add_u32_e32 v0, s7, v0
	v_cvt_f32_f16_sdwa v5, v82 dst_sel:DWORD dst_unused:UNUSED_PAD src0_sel:WORD_1
	v_cvt_f32_f16_e32 v4, v82
	v_cvt_f32_f16_e32 v10, v81
	v_lshl_add_u32 v8, v0, 8, v49
	v_mov_b32_e32 v9, 0
	v_lshlrev_b64 v[2:3], 2, v[8:9]
	v_mov_b32_e32 v1, s21
	v_add_co_u32_e32 v12, vcc, s20, v2
	v_addc_co_u32_e32 v13, vcc, v1, v3, vcc
	v_pk_mul_f32 v[2:3], v[6:7], v[4:5] op_sel_hi:[0,1]
	v_pk_mul_f32 v[4:5], v[6:7], v[10:11] op_sel_hi:[0,1]
	v_add_u32_e32 v8, 0x80, v8
	global_store_dwordx4 v[12:13], v[2:5], off
	s_nop 0
	v_lshlrev_b64 v[2:3], 2, v[8:9]
	v_cvt_f32_f16_sdwa v5, v83 dst_sel:DWORD dst_unused:UNUSED_PAD src0_sel:WORD_1
	v_cvt_f32_f16_e32 v4, v83
	v_cvt_f32_f16_sdwa v9, v80 dst_sel:DWORD dst_unused:UNUSED_PAD src0_sel:WORD_1
	v_cvt_f32_f16_e32 v8, v80
	v_add_co_u32_e32 v10, vcc, s20, v2
	v_addc_co_u32_e32 v11, vcc, v1, v3, vcc
	v_cmp_eq_u32_e32 vcc, 0, v16
	v_pk_mul_f32 v[2:3], v[6:7], v[4:5] op_sel_hi:[0,1]
	v_pk_mul_f32 v[4:5], v[6:7], v[8:9] op_sel_hi:[0,1]
	s_and_b64 s[0:1], vcc, s[0:1]
	global_store_dwordx4 v[10:11], v[2:5], off
	s_and_b64 exec, exec, s[0:1]
	s_cbranch_execz .LBB20_12
; %bb.15:
	v_ashrrev_i32_e32 v1, 31, v0
	v_lshlrev_b64 v[0:1], 3, v[0:1]
	v_mov_b32_e32 v2, s23
	v_add_co_u32_e32 v0, vcc, s22, v0
	v_addc_co_u32_e32 v1, vcc, v2, v1, vcc
	global_store_dwordx2 v[0:1], v[36:37], off
	s_endpgm
	.section	.rodata,"a",@progbits
	.p2align	6, 0x0
	.amdhsa_kernel _ZL15flash_attn_tileILi256ELi256ELi2ELi4ELb0EEvPKcS1_S1_S1_S1_PKiPfP15HIP_vector_typeIfLj2EEffffjfiS5_IjLj3EEiiiiiiiiiiiliiliiiiil
		.amdhsa_group_segment_fixed_size 22528
		.amdhsa_private_segment_fixed_size 0
		.amdhsa_kernarg_size 464
		.amdhsa_user_sgpr_count 6
		.amdhsa_user_sgpr_private_segment_buffer 1
		.amdhsa_user_sgpr_dispatch_ptr 0
		.amdhsa_user_sgpr_queue_ptr 0
		.amdhsa_user_sgpr_kernarg_segment_ptr 1
		.amdhsa_user_sgpr_dispatch_id 0
		.amdhsa_user_sgpr_flat_scratch_init 0
		.amdhsa_user_sgpr_kernarg_preload_length 0
		.amdhsa_user_sgpr_kernarg_preload_offset 0
		.amdhsa_user_sgpr_private_segment_size 0
		.amdhsa_uses_dynamic_stack 0
		.amdhsa_system_sgpr_private_segment_wavefront_offset 0
		.amdhsa_system_sgpr_workgroup_id_x 1
		.amdhsa_system_sgpr_workgroup_id_y 1
		.amdhsa_system_sgpr_workgroup_id_z 1
		.amdhsa_system_sgpr_workgroup_info 0
		.amdhsa_system_vgpr_workitem_id 1
		.amdhsa_next_free_vgpr 221
		.amdhsa_next_free_sgpr 44
		.amdhsa_accum_offset 224
		.amdhsa_reserve_vcc 1
		.amdhsa_reserve_flat_scratch 0
		.amdhsa_float_round_mode_32 0
		.amdhsa_float_round_mode_16_64 0
		.amdhsa_float_denorm_mode_32 3
		.amdhsa_float_denorm_mode_16_64 3
		.amdhsa_dx10_clamp 1
		.amdhsa_ieee_mode 1
		.amdhsa_fp16_overflow 0
		.amdhsa_tg_split 0
		.amdhsa_exception_fp_ieee_invalid_op 0
		.amdhsa_exception_fp_denorm_src 0
		.amdhsa_exception_fp_ieee_div_zero 0
		.amdhsa_exception_fp_ieee_overflow 0
		.amdhsa_exception_fp_ieee_underflow 0
		.amdhsa_exception_fp_ieee_inexact 0
		.amdhsa_exception_int_div_zero 0
	.end_amdhsa_kernel
	.section	.text._ZL15flash_attn_tileILi256ELi256ELi2ELi4ELb0EEvPKcS1_S1_S1_S1_PKiPfP15HIP_vector_typeIfLj2EEffffjfiS5_IjLj3EEiiiiiiiiiiiliiliiiiil,"axG",@progbits,_ZL15flash_attn_tileILi256ELi256ELi2ELi4ELb0EEvPKcS1_S1_S1_S1_PKiPfP15HIP_vector_typeIfLj2EEffffjfiS5_IjLj3EEiiiiiiiiiiiliiliiiiil,comdat
.Lfunc_end20:
	.size	_ZL15flash_attn_tileILi256ELi256ELi2ELi4ELb0EEvPKcS1_S1_S1_S1_PKiPfP15HIP_vector_typeIfLj2EEffffjfiS5_IjLj3EEiiiiiiiiiiiliiliiiiil, .Lfunc_end20-_ZL15flash_attn_tileILi256ELi256ELi2ELi4ELb0EEvPKcS1_S1_S1_S1_PKiPfP15HIP_vector_typeIfLj2EEffffjfiS5_IjLj3EEiiiiiiiiiiiliiliiiiil
                                        ; -- End function
	.section	.AMDGPU.csdata,"",@progbits
; Kernel info:
; codeLenInByte = 9688
; NumSgprs: 48
; NumVgprs: 221
; NumAgprs: 0
; TotalNumVgprs: 221
; ScratchSize: 0
; MemoryBound: 0
; FloatMode: 240
; IeeeMode: 1
; LDSByteSize: 22528 bytes/workgroup (compile time only)
; SGPRBlocks: 5
; VGPRBlocks: 27
; NumSGPRsForWavesPerEU: 48
; NumVGPRsForWavesPerEU: 221
; AccumOffset: 224
; Occupancy: 2
; WaveLimiterHint : 1
; COMPUTE_PGM_RSRC2:SCRATCH_EN: 0
; COMPUTE_PGM_RSRC2:USER_SGPR: 6
; COMPUTE_PGM_RSRC2:TRAP_HANDLER: 0
; COMPUTE_PGM_RSRC2:TGID_X_EN: 1
; COMPUTE_PGM_RSRC2:TGID_Y_EN: 1
; COMPUTE_PGM_RSRC2:TGID_Z_EN: 1
; COMPUTE_PGM_RSRC2:TIDIG_COMP_CNT: 1
; COMPUTE_PGM_RSRC3_GFX90A:ACCUM_OFFSET: 55
; COMPUTE_PGM_RSRC3_GFX90A:TG_SPLIT: 0
	.section	.text._ZL33flash_attn_stream_k_fixup_uniformILi256ELi2ELi4EEvPfPK15HIP_vector_typeIfLj2EEiiiiiiS1_IjLj3EES5_S5_,"axG",@progbits,_ZL33flash_attn_stream_k_fixup_uniformILi256ELi2ELi4EEvPfPK15HIP_vector_typeIfLj2EEiiiiiiS1_IjLj3EES5_S5_,comdat
	.globl	_ZL33flash_attn_stream_k_fixup_uniformILi256ELi2ELi4EEvPfPK15HIP_vector_typeIfLj2EEiiiiiiS1_IjLj3EES5_S5_ ; -- Begin function _ZL33flash_attn_stream_k_fixup_uniformILi256ELi2ELi4EEvPfPK15HIP_vector_typeIfLj2EEiiiiiiS1_IjLj3EES5_S5_
	.p2align	8
	.type	_ZL33flash_attn_stream_k_fixup_uniformILi256ELi2ELi4EEvPfPK15HIP_vector_typeIfLj2EEiiiiiiS1_IjLj3EES5_S5_,@function
_ZL33flash_attn_stream_k_fixup_uniformILi256ELi2ELi4EEvPfPK15HIP_vector_typeIfLj2EEiiiiiiS1_IjLj3EES5_S5_: ; @_ZL33flash_attn_stream_k_fixup_uniformILi256ELi2ELi4EEvPfPK15HIP_vector_typeIfLj2EEiiiiiiS1_IjLj3EES5_S5_
; %bb.0:
	s_load_dwordx8 s[12:19], s[4:5], 0x1c
	s_load_dwordx2 s[10:11], s[4:5], 0x10
	s_load_dwordx4 s[0:3], s[4:5], 0x3c
	s_waitcnt lgkmcnt(0)
	s_mul_hi_u32 s9, s15, s6
	s_add_i32 s9, s6, s9
	s_lshr_b32 s9, s9, s16
	s_mul_i32 s15, s9, s17
	s_sub_i32 s15, s6, s15
	s_mul_hi_u32 s16, s15, s18
	s_add_i32 s16, s15, s16
	s_lshr_b32 s16, s16, s19
	s_mul_i32 s0, s16, s0
	s_sub_i32 s0, s15, s0
	;; [unrolled: 5-line block ×3, first 2 shown]
	s_lshl_b32 s0, s17, 1
	s_lshl_b32 s15, s1, 2
	s_add_i32 s0, s0, s7
	s_cmp_lt_i32 s0, s10
	s_cselect_b64 s[0:1], -1, 0
	s_add_i32 s2, s15, s8
	s_cmp_lt_i32 s2, s13
	s_cselect_b64 s[2:3], -1, 0
	s_and_b64 s[0:1], s[0:1], s[2:3]
	s_andn2_b64 vcc, exec, s[0:1]
	s_cbranch_vccnz .LBB21_6
; %bb.1:
	s_load_dwordx4 s[0:3], s[4:5], 0x0
	s_mul_i32 s4, s9, s10
	s_add_i32 s4, s4, s7
	s_mul_i32 s4, s4, s11
	s_mul_i32 s16, s16, s13
	s_add_i32 s4, s4, s8
	s_add_i32 s4, s4, s16
	s_mul_i32 s5, s11, s17
	s_add_i32 s4, s4, s15
	s_lshl_b32 s5, s5, 9
	s_lshl_b32 s4, s4, 8
	s_add_i32 s5, s5, s4
	v_or_b32_e32 v2, s5, v0
	v_ashrrev_i32_e32 v3, 31, v2
	v_lshlrev_b64 v[2:3], 2, v[2:3]
	s_waitcnt lgkmcnt(0)
	v_mov_b32_e32 v1, s1
	v_add_co_u32_e32 v2, vcc, s0, v2
	v_addc_co_u32_e32 v3, vcc, v1, v3, vcc
	global_load_dword v8, v[2:3], off
	s_mul_i32 s9, s6, s14
	s_lshl_b32 s4, s7, 2
	s_add_i32 s11, s9, s14
	s_add_i32 s0, s4, s8
	s_lshl_b32 s1, s11, 3
	s_add_i32 s0, s0, s1
	s_add_i32 s0, s0, -8
	s_ashr_i32 s1, s0, 31
	s_lshl_b64 s[0:1], s[0:1], 3
	s_add_u32 s0, s2, s0
	s_addc_u32 s1, s3, s1
	s_load_dword s5, s[0:1], 0x4
	s_add_i32 s10, s11, -2
	s_cmp_lt_i32 s10, s9
	s_cbranch_scc1 .LBB21_4
; %bb.2:
	s_lshl_b32 s16, s12, 5
	s_ashr_i32 s17, s16, 31
	s_lshl_b64 s[16:17], s[16:17], 2
	s_add_u32 s10, s2, s16
	s_addc_u32 s13, s3, s17
	s_add_i32 s6, s6, 1
	s_load_dword s0, s[0:1], 0x0
	s_mul_i32 s1, s14, s6
	s_lshl_b32 s7, s7, 10
	s_lshl_b32 s14, s8, 8
	;; [unrolled: 1-line block ×3, first 2 shown]
	s_add_i32 s7, s14, s7
	s_lshl_b32 s1, s1, 3
	s_add_i32 s7, s7, s6
	s_add_i32 s1, s8, s1
	s_lshl_b32 s6, s12, 3
	s_add_i32 s1, s1, s6
	v_or_b32_e32 v0, s7, v0
	s_add_i32 s1, s1, s4
	s_add_i32 s11, s11, -1
	v_add_u32_e32 v0, 0xfffff000, v0
	s_add_i32 s4, s1, -16
	s_waitcnt lgkmcnt(0)
	v_mov_b32_e32 v7, s5
	v_mov_b32_e32 v6, s0
	;; [unrolled: 1-line block ×3, first 2 shown]
	s_mov_b32 s6, 0x3fb8aa3b
	s_mov_b32 s7, 0xc2ce8ed0
	;; [unrolled: 1-line block ×3, first 2 shown]
	v_mov_b32_e32 v5, 0x7f800000
	s_mov_b32 s12, 0xc1a00000
.LBB21_3:                               ; =>This Inner Loop Header: Depth=1
	v_ashrrev_i32_e32 v1, 31, v0
	v_lshlrev_b64 v[10:11], 2, v[0:1]
	v_add_co_u32_e32 v10, vcc, s10, v10
	v_addc_co_u32_e32 v11, vcc, v4, v11, vcc
	global_load_dword v1, v[10:11], off
	s_ashr_i32 s5, s4, 31
	s_lshl_b64 s[0:1], s[4:5], 3
	s_add_u32 s0, s2, s0
	s_addc_u32 s1, s3, s1
	s_load_dwordx2 s[14:15], s[0:1], 0x0
	s_waitcnt vmcnt(1)
	v_mov_b32_e32 v9, v8
	v_max_f32_e32 v8, v6, v6
	v_mov_b32_e32 v10, v7
	s_add_i32 s11, s11, -1
	s_waitcnt lgkmcnt(0)
	v_max_f32_e64 v7, s14, s14
	v_max_f32_e32 v7, v8, v7
	v_sub_f32_e32 v11, s14, v7
	v_sub_f32_e32 v8, v6, v7
	v_mul_f32_e32 v12, 0x3fb8aa3b, v11
	v_mov_b32_e32 v6, v7
	v_mul_f32_e32 v7, 0x3fb8aa3b, v8
	v_fma_f32 v15, v11, s6, -v12
	v_rndne_f32_e32 v16, v12
	v_fma_f32 v13, v8, s6, -v7
	v_rndne_f32_e32 v14, v7
	v_fmac_f32_e32 v15, 0x32a5705f, v11
	v_sub_f32_e32 v12, v12, v16
	v_fmac_f32_e32 v13, 0x32a5705f, v8
	v_sub_f32_e32 v7, v7, v14
	v_add_f32_e32 v12, v12, v15
	v_cvt_i32_f32_e32 v16, v16
	v_add_f32_e32 v7, v7, v13
	v_exp_f32_e32 v12, v12
	v_cvt_i32_f32_e32 v14, v14
	v_exp_f32_e32 v7, v7
	v_cmp_ngt_f32_e32 vcc, s7, v11
	v_ldexp_f32 v12, v12, v16
	v_cmp_ngt_f32_e64 s[0:1], s7, v8
	v_ldexp_f32 v7, v7, v14
	v_cndmask_b32_e32 v12, 0, v12, vcc
	v_cmp_nlt_f32_e32 vcc, s8, v11
	v_cndmask_b32_e64 v7, 0, v7, s[0:1]
	v_cmp_nlt_f32_e64 s[0:1], s8, v8
	v_cndmask_b32_e32 v12, v5, v12, vcc
	v_cmp_le_f32_e32 vcc, s12, v11
	v_cndmask_b32_e64 v7, v5, v7, s[0:1]
	v_cmp_le_f32_e64 s[0:1], s12, v8
	v_cndmask_b32_e32 v8, 0, v12, vcc
	s_add_i32 s4, s4, -8
	v_cndmask_b32_e64 v11, 0, v7, s[0:1]
	v_mul_f32_e32 v7, s15, v8
	v_add_u32_e32 v0, 0xfffff800, v0
	s_cmp_le_i32 s11, s9
	v_fmac_f32_e32 v7, v10, v11
	s_waitcnt vmcnt(0)
	v_mul_f32_e32 v8, v1, v8
	v_fmac_f32_e32 v8, v9, v11
	s_cbranch_scc0 .LBB21_3
	s_branch .LBB21_5
.LBB21_4:
	s_waitcnt lgkmcnt(0)
	v_mov_b32_e32 v7, s5
.LBB21_5:
	s_waitcnt vmcnt(0)
	v_div_scale_f32 v0, s[0:1], v7, v7, v8
	v_rcp_f32_e32 v1, v0
	v_div_scale_f32 v4, vcc, v8, v7, v8
	v_fma_f32 v5, -v0, v1, 1.0
	v_fmac_f32_e32 v1, v5, v1
	v_mul_f32_e32 v5, v4, v1
	v_fma_f32 v6, -v0, v5, v4
	v_fmac_f32_e32 v5, v6, v1
	v_fma_f32 v0, -v0, v5, v4
	v_div_fmas_f32 v0, v0, v1, v5
	v_div_fixup_f32 v0, v0, v7, v8
	global_store_dword v[2:3], v0, off
.LBB21_6:
	s_endpgm
	.section	.rodata,"a",@progbits
	.p2align	6, 0x0
	.amdhsa_kernel _ZL33flash_attn_stream_k_fixup_uniformILi256ELi2ELi4EEvPfPK15HIP_vector_typeIfLj2EEiiiiiiS1_IjLj3EES5_S5_
		.amdhsa_group_segment_fixed_size 0
		.amdhsa_private_segment_fixed_size 0
		.amdhsa_kernarg_size 76
		.amdhsa_user_sgpr_count 6
		.amdhsa_user_sgpr_private_segment_buffer 1
		.amdhsa_user_sgpr_dispatch_ptr 0
		.amdhsa_user_sgpr_queue_ptr 0
		.amdhsa_user_sgpr_kernarg_segment_ptr 1
		.amdhsa_user_sgpr_dispatch_id 0
		.amdhsa_user_sgpr_flat_scratch_init 0
		.amdhsa_user_sgpr_kernarg_preload_length 0
		.amdhsa_user_sgpr_kernarg_preload_offset 0
		.amdhsa_user_sgpr_private_segment_size 0
		.amdhsa_uses_dynamic_stack 0
		.amdhsa_system_sgpr_private_segment_wavefront_offset 0
		.amdhsa_system_sgpr_workgroup_id_x 1
		.amdhsa_system_sgpr_workgroup_id_y 1
		.amdhsa_system_sgpr_workgroup_id_z 1
		.amdhsa_system_sgpr_workgroup_info 0
		.amdhsa_system_vgpr_workitem_id 0
		.amdhsa_next_free_vgpr 17
		.amdhsa_next_free_sgpr 20
		.amdhsa_accum_offset 20
		.amdhsa_reserve_vcc 1
		.amdhsa_reserve_flat_scratch 0
		.amdhsa_float_round_mode_32 0
		.amdhsa_float_round_mode_16_64 0
		.amdhsa_float_denorm_mode_32 3
		.amdhsa_float_denorm_mode_16_64 3
		.amdhsa_dx10_clamp 1
		.amdhsa_ieee_mode 1
		.amdhsa_fp16_overflow 0
		.amdhsa_tg_split 0
		.amdhsa_exception_fp_ieee_invalid_op 0
		.amdhsa_exception_fp_denorm_src 0
		.amdhsa_exception_fp_ieee_div_zero 0
		.amdhsa_exception_fp_ieee_overflow 0
		.amdhsa_exception_fp_ieee_underflow 0
		.amdhsa_exception_fp_ieee_inexact 0
		.amdhsa_exception_int_div_zero 0
	.end_amdhsa_kernel
	.section	.text._ZL33flash_attn_stream_k_fixup_uniformILi256ELi2ELi4EEvPfPK15HIP_vector_typeIfLj2EEiiiiiiS1_IjLj3EES5_S5_,"axG",@progbits,_ZL33flash_attn_stream_k_fixup_uniformILi256ELi2ELi4EEvPfPK15HIP_vector_typeIfLj2EEiiiiiiS1_IjLj3EES5_S5_,comdat
.Lfunc_end21:
	.size	_ZL33flash_attn_stream_k_fixup_uniformILi256ELi2ELi4EEvPfPK15HIP_vector_typeIfLj2EEiiiiiiS1_IjLj3EES5_S5_, .Lfunc_end21-_ZL33flash_attn_stream_k_fixup_uniformILi256ELi2ELi4EEvPfPK15HIP_vector_typeIfLj2EEiiiiiiS1_IjLj3EES5_S5_
                                        ; -- End function
	.section	.AMDGPU.csdata,"",@progbits
; Kernel info:
; codeLenInByte = 856
; NumSgprs: 24
; NumVgprs: 17
; NumAgprs: 0
; TotalNumVgprs: 17
; ScratchSize: 0
; MemoryBound: 0
; FloatMode: 240
; IeeeMode: 1
; LDSByteSize: 0 bytes/workgroup (compile time only)
; SGPRBlocks: 2
; VGPRBlocks: 2
; NumSGPRsForWavesPerEU: 24
; NumVGPRsForWavesPerEU: 17
; AccumOffset: 20
; Occupancy: 8
; WaveLimiterHint : 0
; COMPUTE_PGM_RSRC2:SCRATCH_EN: 0
; COMPUTE_PGM_RSRC2:USER_SGPR: 6
; COMPUTE_PGM_RSRC2:TRAP_HANDLER: 0
; COMPUTE_PGM_RSRC2:TGID_X_EN: 1
; COMPUTE_PGM_RSRC2:TGID_Y_EN: 1
; COMPUTE_PGM_RSRC2:TGID_Z_EN: 1
; COMPUTE_PGM_RSRC2:TIDIG_COMP_CNT: 0
; COMPUTE_PGM_RSRC3_GFX90A:ACCUM_OFFSET: 4
; COMPUTE_PGM_RSRC3_GFX90A:TG_SPLIT: 0
	.section	.text._ZL33flash_attn_stream_k_fixup_generalILi256ELi2ELi4EEvPfPK15HIP_vector_typeIfLj2EEiiiiS1_IjLj3EES5_S5_S5_,"axG",@progbits,_ZL33flash_attn_stream_k_fixup_generalILi256ELi2ELi4EEvPfPK15HIP_vector_typeIfLj2EEiiiiS1_IjLj3EES5_S5_S5_,comdat
	.globl	_ZL33flash_attn_stream_k_fixup_generalILi256ELi2ELi4EEvPfPK15HIP_vector_typeIfLj2EEiiiiS1_IjLj3EES5_S5_S5_ ; -- Begin function _ZL33flash_attn_stream_k_fixup_generalILi256ELi2ELi4EEvPfPK15HIP_vector_typeIfLj2EEiiiiS1_IjLj3EES5_S5_S5_
	.p2align	8
	.type	_ZL33flash_attn_stream_k_fixup_generalILi256ELi2ELi4EEvPfPK15HIP_vector_typeIfLj2EEiiiiS1_IjLj3EES5_S5_S5_,@function
_ZL33flash_attn_stream_k_fixup_generalILi256ELi2ELi4EEvPfPK15HIP_vector_typeIfLj2EEiiiiS1_IjLj3EES5_S5_S5_: ; @_ZL33flash_attn_stream_k_fixup_generalILi256ELi2ELi4EEvPfPK15HIP_vector_typeIfLj2EEiiiiS1_IjLj3EES5_S5_S5_
; %bb.0:
	s_load_dwordx4 s[12:15], s[4:5], 0x10
	s_load_dword s9, s[4:5], 0x50
	s_mov_b32 s2, 0
	s_waitcnt lgkmcnt(0)
	s_mul_hi_i32 s3, s15, s6
	s_cmp_lg_u64 s[2:3], 0
	s_mul_i32 s2, s15, s6
	s_cbranch_scc0 .LBB22_21
; %bb.1:
	v_cvt_f32_u32_e32 v1, s9
	v_cvt_f32_ubyte0_e32 v2, 0
	s_sub_u32 s10, 0, s9
	s_subb_u32 s11, 0, 0
	v_madmk_f32 v1, v2, 0x4f800000, v1
	v_rcp_f32_e32 v1, v1
	v_mul_f32_e32 v1, 0x5f7ffffc, v1
	v_mul_f32_e32 v2, 0x2f800000, v1
	v_trunc_f32_e32 v2, v2
	v_madmk_f32 v1, v2, 0xcf800000, v1
	v_cvt_u32_f32_e32 v2, v2
	v_cvt_u32_f32_e32 v1, v1
	v_readfirstlane_b32 s16, v2
	v_readfirstlane_b32 s17, v1
	s_mul_i32 s18, s10, s16
	s_mul_hi_u32 s20, s10, s17
	s_mul_i32 s19, s11, s17
	s_add_i32 s18, s20, s18
	s_add_i32 s18, s18, s19
	s_mul_i32 s21, s10, s17
	s_mul_hi_u32 s19, s17, s18
	s_mul_i32 s20, s17, s18
	s_mul_hi_u32 s17, s17, s21
	s_add_u32 s17, s17, s20
	s_addc_u32 s19, 0, s19
	s_mul_hi_u32 s22, s16, s21
	s_mul_i32 s21, s16, s21
	s_add_u32 s17, s17, s21
	s_mul_hi_u32 s20, s16, s18
	s_addc_u32 s17, s19, s22
	s_addc_u32 s19, s20, 0
	s_mul_i32 s18, s16, s18
	s_add_u32 s17, s17, s18
	s_addc_u32 s18, 0, s19
	v_add_co_u32_e32 v1, vcc, s17, v1
	s_cmp_lg_u64 vcc, 0
	s_addc_u32 s16, s16, s18
	v_readfirstlane_b32 s18, v1
	s_mul_i32 s17, s10, s16
	s_mul_hi_u32 s19, s10, s18
	s_add_i32 s17, s19, s17
	s_mul_i32 s11, s11, s18
	s_add_i32 s17, s17, s11
	s_mul_i32 s10, s10, s18
	s_mul_hi_u32 s19, s16, s10
	s_mul_i32 s20, s16, s10
	s_mul_i32 s22, s18, s17
	s_mul_hi_u32 s10, s18, s10
	s_mul_hi_u32 s21, s18, s17
	s_add_u32 s10, s10, s22
	s_addc_u32 s18, 0, s21
	s_add_u32 s10, s10, s20
	s_mul_hi_u32 s11, s16, s17
	s_addc_u32 s10, s18, s19
	s_addc_u32 s11, s11, 0
	s_mul_i32 s17, s16, s17
	s_add_u32 s10, s10, s17
	s_addc_u32 s11, 0, s11
	v_add_co_u32_e32 v1, vcc, s10, v1
	s_cmp_lg_u64 vcc, 0
	s_addc_u32 s18, s16, s11
	s_ashr_i32 s10, s3, 31
	s_add_u32 s16, s2, s10
	s_mov_b32 s11, s10
	s_addc_u32 s17, s3, s10
	s_xor_b64 s[16:17], s[16:17], s[10:11]
	v_readfirstlane_b32 s20, v1
	s_mul_i32 s19, s16, s18
	s_mul_hi_u32 s21, s16, s20
	s_mul_hi_u32 s3, s16, s18
	s_add_u32 s19, s21, s19
	s_addc_u32 s3, 0, s3
	s_mul_hi_u32 s22, s17, s20
	s_mul_i32 s20, s17, s20
	s_add_u32 s19, s19, s20
	s_mul_hi_u32 s21, s17, s18
	s_addc_u32 s3, s3, s22
	s_addc_u32 s19, s21, 0
	s_mul_i32 s18, s17, s18
	s_add_u32 s3, s3, s18
	s_addc_u32 s18, 0, s19
	s_add_u32 s19, s3, 1
	s_addc_u32 s20, s18, 0
	s_add_u32 s21, s3, 2
	s_mul_i32 s23, s9, s18
	s_mul_hi_u32 s24, s9, s3
	s_addc_u32 s22, s18, 0
	s_add_i32 s24, s24, s23
	s_mul_i32 s23, s9, s3
	v_mov_b32_e32 v1, s23
	v_sub_co_u32_e32 v1, vcc, s16, v1
	s_cmp_lg_u64 vcc, 0
	s_subb_u32 s16, s17, s24
	v_subrev_co_u32_e32 v2, vcc, s9, v1
	s_cmp_lg_u64 vcc, 0
	s_subb_u32 s17, s16, 0
	v_readfirstlane_b32 s23, v2
	s_cmp_ge_u32 s23, s9
	s_cselect_b32 s23, -1, 0
	s_cmp_eq_u32 s17, 0
	s_cselect_b32 s17, s23, -1
	s_cmp_lg_u32 s17, 0
	s_cselect_b32 s17, s22, s20
	v_readfirstlane_b32 s20, v1
	s_cselect_b32 s19, s21, s19
	s_cmp_ge_u32 s20, s9
	s_cselect_b32 s20, -1, 0
	s_cmp_eq_u32 s16, 0
	s_cselect_b32 s16, s20, -1
	s_cmp_lg_u32 s16, 0
	s_cselect_b32 s17, s17, s18
	s_cselect_b32 s16, s19, s3
	s_xor_b64 s[16:17], s[16:17], s[10:11]
	s_sub_u32 s20, s16, s10
	s_load_dwordx4 s[16:19], s[4:5], 0x44
	s_cbranch_execnz .LBB22_3
.LBB22_2:
	v_cvt_f32_u32_e32 v1, s9
	s_sub_i32 s0, 0, s9
	v_rcp_iflag_f32_e32 v1, v1
	v_mul_f32_e32 v1, 0x4f7ffffe, v1
	v_cvt_u32_f32_e32 v1, v1
	v_readfirstlane_b32 s1, v1
	s_mul_i32 s0, s0, s1
	s_mul_hi_u32 s0, s1, s0
	s_add_i32 s1, s1, s0
	s_mul_hi_u32 s0, s2, s1
	s_mul_i32 s3, s0, s9
	s_sub_i32 s2, s2, s3
	s_add_i32 s1, s0, 1
	s_sub_i32 s3, s2, s9
	s_cmp_ge_u32 s2, s9
	s_cselect_b32 s0, s1, s0
	s_cselect_b32 s2, s3, s2
	s_add_i32 s1, s0, 1
	s_cmp_ge_u32 s2, s9
	s_cselect_b32 s20, s1, s0
.LBB22_3:
	s_add_i32 s0, s6, 1
	s_mul_hi_i32 s3, s15, s0
	s_mov_b32 s2, 0
	s_cmp_lg_u64 s[2:3], 0
	s_mul_i32 s2, s15, s0
	s_cbranch_scc0 .LBB22_22
; %bb.4:
	v_cvt_f32_u32_e32 v1, s9
	v_cvt_f32_ubyte0_e32 v2, 0
	s_sub_u32 s10, 0, s9
	s_subb_u32 s11, 0, 0
	v_madmk_f32 v1, v2, 0x4f800000, v1
	v_rcp_f32_e32 v1, v1
	v_mul_f32_e32 v1, 0x5f7ffffc, v1
	v_mul_f32_e32 v2, 0x2f800000, v1
	v_trunc_f32_e32 v2, v2
	v_madmk_f32 v1, v2, 0xcf800000, v1
	v_cvt_u32_f32_e32 v2, v2
	v_cvt_u32_f32_e32 v1, v1
	s_waitcnt lgkmcnt(0)
	v_readfirstlane_b32 s19, v2
	v_readfirstlane_b32 s21, v1
	s_mul_i32 s22, s10, s19
	s_mul_hi_u32 s24, s10, s21
	s_mul_i32 s23, s11, s21
	s_add_i32 s22, s24, s22
	s_add_i32 s22, s22, s23
	s_mul_i32 s25, s10, s21
	s_mul_hi_u32 s23, s21, s22
	s_mul_i32 s24, s21, s22
	s_mul_hi_u32 s21, s21, s25
	s_add_u32 s21, s21, s24
	s_addc_u32 s23, 0, s23
	s_mul_hi_u32 s26, s19, s25
	s_mul_i32 s25, s19, s25
	s_add_u32 s21, s21, s25
	s_mul_hi_u32 s24, s19, s22
	s_addc_u32 s21, s23, s26
	s_addc_u32 s23, s24, 0
	s_mul_i32 s22, s19, s22
	s_add_u32 s21, s21, s22
	s_addc_u32 s22, 0, s23
	v_add_co_u32_e32 v1, vcc, s21, v1
	s_cmp_lg_u64 vcc, 0
	s_addc_u32 s19, s19, s22
	v_readfirstlane_b32 s22, v1
	s_mul_i32 s21, s10, s19
	s_mul_hi_u32 s23, s10, s22
	s_add_i32 s21, s23, s21
	s_mul_i32 s11, s11, s22
	s_add_i32 s21, s21, s11
	s_mul_i32 s10, s10, s22
	s_mul_hi_u32 s23, s19, s10
	s_mul_i32 s24, s19, s10
	s_mul_i32 s26, s22, s21
	s_mul_hi_u32 s10, s22, s10
	s_mul_hi_u32 s25, s22, s21
	s_add_u32 s10, s10, s26
	s_addc_u32 s22, 0, s25
	s_add_u32 s10, s10, s24
	s_mul_hi_u32 s11, s19, s21
	s_addc_u32 s10, s22, s23
	s_addc_u32 s11, s11, 0
	s_mul_i32 s21, s19, s21
	s_add_u32 s10, s10, s21
	s_addc_u32 s11, 0, s11
	v_add_co_u32_e32 v1, vcc, s10, v1
	s_cmp_lg_u64 vcc, 0
	s_addc_u32 s19, s19, s11
	s_ashr_i32 s10, s3, 31
	s_add_u32 s22, s2, s10
	s_mov_b32 s11, s10
	s_addc_u32 s23, s3, s10
	s_xor_b64 s[22:23], s[22:23], s[10:11]
	v_readfirstlane_b32 s21, v1
	s_mul_i32 s11, s22, s19
	s_mul_hi_u32 s24, s22, s21
	s_mul_hi_u32 s3, s22, s19
	s_add_u32 s11, s24, s11
	s_addc_u32 s3, 0, s3
	s_mul_hi_u32 s25, s23, s21
	s_mul_i32 s21, s23, s21
	s_add_u32 s11, s11, s21
	s_mul_hi_u32 s24, s23, s19
	s_addc_u32 s3, s3, s25
	s_addc_u32 s11, s24, 0
	s_mul_i32 s19, s23, s19
	s_add_u32 s3, s3, s19
	s_addc_u32 s11, 0, s11
	s_mul_i32 s11, s9, s11
	s_mul_hi_u32 s24, s9, s3
	s_add_i32 s24, s24, s11
	s_mul_i32 s11, s9, s3
	v_mov_b32_e32 v1, s11
	s_add_u32 s19, s3, 1
	s_add_u32 s21, s3, 2
	v_sub_co_u32_e32 v1, vcc, s22, v1
	s_cmp_lg_u64 vcc, 0
	s_subb_u32 s11, s23, s24
	v_subrev_co_u32_e32 v2, vcc, s9, v1
	s_cmp_lg_u64 vcc, 0
	s_subb_u32 s22, s11, 0
	v_cmp_le_u32_e32 vcc, s9, v2
	s_cmp_eq_u32 s22, 0
	v_cndmask_b32_e64 v2, 0, -1, vcc
	s_cselect_b64 vcc, -1, 0
	v_cndmask_b32_e32 v2, -1, v2, vcc
	v_mov_b32_e32 v3, s19
	v_mov_b32_e32 v4, s21
	v_cmp_ne_u32_e32 vcc, 0, v2
	v_cndmask_b32_e32 v2, v3, v4, vcc
	v_cmp_le_u32_e32 vcc, s9, v1
	s_cmp_eq_u32 s11, 0
	v_cndmask_b32_e64 v1, 0, -1, vcc
	s_cselect_b64 vcc, -1, 0
	v_cndmask_b32_e32 v1, -1, v1, vcc
	v_mov_b32_e32 v3, s3
	v_cmp_ne_u32_e32 vcc, 0, v1
	v_cndmask_b32_e32 v1, v3, v2, vcc
	v_xor_b32_e32 v1, s10, v1
	v_subrev_co_u32_e32 v2, vcc, s10, v1
	s_cbranch_execnz .LBB22_6
.LBB22_5:
	v_cvt_f32_u32_e32 v1, s9
	s_sub_i32 s0, 0, s9
	s_mov_b32 s1, 0
	v_rcp_iflag_f32_e32 v1, v1
	v_mul_f32_e32 v1, 0x4f7ffffe, v1
	v_cvt_u32_f32_e32 v1, v1
	v_readfirstlane_b32 s3, v1
	s_mul_i32 s0, s0, s3
	s_mul_hi_u32 s0, s3, s0
	s_add_i32 s3, s3, s0
	s_mul_hi_u32 s0, s2, s3
	s_mul_i32 s10, s0, s9
	s_sub_i32 s2, s2, s10
	s_add_i32 s3, s0, 1
	s_sub_i32 s10, s2, s9
	s_cmp_ge_u32 s2, s9
	s_cselect_b32 s0, s3, s0
	s_cselect_b32 s2, s10, s2
	s_add_i32 s3, s0, 1
	s_cmp_ge_u32 s2, s9
	s_cselect_b32 s0, s3, s0
	v_pk_mov_b32 v[2:3], s[0:1], s[0:1] op_sel:[0,1]
.LBB22_6:
	s_waitcnt lgkmcnt(0)
	s_mul_hi_u32 s0, s20, s16
	s_add_i32 s0, s0, s20
	v_mul_hi_u32 v1, v2, s16
	s_lshr_b32 s19, s0, s17
	v_add_u32_e32 v1, v1, v2
	s_mul_i32 s0, s19, s18
	v_lshrrev_b32_e32 v1, s17, v1
	s_cmp_eq_u32 s0, s20
	v_cmp_eq_u32_e64 s[0:1], s19, v1
	v_mul_lo_u32 v1, v1, s18
	v_cmp_eq_u32_e32 vcc, s20, v2
	s_cselect_b64 s[10:11], -1, 0
	v_cmp_ne_u32_e64 s[2:3], v1, v2
	s_and_b64 s[0:1], s[0:1], s[2:3]
	s_or_b64 s[2:3], vcc, s[10:11]
	s_or_b64 s[0:1], s[2:3], s[0:1]
	s_and_b64 vcc, exec, s[0:1]
	s_cbranch_vccnz .LBB22_24
; %bb.7:
	s_load_dwordx8 s[24:31], s[4:5], 0x20
	s_load_dword s0, s[4:5], 0x40
	s_mov_b32 s10, 0
	s_waitcnt lgkmcnt(0)
	s_mul_hi_u32 s1, s20, s24
	s_add_i32 s1, s1, s20
	s_lshr_b32 s11, s1, s25
	s_mul_i32 s1, s11, s26
	s_sub_i32 s1, s20, s1
	s_mul_hi_u32 s2, s1, s27
	s_add_i32 s2, s1, s2
	s_lshr_b32 s24, s2, s28
	s_mul_i32 s2, s24, s29
	s_sub_i32 s1, s1, s2
	;; [unrolled: 5-line block ×3, first 2 shown]
	s_mul_hi_u32 s1, s0, s16
	s_add_i32 s0, s0, s1
	s_lshr_b32 s26, s0, s17
	s_lshl_b32 s0, s26, 1
	s_lshl_b32 s25, s2, 2
	s_add_i32 s0, s0, s7
	s_cmp_lt_i32 s0, s12
	s_cselect_b64 s[0:1], -1, 0
	s_add_i32 s2, s25, s8
	s_cmp_lt_i32 s2, s14
	s_cselect_b64 s[2:3], -1, 0
	s_and_b64 s[0:1], s[0:1], s[2:3]
	s_andn2_b64 vcc, exec, s[0:1]
	s_cbranch_vccnz .LBB22_24
; %bb.8:
	s_load_dwordx4 s[0:3], s[4:5], 0x0
	s_lshl_b32 s21, s7, 2
	s_lshl_b32 s4, s9, 5
	s_mov_b32 s5, s10
	s_add_i32 s21, s21, s8
	s_lshl_b64 s[4:5], s[4:5], 2
	s_waitcnt lgkmcnt(0)
	s_add_u32 s22, s2, s4
	s_mul_i32 s4, s11, s12
	s_addc_u32 s23, s3, s5
	s_add_i32 s4, s4, s7
	s_mul_i32 s4, s4, s13
	s_mul_i32 s24, s24, s14
	s_add_i32 s4, s4, s8
	s_add_i32 s4, s4, s24
	s_mul_i32 s5, s13, s26
	s_add_i32 s4, s4, s25
	s_lshl_b32 s5, s5, 9
	s_lshl_b32 s4, s4, 8
	s_add_i32 s5, s5, s4
	v_or_b32_e32 v2, s5, v0
	v_ashrrev_i32_e32 v3, 31, v2
	v_lshlrev_b64 v[2:3], 2, v[2:3]
	v_mov_b32_e32 v1, s1
	v_add_co_u32_e32 v2, vcc, s0, v2
	v_addc_co_u32_e32 v3, vcc, v1, v3, vcc
	global_load_dword v5, v[2:3], off
	v_lshl_or_b32 v4, s21, 8, v0
	v_cvt_f32_u32_e32 v0, s9
	v_cvt_f32_ubyte0_e32 v1, 0
	s_lshl_b32 s0, s6, 3
	s_add_i32 s0, s21, s0
	v_mac_f32_e32 v0, 0x4f800000, v1
	v_rcp_f32_e32 v0, v0
	v_cvt_f32_u32_e32 v1, s9
	s_ashr_i32 s1, s0, 31
	s_lshl_b64 s[0:1], s[0:1], 3
	v_mul_f32_e32 v0, 0x5f7ffffc, v0
	v_rcp_iflag_f32_e32 v1, v1
	s_add_u32 s0, s2, s0
	v_mul_f32_e32 v9, 0x2f800000, v0
	s_addc_u32 s1, s3, s1
	v_trunc_f32_e32 v10, v9
	s_load_dwordx2 s[0:1], s[0:1], 0x0
	v_mac_f32_e32 v0, 0xcf800000, v10
	v_cvt_u32_f32_e32 v9, v0
	v_mul_f32_e32 v0, 0x4f7ffffe, v1
	v_cvt_u32_f32_e32 v10, v10
	v_cvt_u32_f32_e32 v11, v0
	s_add_i32 s8, s6, -1
	s_waitcnt lgkmcnt(0)
	v_mov_b32_e32 v6, s1
	v_mov_b32_e32 v7, s0
	;; [unrolled: 1-line block ×3, first 2 shown]
	s_mov_b32 s6, 0x3fb8aa3b
	s_mov_b32 s7, 0xc2ce8ed0
	;; [unrolled: 1-line block ×4, first 2 shown]
	v_mov_b32_e32 v12, 0x7f800000
	s_mul_hi_i32 s11, s8, s15
	s_cmp_lg_u64 s[10:11], 0
	s_mul_i32 s4, s8, s15
	s_cbranch_scc0 .LBB22_15
.LBB22_9:
	s_sub_u32 s0, 0, s9
	v_readfirstlane_b32 s5, v9
	v_readfirstlane_b32 s24, v10
	s_subb_u32 s1, 0, 0
	s_mul_hi_u32 s20, s0, s5
	s_mul_i32 s25, s0, s24
	s_mul_i32 s14, s1, s5
	s_add_i32 s20, s20, s25
	s_add_i32 s20, s20, s14
	s_mul_i32 s26, s0, s5
	s_mul_hi_u32 s14, s5, s20
	s_mul_i32 s25, s5, s20
	s_mul_hi_u32 s5, s5, s26
	s_add_u32 s5, s5, s25
	s_addc_u32 s14, 0, s14
	s_mul_hi_u32 s27, s24, s26
	s_mul_i32 s26, s24, s26
	s_add_u32 s5, s5, s26
	s_mul_hi_u32 s25, s24, s20
	s_addc_u32 s5, s14, s27
	s_addc_u32 s14, s25, 0
	s_mul_i32 s20, s24, s20
	s_add_u32 s5, s5, s20
	s_addc_u32 s14, 0, s14
	v_add_co_u32_e32 v0, vcc, s5, v9
	s_cmp_lg_u64 vcc, 0
	s_addc_u32 s5, s24, s14
	v_readfirstlane_b32 s20, v0
	s_mul_i32 s14, s0, s5
	s_mul_hi_u32 s24, s0, s20
	s_add_i32 s14, s24, s14
	s_mul_i32 s1, s1, s20
	s_add_i32 s14, s14, s1
	s_mul_i32 s0, s0, s20
	s_mul_hi_u32 s24, s5, s0
	s_mul_i32 s25, s5, s0
	s_mul_i32 s27, s20, s14
	s_mul_hi_u32 s0, s20, s0
	s_mul_hi_u32 s26, s20, s14
	s_add_u32 s0, s0, s27
	s_addc_u32 s20, 0, s26
	s_add_u32 s0, s0, s25
	s_mul_hi_u32 s1, s5, s14
	s_addc_u32 s0, s20, s24
	s_addc_u32 s1, s1, 0
	s_mul_i32 s14, s5, s14
	s_add_u32 s0, s0, s14
	s_addc_u32 s1, 0, s1
	v_add_co_u32_e32 v0, vcc, s0, v0
	s_cmp_lg_u64 vcc, 0
	s_addc_u32 s5, s5, s1
	s_ashr_i32 s0, s11, 31
	s_add_u32 s24, s4, s0
	s_mov_b32 s1, s0
	s_addc_u32 s25, s11, s0
	s_xor_b64 s[24:25], s[24:25], s[0:1]
	v_readfirstlane_b32 s14, v0
	s_mul_i32 s11, s24, s5
	s_mul_hi_u32 s20, s24, s14
	s_mul_hi_u32 s1, s24, s5
	s_add_u32 s11, s20, s11
	s_addc_u32 s1, 0, s1
	s_mul_hi_u32 s26, s25, s14
	s_mul_i32 s14, s25, s14
	s_add_u32 s11, s11, s14
	s_mul_hi_u32 s20, s25, s5
	s_addc_u32 s1, s1, s26
	s_addc_u32 s11, s20, 0
	s_mul_i32 s5, s25, s5
	s_add_u32 s1, s1, s5
	s_addc_u32 s5, 0, s11
	s_mul_i32 s5, s9, s5
	s_mul_hi_u32 s20, s9, s1
	s_add_i32 s20, s20, s5
	s_mul_i32 s5, s9, s1
	v_mov_b32_e32 v0, s5
	s_add_u32 s11, s1, 1
	s_add_u32 s14, s1, 2
	v_sub_co_u32_e32 v0, vcc, s24, v0
	s_cmp_lg_u64 vcc, 0
	s_subb_u32 s5, s25, s20
	v_subrev_co_u32_e32 v1, vcc, s9, v0
	s_cmp_lg_u64 vcc, 0
	s_subb_u32 s20, s5, 0
	v_cmp_le_u32_e32 vcc, s9, v1
	s_cmp_eq_u32 s20, 0
	v_cndmask_b32_e64 v1, 0, -1, vcc
	s_cselect_b64 vcc, -1, 0
	v_cndmask_b32_e32 v1, -1, v1, vcc
	v_mov_b32_e32 v13, s11
	v_mov_b32_e32 v14, s14
	v_cmp_ne_u32_e32 vcc, 0, v1
	v_cndmask_b32_e32 v1, v13, v14, vcc
	v_cmp_le_u32_e32 vcc, s9, v0
	s_cmp_eq_u32 s5, 0
	v_cndmask_b32_e64 v0, 0, -1, vcc
	s_cselect_b64 vcc, -1, 0
	v_cndmask_b32_e32 v0, -1, v0, vcc
	v_mov_b32_e32 v13, s1
	v_cmp_ne_u32_e32 vcc, 0, v0
	v_cndmask_b32_e32 v0, v13, v1, vcc
	v_xor_b32_e32 v0, s0, v0
	v_subrev_co_u32_e32 v0, vcc, s0, v0
	s_cbranch_execnz .LBB22_11
.LBB22_10:
	s_sub_i32 s0, 0, s9
	v_mul_lo_u32 v0, s0, v11
	v_mul_hi_u32 v0, v11, v0
	v_add_u32_e32 v0, v11, v0
	v_mul_hi_u32 v0, s4, v0
	v_mul_lo_u32 v13, v0, s9
	v_sub_u32_e32 v13, s4, v13
	v_add_u32_e32 v1, 1, v0
	v_subrev_u32_e32 v14, s9, v13
	v_cmp_le_u32_e32 vcc, s9, v13
	v_cndmask_b32_e32 v13, v13, v14, vcc
	v_cndmask_b32_e32 v0, v0, v1, vcc
	v_add_u32_e32 v1, 1, v0
	v_cmp_le_u32_e32 vcc, s9, v13
	v_cndmask_b32_e32 v0, v0, v1, vcc
.LBB22_11:
	v_cmp_ne_u32_e32 vcc, v8, v0
	s_cbranch_vccz .LBB22_14
; %bb.12:
	s_add_i32 s0, s8, s9
	s_lshl_b32 s0, s0, 3
	v_mul_hi_u32 v1, v0, s16
	s_add_i32 s0, s0, s21
	s_mov_b32 s1, s10
	v_add_u32_e32 v1, v1, v0
	s_lshl_b64 s[0:1], s[0:1], 3
	v_lshrrev_b32_e32 v1, s17, v1
	s_add_u32 s4, s2, s0
	v_mul_lo_u32 v13, v1, s18
	s_addc_u32 s5, s3, s1
	v_cmp_eq_u32_e32 vcc, v13, v0
	v_cmp_gt_u32_e64 s[0:1], s19, v1
	s_or_b64 s[0:1], s[0:1], vcc
	s_and_b64 vcc, exec, s[0:1]
	s_cbranch_vccnz .LBB22_16
; %bb.13:
	s_add_i32 s11, s8, -1
	s_mov_b64 s[0:1], 0
	s_branch .LBB22_17
.LBB22_14:
                                        ; implicit-def: $sgpr0_sgpr1
                                        ; implicit-def: $vgpr14
                                        ; implicit-def: $vgpr1
                                        ; implicit-def: $vgpr13
                                        ; implicit-def: $sgpr11
                                        ; implicit-def: $vgpr0
	s_branch .LBB22_18
.LBB22_15:
                                        ; implicit-def: $vgpr0_vgpr1
	s_branch .LBB22_10
.LBB22_16:
	s_mov_b64 s[0:1], -1
	s_mov_b32 s11, s8
	v_mov_b32_e32 v0, v8
.LBB22_17:
	v_lshl_add_u32 v14, s8, 11, v4
	v_ashrrev_i32_e32 v15, 31, v14
	v_lshlrev_b64 v[14:15], 2, v[14:15]
	v_mov_b32_e32 v1, s23
	v_add_co_u32_e32 v14, vcc, s22, v14
	v_addc_co_u32_e32 v15, vcc, v1, v15, vcc
	global_load_dword v14, v[14:15], off
	s_load_dwordx2 s[4:5], s[4:5], 0x0
	v_max_f32_e32 v1, v7, v7
	s_waitcnt lgkmcnt(0)
	v_max_f32_e64 v13, s4, s4
	v_max_f32_e32 v1, v1, v13
	v_sub_f32_e32 v13, v7, v1
	v_sub_f32_e32 v15, s4, v1
	v_mul_f32_e32 v16, 0x3fb8aa3b, v13
	v_mul_f32_e32 v17, 0x3fb8aa3b, v15
	v_fma_f32 v18, v13, s6, -v16
	v_rndne_f32_e32 v19, v16
	v_fma_f32 v20, v15, s6, -v17
	v_rndne_f32_e32 v21, v17
	v_fmac_f32_e32 v18, 0x32a5705f, v13
	v_sub_f32_e32 v16, v16, v19
	v_fmac_f32_e32 v20, 0x32a5705f, v15
	v_sub_f32_e32 v17, v17, v21
	v_add_f32_e32 v16, v16, v18
	v_cvt_i32_f32_e32 v19, v19
	v_add_f32_e32 v17, v17, v20
	v_exp_f32_e32 v16, v16
	v_cvt_i32_f32_e32 v21, v21
	v_exp_f32_e32 v17, v17
	v_cmp_ngt_f32_e32 vcc, s7, v13
	v_ldexp_f32 v16, v16, v19
	v_cndmask_b32_e32 v16, 0, v16, vcc
	v_ldexp_f32 v17, v17, v21
	v_cmp_ngt_f32_e32 vcc, s7, v15
	v_cndmask_b32_e32 v17, 0, v17, vcc
	v_cmp_nlt_f32_e32 vcc, s12, v13
	v_cndmask_b32_e32 v16, v12, v16, vcc
	v_cmp_nlt_f32_e32 vcc, s12, v15
	v_cndmask_b32_e32 v17, v12, v17, vcc
	v_cmp_le_f32_e32 vcc, s13, v13
	v_cndmask_b32_e32 v16, 0, v16, vcc
	v_cmp_le_f32_e32 vcc, s13, v15
	v_cndmask_b32_e32 v15, 0, v17, vcc
	v_mul_f32_e32 v13, s5, v15
	v_fmac_f32_e32 v13, v6, v16
	s_waitcnt vmcnt(0)
	v_mul_f32_e32 v14, v14, v15
	v_fmac_f32_e32 v14, v5, v16
	s_cbranch_execnz .LBB22_19
.LBB22_18:
	s_add_i32 s11, s8, -1
	s_mov_b64 s[0:1], 0
	v_mov_b32_e32 v0, v8
	v_mov_b32_e32 v13, v6
	;; [unrolled: 1-line block ×3, first 2 shown]
	s_waitcnt vmcnt(0)
	v_mov_b32_e32 v14, v5
.LBB22_19:
	s_andn2_b64 vcc, exec, s[0:1]
	s_cbranch_vccz .LBB22_23
; %bb.20:
	v_mov_b32_e32 v8, v0
	s_mov_b32 s8, s11
	v_mov_b32_e32 v6, v13
	v_mov_b32_e32 v7, v1
	s_waitcnt vmcnt(0)
	v_mov_b32_e32 v5, v14
	s_mul_hi_i32 s11, s8, s15
	s_cmp_lg_u64 s[10:11], 0
	s_mul_i32 s4, s8, s15
	s_cbranch_scc1 .LBB22_9
	s_branch .LBB22_15
.LBB22_21:
                                        ; implicit-def: $sgpr20_sgpr21
	s_load_dwordx4 s[16:19], s[4:5], 0x44
	s_branch .LBB22_2
.LBB22_22:
                                        ; implicit-def: $vgpr2_vgpr3
	s_branch .LBB22_5
.LBB22_23:
	v_div_scale_f32 v0, s[0:1], v13, v13, v14
	v_rcp_f32_e32 v1, v0
	v_div_scale_f32 v4, vcc, v14, v13, v14
	s_waitcnt vmcnt(0)
	v_fma_f32 v5, -v0, v1, 1.0
	v_fmac_f32_e32 v1, v5, v1
	v_mul_f32_e32 v5, v4, v1
	v_fma_f32 v6, -v0, v5, v4
	v_fmac_f32_e32 v5, v6, v1
	v_fma_f32 v0, -v0, v5, v4
	v_div_fmas_f32 v0, v0, v1, v5
	v_div_fixup_f32 v0, v0, v13, v14
	global_store_dword v[2:3], v0, off
.LBB22_24:
	s_endpgm
	.section	.rodata,"a",@progbits
	.p2align	6, 0x0
	.amdhsa_kernel _ZL33flash_attn_stream_k_fixup_generalILi256ELi2ELi4EEvPfPK15HIP_vector_typeIfLj2EEiiiiS1_IjLj3EES5_S5_S5_
		.amdhsa_group_segment_fixed_size 0
		.amdhsa_private_segment_fixed_size 0
		.amdhsa_kernarg_size 336
		.amdhsa_user_sgpr_count 6
		.amdhsa_user_sgpr_private_segment_buffer 1
		.amdhsa_user_sgpr_dispatch_ptr 0
		.amdhsa_user_sgpr_queue_ptr 0
		.amdhsa_user_sgpr_kernarg_segment_ptr 1
		.amdhsa_user_sgpr_dispatch_id 0
		.amdhsa_user_sgpr_flat_scratch_init 0
		.amdhsa_user_sgpr_kernarg_preload_length 0
		.amdhsa_user_sgpr_kernarg_preload_offset 0
		.amdhsa_user_sgpr_private_segment_size 0
		.amdhsa_uses_dynamic_stack 0
		.amdhsa_system_sgpr_private_segment_wavefront_offset 0
		.amdhsa_system_sgpr_workgroup_id_x 1
		.amdhsa_system_sgpr_workgroup_id_y 1
		.amdhsa_system_sgpr_workgroup_id_z 1
		.amdhsa_system_sgpr_workgroup_info 0
		.amdhsa_system_vgpr_workitem_id 0
		.amdhsa_next_free_vgpr 22
		.amdhsa_next_free_sgpr 32
		.amdhsa_accum_offset 24
		.amdhsa_reserve_vcc 1
		.amdhsa_reserve_flat_scratch 0
		.amdhsa_float_round_mode_32 0
		.amdhsa_float_round_mode_16_64 0
		.amdhsa_float_denorm_mode_32 3
		.amdhsa_float_denorm_mode_16_64 3
		.amdhsa_dx10_clamp 1
		.amdhsa_ieee_mode 1
		.amdhsa_fp16_overflow 0
		.amdhsa_tg_split 0
		.amdhsa_exception_fp_ieee_invalid_op 0
		.amdhsa_exception_fp_denorm_src 0
		.amdhsa_exception_fp_ieee_div_zero 0
		.amdhsa_exception_fp_ieee_overflow 0
		.amdhsa_exception_fp_ieee_underflow 0
		.amdhsa_exception_fp_ieee_inexact 0
		.amdhsa_exception_int_div_zero 0
	.end_amdhsa_kernel
	.section	.text._ZL33flash_attn_stream_k_fixup_generalILi256ELi2ELi4EEvPfPK15HIP_vector_typeIfLj2EEiiiiS1_IjLj3EES5_S5_S5_,"axG",@progbits,_ZL33flash_attn_stream_k_fixup_generalILi256ELi2ELi4EEvPfPK15HIP_vector_typeIfLj2EEiiiiS1_IjLj3EES5_S5_S5_,comdat
.Lfunc_end22:
	.size	_ZL33flash_attn_stream_k_fixup_generalILi256ELi2ELi4EEvPfPK15HIP_vector_typeIfLj2EEiiiiS1_IjLj3EES5_S5_S5_, .Lfunc_end22-_ZL33flash_attn_stream_k_fixup_generalILi256ELi2ELi4EEvPfPK15HIP_vector_typeIfLj2EEiiiiS1_IjLj3EES5_S5_S5_
                                        ; -- End function
	.section	.AMDGPU.csdata,"",@progbits
; Kernel info:
; codeLenInByte = 2824
; NumSgprs: 36
; NumVgprs: 22
; NumAgprs: 0
; TotalNumVgprs: 22
; ScratchSize: 0
; MemoryBound: 0
; FloatMode: 240
; IeeeMode: 1
; LDSByteSize: 0 bytes/workgroup (compile time only)
; SGPRBlocks: 4
; VGPRBlocks: 2
; NumSGPRsForWavesPerEU: 36
; NumVGPRsForWavesPerEU: 22
; AccumOffset: 24
; Occupancy: 8
; WaveLimiterHint : 0
; COMPUTE_PGM_RSRC2:SCRATCH_EN: 0
; COMPUTE_PGM_RSRC2:USER_SGPR: 6
; COMPUTE_PGM_RSRC2:TRAP_HANDLER: 0
; COMPUTE_PGM_RSRC2:TGID_X_EN: 1
; COMPUTE_PGM_RSRC2:TGID_Y_EN: 1
; COMPUTE_PGM_RSRC2:TGID_Z_EN: 1
; COMPUTE_PGM_RSRC2:TIDIG_COMP_CNT: 0
; COMPUTE_PGM_RSRC3_GFX90A:ACCUM_OFFSET: 5
; COMPUTE_PGM_RSRC3_GFX90A:TG_SPLIT: 0
	.section	.text._ZL15flash_attn_tileILi256ELi256ELi1ELi4ELb0EEvPKcS1_S1_S1_S1_PKiPfP15HIP_vector_typeIfLj2EEffffjfiS5_IjLj3EEiiiiiiiiiiiliiliiiiil,"axG",@progbits,_ZL15flash_attn_tileILi256ELi256ELi1ELi4ELb0EEvPKcS1_S1_S1_S1_PKiPfP15HIP_vector_typeIfLj2EEffffjfiS5_IjLj3EEiiiiiiiiiiiliiliiiiil,comdat
	.globl	_ZL15flash_attn_tileILi256ELi256ELi1ELi4ELb0EEvPKcS1_S1_S1_S1_PKiPfP15HIP_vector_typeIfLj2EEffffjfiS5_IjLj3EEiiiiiiiiiiiliiliiiiil ; -- Begin function _ZL15flash_attn_tileILi256ELi256ELi1ELi4ELb0EEvPKcS1_S1_S1_S1_PKiPfP15HIP_vector_typeIfLj2EEffffjfiS5_IjLj3EEiiiiiiiiiiiliiliiiiil
	.p2align	8
	.type	_ZL15flash_attn_tileILi256ELi256ELi1ELi4ELb0EEvPKcS1_S1_S1_S1_PKiPfP15HIP_vector_typeIfLj2EEffffjfiS5_IjLj3EEiiiiiiiiiiiliiliiiiil,@function
_ZL15flash_attn_tileILi256ELi256ELi1ELi4ELb0EEvPKcS1_S1_S1_S1_PKiPfP15HIP_vector_typeIfLj2EEffffjfiS5_IjLj3EEiiiiiiiiiiiliiliiiiil: ; @_ZL15flash_attn_tileILi256ELi256ELi1ELi4ELb0EEvPKcS1_S1_S1_S1_PKiPfP15HIP_vector_typeIfLj2EEffffjfiS5_IjLj3EEiiiiiiiiiiiliiliiiiil
; %bb.0:
	s_load_dwordx4 s[0:3], s[4:5], 0x5c
	s_load_dwordx2 s[24:25], s[4:5], 0x80
	s_load_dwordx2 s[28:29], s[4:5], 0xb8
	s_mov_b64 s[26:27], 0
	s_waitcnt lgkmcnt(0)
	s_ashr_i32 s9, s3, 31
	s_lshr_b32 s9, s9, 30
	s_add_i32 s9, s3, s9
	s_ashr_i32 s9, s9, 2
	v_cvt_f32_u32_e32 v1, s9
	s_sub_i32 s10, 0, s9
	v_rcp_iflag_f32_e32 v1, v1
	v_mul_f32_e32 v1, 0x4f7ffffe, v1
	v_cvt_u32_f32_e32 v1, v1
	v_readfirstlane_b32 s11, v1
	s_mul_i32 s10, s10, s11
	s_mul_hi_u32 s10, s11, s10
	s_add_i32 s11, s11, s10
	s_mul_hi_u32 s10, s8, s11
	s_mul_i32 s11, s10, s9
	s_sub_i32 s11, s8, s11
	s_add_i32 s12, s10, 1
	s_sub_i32 s13, s11, s9
	s_cmp_ge_u32 s11, s9
	s_cselect_b32 s10, s12, s10
	s_cselect_b32 s11, s13, s11
	s_add_i32 s12, s10, 1
	s_cmp_ge_u32 s11, s9
	s_cselect_b32 s30, s12, s10
	s_abs_i32 s9, s25
	v_cvt_f32_u32_e32 v1, s9
	s_lshl_b32 s8, s8, 2
	s_mul_i32 s12, s30, s3
	s_xor_b32 s10, s3, s25
	v_rcp_iflag_f32_e32 v1, v1
	s_sub_i32 s13, 0, s9
	s_sub_i32 s25, s8, s12
	s_abs_i32 s11, s3
	v_mul_f32_e32 v1, 0x4f7ffffe, v1
	v_cvt_u32_f32_e32 v1, v1
	s_ashr_i32 s10, s10, 31
	v_readfirstlane_b32 s8, v1
	s_mul_i32 s13, s13, s8
	s_mul_hi_u32 s12, s8, s13
	s_add_i32 s8, s8, s12
	s_mul_hi_u32 s8, s11, s8
	s_mul_i32 s12, s8, s9
	s_sub_i32 s11, s11, s12
	s_add_i32 s13, s8, 1
	s_sub_i32 s12, s11, s9
	s_cmp_ge_u32 s11, s9
	s_cselect_b32 s8, s13, s8
	s_cselect_b32 s11, s12, s11
	s_add_i32 s12, s8, 1
	s_cmp_ge_u32 s11, s9
	s_cselect_b32 s8, s12, s8
	s_xor_b32 s8, s8, s10
	s_sub_i32 s33, s8, s10
	s_abs_i32 s31, s33
	v_cvt_f32_u32_e32 v1, s31
	s_load_dwordx16 s[8:23], s[4:5], 0x0
	v_rcp_iflag_f32_e32 v1, v1
	s_waitcnt lgkmcnt(0)
	s_cmp_eq_u64 s[14:15], 0
	v_mul_f32_e32 v1, 0x4f7ffffe, v1
	v_cvt_u32_f32_e32 v1, v1
	v_readfirstlane_b32 s34, v1
	s_cbranch_scc1 .LBB23_2
; %bb.1:
	s_abs_i32 s28, s28
	v_cvt_f32_u32_e32 v1, s28
	s_sub_i32 s37, 0, s28
	s_abs_i32 s36, s30
	s_ashr_i32 s35, s30, 31
	v_rcp_iflag_f32_e32 v1, v1
	s_load_dwordx2 s[26:27], s[4:5], 0xc8
	v_mul_f32_e32 v1, 0x4f7ffffe, v1
	v_cvt_u32_f32_e32 v1, v1
	v_readfirstlane_b32 s38, v1
	s_mul_i32 s37, s37, s38
	s_mul_hi_u32 s37, s38, s37
	s_add_i32 s38, s38, s37
	s_mul_hi_u32 s37, s36, s38
	s_mul_i32 s37, s37, s28
	s_sub_i32 s36, s36, s37
	s_sub_i32 s37, s36, s28
	s_cmp_ge_u32 s36, s28
	s_cselect_b32 s36, s37, s36
	s_sub_i32 s37, s36, s28
	s_cmp_ge_u32 s36, s28
	s_cselect_b32 s28, s37, s36
	s_xor_b32 s28, s28, s35
	s_sub_i32 s28, s28, s35
	s_ashr_i32 s35, s28, 31
	s_waitcnt lgkmcnt(0)
	s_mul_i32 s27, s28, s27
	s_mul_hi_u32 s36, s28, s26
	s_add_i32 s27, s36, s27
	s_mul_i32 s35, s35, s26
	s_add_i32 s27, s27, s35
	s_mul_i32 s28, s28, s26
	s_add_u32 s26, s14, s28
	s_addc_u32 s27, s15, s27
.LBB23_2:
	s_load_dwordx4 s[36:39], s[4:5], 0x70
	v_bfe_u32 v34, v0, 10, 10
	v_lshrrev_b32_e32 v1, 3, v34
	v_add_u32_e32 v31, s6, v1
	v_bfe_u32 v33, v34, 1, 2
	s_waitcnt lgkmcnt(0)
	s_mul_i32 s14, s30, s38
	s_ashr_i32 s28, s14, 31
	s_mul_i32 s15, s25, s37
	s_add_u32 s8, s8, s14
	s_addc_u32 s9, s9, s28
	s_ashr_i32 s14, s15, 31
	s_add_u32 s15, s8, s15
	s_addc_u32 s14, s9, s14
	s_ashr_i32 s28, s37, 31
	v_mov_b32_e32 v2, s37
	v_alignbit_b32 v2, s28, v2, 2
	v_mul_hi_u32 v1, s0, v31
	v_mad_u64_u32 v[2:3], s[8:9], v2, v33, 0
	v_add_u32_e32 v1, v31, v1
	v_mov_b32_e32 v4, v3
	s_lshr_b32 s8, s28, 2
	v_lshrrev_b32_e32 v1, s1, v1
	v_mad_u64_u32 v[4:5], s[8:9], s8, v33, v[4:5]
	v_mul_lo_u32 v1, v1, s2
	v_mov_b32_e32 v3, v4
	v_sub_u32_e32 v4, v31, v1
	s_ashr_i32 s8, s36, 31
	v_mov_b32_e32 v1, s36
	v_alignbit_b32 v1, s8, v1, 2
	v_mad_u64_u32 v[6:7], s[0:1], v1, v4, 0
	v_mov_b32_e32 v8, v7
	s_lshr_b32 s0, s8, 2
	v_mad_u64_u32 v[8:9], s[0:1], s0, v4, v[8:9]
	v_and_b32_e32 v30, 0x3ff, v0
	v_lshlrev_b64 v[0:1], 2, v[2:3]
	v_mov_b32_e32 v7, v8
	v_mov_b32_e32 v2, s14
	v_add_co_u32_e32 v3, vcc, s15, v0
	v_addc_co_u32_e32 v2, vcc, v2, v1, vcc
	v_lshlrev_b64 v[0:1], 2, v[6:7]
	v_add_co_u32_e32 v0, vcc, v3, v0
	v_addc_co_u32_e32 v1, vcc, v2, v1, vcc
	v_lshlrev_b32_e32 v2, 9, v34
	v_and_b32_e32 v2, 0x200, v2
	v_add_co_u32_e32 v0, vcc, v0, v2
	v_addc_co_u32_e32 v1, vcc, 0, v1, vcc
	v_lshlrev_b32_e32 v2, 4, v30
	v_add_co_u32_e32 v0, vcc, v0, v2
	v_addc_co_u32_e32 v1, vcc, 0, v1, vcc
	global_load_dwordx4 v[0:3], v[0:1], off
	s_load_dword s0, s[4:5], 0x40
	s_mov_b32 s1, 0
	v_lshlrev_b32_e32 v6, 6, v34
	v_lshrrev_b32_e32 v5, 1, v34
	v_and_b32_e32 v7, 64, v6
	v_lshlrev_b32_e32 v5, 7, v5
	v_lshl_add_u32 v7, v30, 1, v7
	s_cmp_eq_u64 s[18:19], 0
	s_waitcnt vmcnt(0) lgkmcnt(0)
	v_pk_mul_f32 v[0:1], v[0:1], s[0:1] op_sel_hi:[1,0]
	v_pk_mul_f32 v[2:3], v[2:3], s[0:1] op_sel_hi:[1,0]
	v_cvt_f16_f32_e32 v8, v1
	v_cvt_f16_f32_e32 v1, v3
	;; [unrolled: 1-line block ×4, first 2 shown]
	v_add_lshl_u32 v3, v7, v5, 2
	v_pack_b32_f16 v1, v2, v1
	v_pack_b32_f16 v0, v0, v8
	ds_write_b64 v3, v[0:1] offset:17408
	s_waitcnt lgkmcnt(0)
	s_barrier
	s_cbranch_scc1 .LBB23_4
; %bb.3:
	s_load_dword s0, s[4:5], 0xd0
	s_waitcnt lgkmcnt(0)
	s_mul_i32 s0, s0, s30
	s_add_i32 s0, s0, s6
	s_lshl_b64 s[0:1], s[0:1], 2
	s_add_u32 s0, s18, s0
	s_addc_u32 s1, s19, s1
	s_load_dword s24, s[0:1], 0x0
.LBB23_4:
	s_lshl_b32 s6, s7, 6
	v_lshlrev_b32_e32 v32, 2, v30
	s_waitcnt lgkmcnt(0)
	s_cmp_lt_i32 s6, s24
	v_mbcnt_lo_u32_b32 v14, -1, 0
	v_and_b32_e32 v36, 1, v34
	s_cbranch_scc1 .LBB23_6
; %bb.5:
	v_mbcnt_hi_u32_b32 v5, -1, v14
	v_and_b32_e32 v0, 0x60, v5
	s_mov_b32 s8, 0
	v_add_u32_e32 v37, 32, v0
	v_xor_b32_e32 v42, 16, v5
	v_xor_b32_e32 v41, 8, v5
	;; [unrolled: 1-line block ×5, first 2 shown]
	v_and_b32_e32 v7, 1, v34
	s_mov_b64 s[0:1], 0
	s_mov_b32 s9, 0xfeffffff
	s_branch .LBB23_7
.LBB23_6:
	s_mov_b64 s[0:1], -1
                                        ; implicit-def: $sgpr9
                                        ; implicit-def: $sgpr8
                                        ; implicit-def: $vgpr5
                                        ; implicit-def: $vgpr37
                                        ; implicit-def: $vgpr42
                                        ; implicit-def: $vgpr41
                                        ; implicit-def: $vgpr40
                                        ; implicit-def: $vgpr39
                                        ; implicit-def: $vgpr38
                                        ; implicit-def: $vgpr7
.LBB23_7:
	s_andn2_b64 vcc, exec, s[0:1]
	v_mov_b32_e32 v22, s9
	v_mov_b32_e32 v59, s8
	;; [unrolled: 1-line block ×3, first 2 shown]
	v_cmp_eq_u32_e64 s[0:1], 0, v30
	v_lshlrev_b32_e32 v35, 2, v32
	v_mov_b32_e32 v2, s8
	v_mov_b32_e32 v1, s8
	;; [unrolled: 1-line block ×3, first 2 shown]
	s_cbranch_vccnz .LBB23_14
; %bb.8:
	s_sub_i32 s8, 0, s31
	s_mul_i32 s8, s8, s34
	s_mul_hi_u32 s8, s34, s8
	s_add_i32 s34, s34, s8
	s_load_dwordx2 s[8:9], s[4:5], 0x8c
	s_load_dwordx4 s[36:39], s[4:5], 0x98
	s_abs_i32 s18, s25
	s_ashr_i32 s28, s25, 31
	s_ashr_i32 s33, s33, 31
	s_waitcnt lgkmcnt(0)
	s_ashr_i32 s15, s8, 2
	s_ashr_i32 s14, s38, 2
	;; [unrolled: 1-line block ×3, first 2 shown]
	s_mul_i32 s37, s30, s37
	s_mul_hi_u32 s38, s30, s36
	s_add_i32 s37, s38, s37
	s_mul_i32 s38, s8, s36
	s_ashr_i32 s29, s29, 1
	s_add_i32 s37, s37, s38
	s_mul_i32 s36, s30, s36
	s_mul_hi_u32 s19, s18, s34
	s_add_u32 s10, s10, s36
	s_addc_u32 s11, s11, s37
	s_xor_b32 s28, s28, s33
	s_mul_i32 s33, s19, s31
	s_sub_i32 s18, s18, s33
	s_add_i32 s33, s19, 1
	s_sub_i32 s36, s18, s31
	s_cmp_ge_u32 s18, s31
	s_cselect_b32 s19, s33, s19
	s_cselect_b32 s18, s36, s18
	s_add_i32 s33, s19, 1
	s_cmp_ge_u32 s18, s31
	s_load_dwordx2 s[34:35], s[4:5], 0xa8
	s_cselect_b32 s18, s33, s19
	s_xor_b32 s18, s18, s28
	s_sub_i32 s28, s18, s28
	s_mul_i32 s9, s28, s9
	s_ashr_i32 s19, s9, 31
	s_add_u32 s18, s10, s9
	s_waitcnt lgkmcnt(0)
	s_mul_i32 s9, s30, s35
	s_mul_hi_u32 s10, s30, s34
	s_addc_u32 s19, s11, s19
	s_add_i32 s9, s10, s9
	s_mul_i32 s8, s8, s34
	s_add_i32 s9, s9, s8
	s_mul_i32 s8, s30, s34
	s_add_u32 s8, s12, s8
	s_mul_i32 s28, s28, s39
	s_addc_u32 s9, s13, s9
	s_ashr_i32 s10, s28, 31
	v_lshrrev_b32_e32 v0, 4, v30
	v_and_b32_e32 v2, 60, v32
	s_add_u32 s12, s8, s28
	v_lshl_add_u32 v1, v34, 1, v0
	v_lshlrev_b32_e32 v3, 2, v2
	s_movk_i32 s8, 0x110
	s_addc_u32 s13, s9, s10
	v_mad_u32_u24 v43, v1, s8, v3
	v_mul_lo_u32 v8, s15, v1
	s_lshl_b32 s8, s15, 4
	v_lshlrev_b32_e32 v1, 5, v34
	v_add_u32_e32 v10, s8, v8
	v_and_b32_e32 v1, 32, v1
	v_add_u32_e32 v12, s8, v10
	v_add_u32_e32 v18, v1, v30
	;; [unrolled: 1-line block ×3, first 2 shown]
	v_and_b32_e32 v1, 0xff80, v6
	v_mov_b32_e32 v3, 0x4400
	v_mad_u64_u32 v[4:5], s[8:9], v4, s29, v[18:19]
	v_lshl_add_u32 v48, v1, 2, v3
	v_and_b32_e32 v5, 1, v30
	s_movk_i32 s8, 0x3fe
	v_add_u32_e32 v1, 0x4c00, v1
	v_mul_u32_u24_e32 v47, 0x110, v18
	v_and_or_b32 v5, v34, s8, v5
	v_lshl_add_u32 v51, v18, 1, v1
	v_mul_lo_u32 v18, s14, v34
	s_lshl_b32 s8, s14, 3
	v_add_u32_e32 v20, s8, v18
	v_mov_b32_e32 v3, 0x4e00
	v_add_u32_e32 v22, s8, v20
	v_lshl_add_u32 v50, v5, 2, v3
	v_add_u32_e32 v24, s8, v22
	v_lshlrev_b32_e32 v57, 9, v36
	v_mbcnt_hi_u32_b32 v5, -1, v14
	v_mov_b32_e32 v0, 0
	v_ashrrev_i32_e32 v9, 31, v8
	v_ashrrev_i32_e32 v11, 31, v10
	;; [unrolled: 1-line block ×4, first 2 shown]
	v_lshl_add_u32 v49, v34, 2, v3
	v_lshl_add_u32 v52, v34, 9, v35
	v_ashrrev_i32_e32 v19, 31, v18
	v_ashrrev_i32_e32 v21, 31, v20
	;; [unrolled: 1-line block ×4, first 2 shown]
	v_lshlrev_b32_e32 v56, 3, v30
	v_lshl_or_b32 v58, v36, 1, v1
	v_or_b32_e32 v1, 0x400, v57
	v_or_b32_e32 v3, 0x800, v57
	;; [unrolled: 1-line block ×15, first 2 shown]
	s_add_u32 s8, s4, 0xd0
	v_lshlrev_b32_e32 v60, 2, v2
	v_and_b32_e32 v2, 0x60, v5
	v_add_u32_e32 v44, 0x1100, v43
	v_add_u32_e32 v45, 0x2200, v43
	;; [unrolled: 1-line block ×6, first 2 shown]
	s_addc_u32 s9, s5, 0
	v_mov_b32_e32 v78, 0xfeffffff
	v_lshlrev_b64 v[6:7], 2, v[8:9]
	v_lshlrev_b64 v[8:9], 2, v[10:11]
	;; [unrolled: 1-line block ×4, first 2 shown]
	v_mov_b32_e32 v61, s27
	v_add_u32_e32 v37, 32, v2
	v_xor_b32_e32 v42, 16, v5
	v_xor_b32_e32 v41, 8, v5
	;; [unrolled: 1-line block ×5, first 2 shown]
	s_mov_b32 s27, 0x3fb8aa3b
	s_mov_b32 s28, 0xc2ce8ed0
	;; [unrolled: 1-line block ×3, first 2 shown]
	v_lshlrev_b64 v[14:15], 2, v[18:19]
	v_lshlrev_b64 v[16:17], 2, v[20:21]
	;; [unrolled: 1-line block ×4, first 2 shown]
	v_add_u32_e32 v62, v56, v1
	v_add_u32_e32 v63, v56, v3
	v_add_u32_e32 v64, v56, v26
	v_add_u32_e32 v65, v56, v27
	v_add_u32_e32 v66, v56, v28
	v_add_u32_e32 v67, v56, v29
	v_add_u32_e32 v68, v56, v59
	v_add_u32_e32 v69, v56, v69
	v_add_u32_e32 v70, v56, v70
	v_add_u32_e32 v71, v56, v71
	v_add_u32_e32 v72, v56, v72
	v_add_u32_e32 v73, v56, v73
	v_add_u32_e32 v74, v56, v74
	v_add_u32_e32 v75, v56, v75
	v_add_u32_e32 v76, v56, v76
	v_mov_b32_e32 v77, 0x7f800000
	v_mov_b32_e32 v1, v0
	;; [unrolled: 1-line block ×5, first 2 shown]
.LBB23_9:                               ; =>This Inner Loop Header: Depth=1
	s_mul_hi_i32 s11, s6, s15
	s_mul_i32 s10, s6, s15
	s_lshl_b64 s[10:11], s[10:11], 2
	s_add_u32 s10, s18, s10
	s_addc_u32 s11, s19, s11
	v_mov_b32_e32 v22, s11
	v_add_co_u32_e32 v23, vcc, s10, v6
	v_addc_co_u32_e32 v24, vcc, v22, v7, vcc
	v_add_co_u32_e32 v22, vcc, v23, v60
	v_addc_co_u32_e32 v23, vcc, 0, v24, vcc
	v_mov_b32_e32 v24, s11
	v_add_co_u32_e32 v25, vcc, s10, v8
	v_addc_co_u32_e32 v26, vcc, v24, v9, vcc
	v_add_co_u32_e32 v24, vcc, v25, v60
	v_addc_co_u32_e32 v25, vcc, 0, v26, vcc
	;; [unrolled: 5-line block ×3, first 2 shown]
	v_mov_b32_e32 v28, s11
	v_add_co_u32_e32 v29, vcc, s10, v12
	v_addc_co_u32_e32 v79, vcc, v28, v13, vcc
	v_add_co_u32_e32 v28, vcc, v29, v60
	global_load_dwordx4 v[80:83], v[22:23], off
	global_load_dwordx4 v[84:87], v[24:25], off
	v_addc_co_u32_e32 v29, vcc, 0, v79, vcc
	global_load_dwordx4 v[88:91], v[26:27], off
	global_load_dwordx4 v[92:95], v[28:29], off
	v_mov_b32_e32 v79, 0
	s_waitcnt vmcnt(3)
	ds_write_b128 v43, v[80:83]
	s_waitcnt vmcnt(2)
	ds_write_b128 v44, v[84:87]
	;; [unrolled: 2-line block ×4, first 2 shown]
	s_waitcnt lgkmcnt(0)
	s_barrier
	ds_read_b128 v[80:83], v47
	ds_read_b128 v[84:87], v48
	s_waitcnt lgkmcnt(0)
	;;#ASMSTART
	v_dot2_f32_f16 v79, v80, v84, v79
	;;#ASMEND
	;;#ASMSTART
	v_dot2_f32_f16 v79, v81, v85, v79
	;;#ASMEND
	;;#ASMSTART
	v_dot2_f32_f16 v79, v82, v86, v79
	;;#ASMEND
	;;#ASMSTART
	v_dot2_f32_f16 v79, v83, v87, v79
	;;#ASMEND
	ds_read_b128 v[80:83], v47 offset:16
	ds_read_b128 v[84:87], v48 offset:16
	s_waitcnt lgkmcnt(0)
	;;#ASMSTART
	v_dot2_f32_f16 v79, v80, v84, v79
	;;#ASMEND
	;;#ASMSTART
	v_dot2_f32_f16 v79, v81, v85, v79
	;;#ASMEND
	;;#ASMSTART
	v_dot2_f32_f16 v79, v82, v86, v79
	;;#ASMEND
	;;#ASMSTART
	v_dot2_f32_f16 v79, v83, v87, v79
	;;#ASMEND
	ds_read_b128 v[80:83], v47 offset:32
	ds_read_b128 v[84:87], v48 offset:32
	;; [unrolled: 15-line block ×15, first 2 shown]
	s_waitcnt lgkmcnt(0)
	;;#ASMSTART
	v_dot2_f32_f16 v79, v80, v84, v79
	;;#ASMEND
	;;#ASMSTART
	v_dot2_f32_f16 v79, v81, v85, v79
	;;#ASMEND
	;; [unrolled: 3-line block ×4, first 2 shown]
	s_barrier
	global_load_dwordx4 v[80:83], v[22:23], off offset:256
	global_load_dwordx4 v[84:87], v[24:25], off offset:256
	;; [unrolled: 1-line block ×4, first 2 shown]
	s_waitcnt vmcnt(3)
	ds_write_b128 v43, v[80:83]
	s_waitcnt vmcnt(2)
	ds_write_b128 v44, v[84:87]
	;; [unrolled: 2-line block ×4, first 2 shown]
	s_waitcnt lgkmcnt(0)
	s_barrier
	ds_read_b128 v[22:25], v47
	ds_read_b128 v[26:29], v48 offset:256
	s_waitcnt lgkmcnt(0)
	;;#ASMSTART
	v_dot2_f32_f16 v79, v22, v26, v79
	;;#ASMEND
	;;#ASMSTART
	v_dot2_f32_f16 v79, v23, v27, v79
	;;#ASMEND
	;;#ASMSTART
	v_dot2_f32_f16 v79, v24, v28, v79
	;;#ASMEND
	;;#ASMSTART
	v_dot2_f32_f16 v79, v25, v29, v79
	;;#ASMEND
	ds_read_b128 v[22:25], v47 offset:16
	ds_read_b128 v[26:29], v48 offset:272
	s_waitcnt lgkmcnt(0)
	;;#ASMSTART
	v_dot2_f32_f16 v79, v22, v26, v79
	;;#ASMEND
	;;#ASMSTART
	v_dot2_f32_f16 v79, v23, v27, v79
	;;#ASMEND
	;;#ASMSTART
	v_dot2_f32_f16 v79, v24, v28, v79
	;;#ASMEND
	;;#ASMSTART
	v_dot2_f32_f16 v79, v25, v29, v79
	;;#ASMEND
	ds_read_b128 v[22:25], v47 offset:32
	;; [unrolled: 15-line block ×15, first 2 shown]
	ds_read_b128 v[26:29], v48 offset:496
	v_add_u32_e32 v80, s6, v4
	v_ashrrev_i32_e32 v81, 31, v80
	v_lshlrev_b64 v[80:81], 1, v[80:81]
	s_waitcnt lgkmcnt(0)
	;;#ASMSTART
	v_dot2_f32_f16 v79, v22, v26, v79
	;;#ASMEND
	v_add_co_u32_e32 v80, vcc, s26, v80
	;;#ASMSTART
	v_dot2_f32_f16 v79, v23, v27, v79
	;;#ASMEND
	v_addc_co_u32_e32 v81, vcc, v61, v81, vcc
	;;#ASMSTART
	v_dot2_f32_f16 v79, v24, v28, v79
	;;#ASMEND
	;;#ASMSTART
	v_dot2_f32_f16 v79, v25, v29, v79
	;;#ASMEND
	flat_load_ushort v22, v[80:81]
	v_cmp_lt_i32_e32 vcc, v42, v37
	v_cndmask_b32_e32 v23, v5, v42, vcc
	v_lshlrev_b32_e32 v25, 2, v23
	v_max_f32_e32 v24, v78, v78
	v_cmp_lt_i32_e32 vcc, v41, v37
	s_waitcnt vmcnt(0) lgkmcnt(0)
	v_cvt_f32_f16_e32 v22, v22
	v_add_f32_e32 v23, v79, v22
	v_add_f32_e32 v22, 0x40051340, v23
	v_max_f32_e32 v22, v24, v22
	ds_bpermute_b32 v24, v25, v22
	v_cndmask_b32_e32 v25, v5, v41, vcc
	v_lshlrev_b32_e32 v25, 2, v25
	v_cmp_lt_i32_e32 vcc, v40, v37
	s_waitcnt lgkmcnt(0)
	v_max_f32_e32 v24, v24, v24
	v_max_f32_e32 v22, v22, v24
	ds_bpermute_b32 v24, v25, v22
	v_cndmask_b32_e32 v25, v5, v40, vcc
	v_lshlrev_b32_e32 v25, 2, v25
	v_cmp_lt_i32_e32 vcc, v39, v37
	s_waitcnt lgkmcnt(0)
	v_max_f32_e32 v24, v24, v24
	;; [unrolled: 7-line block ×3, first 2 shown]
	v_max_f32_e32 v22, v22, v24
	ds_bpermute_b32 v24, v25, v22
	v_cndmask_b32_e32 v25, v5, v38, vcc
	s_waitcnt lgkmcnt(0)
	v_max_f32_e32 v24, v24, v24
	v_max_f32_e32 v22, v22, v24
	v_lshlrev_b32_e32 v24, 2, v25
	ds_bpermute_b32 v24, v24, v22
	s_and_saveexec_b64 s[10:11], s[0:1]
	s_cbranch_execz .LBB23_11
; %bb.10:                               ;   in Loop: Header=BB23_9 Depth=1
	s_waitcnt lgkmcnt(0)
	v_max_f32_e32 v24, v24, v24
	v_max_f32_e32 v22, v22, v22
	;; [unrolled: 1-line block ×3, first 2 shown]
	ds_write_b32 v49, v22
.LBB23_11:                              ;   in Loop: Header=BB23_9 Depth=1
	s_or_b64 exec, exec, s[10:11]
	s_waitcnt lgkmcnt(0)
	s_barrier
	ds_read_b32 v22, v50
	v_and_b32_e32 v24, 0x7e, v5
	v_add_u32_e32 v24, 2, v24
	v_cmp_lt_i32_e32 vcc, v38, v24
	v_cndmask_b32_e32 v24, v5, v38, vcc
	v_lshlrev_b32_e32 v24, 2, v24
	s_waitcnt lgkmcnt(0)
	ds_bpermute_b32 v24, v24, v22
	v_max_f32_e32 v22, v22, v22
	s_mul_hi_i32 s11, s6, s14
	s_mul_i32 s10, s6, s14
	s_lshl_b64 s[10:11], s[10:11], 2
	s_waitcnt lgkmcnt(0)
	v_max_f32_e32 v24, v24, v24
	v_max_f32_e32 v22, v22, v24
	v_sub_f32_e32 v24, v78, v22
	v_mul_f32_e32 v25, 0x3fb8aa3b, v24
	v_fma_f32 v26, v24, s27, -v25
	v_rndne_f32_e32 v27, v25
	v_fmac_f32_e32 v26, 0x32a5705f, v24
	v_sub_f32_e32 v25, v25, v27
	v_add_f32_e32 v25, v25, v26
	v_exp_f32_e32 v25, v25
	v_cvt_i32_f32_e32 v26, v27
	v_cmp_ngt_f32_e32 vcc, s28, v24
	v_sub_f32_e32 v23, v23, v22
	s_add_u32 s10, s12, s10
	v_ldexp_f32 v25, v25, v26
	v_cndmask_b32_e32 v25, 0, v25, vcc
	v_cmp_nlt_f32_e32 vcc, s29, v24
	v_cndmask_b32_e32 v24, v77, v25, vcc
	v_mul_f32_e32 v25, 0x3fb8aa3b, v23
	v_fma_f32 v26, v23, s27, -v25
	v_rndne_f32_e32 v27, v25
	v_fmac_f32_e32 v26, 0x32a5705f, v23
	v_sub_f32_e32 v25, v25, v27
	v_add_f32_e32 v25, v25, v26
	v_exp_f32_e32 v25, v25
	v_cvt_i32_f32_e32 v26, v27
	v_cvt_f16_f32_e32 v28, v24
	v_cmp_ngt_f32_e32 vcc, s28, v23
	s_addc_u32 s11, s13, s11
	v_ldexp_f32 v25, v25, v26
	v_cndmask_b32_e32 v25, 0, v25, vcc
	v_cmp_nlt_f32_e32 vcc, s29, v23
	v_cndmask_b32_e32 v23, v77, v25, vcc
	v_pk_mul_f16 v29, v2, v28 op_sel_hi:[1,0]
	v_cvt_f16_f32_e32 v2, v23
	v_pk_mul_f16 v78, v28, v3 op_sel_hi:[0,1]
	v_mov_b32_e32 v3, s11
	v_fma_f32 v59, v59, v24, v23
	ds_write_b16 v51, v2
	v_add_co_u32_e32 v2, vcc, s10, v14
	v_addc_co_u32_e32 v3, vcc, v3, v15, vcc
	v_add_co_u32_e32 v2, vcc, v2, v35
	v_addc_co_u32_e32 v3, vcc, 0, v3, vcc
	global_load_dwordx4 v[24:27], v[2:3], off
	v_add_co_u32_e32 v2, vcc, s10, v16
	v_mov_b32_e32 v3, s11
	v_addc_co_u32_e32 v3, vcc, v3, v17, vcc
	v_add_co_u32_e32 v2, vcc, v2, v35
	v_addc_co_u32_e32 v3, vcc, 0, v3, vcc
	v_add_u32_e32 v23, v56, v57
	s_waitcnt vmcnt(0)
	ds_write_b128 v52, v[24:27]
	global_load_dwordx4 v[24:27], v[2:3], off
	v_add_co_u32_e32 v2, vcc, s10, v18
	v_mov_b32_e32 v3, s11
	v_addc_co_u32_e32 v3, vcc, v3, v19, vcc
	v_add_co_u32_e32 v2, vcc, v2, v35
	v_addc_co_u32_e32 v3, vcc, 0, v3, vcc
	s_waitcnt vmcnt(0)
	ds_write_b128 v53, v[24:27]
	global_load_dwordx4 v[24:27], v[2:3], off
	v_add_co_u32_e32 v2, vcc, s10, v20
	v_mov_b32_e32 v3, s11
	v_addc_co_u32_e32 v3, vcc, v3, v21, vcc
	v_add_co_u32_e32 v2, vcc, v2, v35
	v_addc_co_u32_e32 v3, vcc, 0, v3, vcc
	s_or_b32 s10, s6, 32
	s_mul_hi_i32 s11, s10, s14
	s_mul_i32 s10, s10, s14
	s_lshl_b64 s[10:11], s[10:11], 2
	s_add_u32 s10, s12, s10
	s_addc_u32 s11, s13, s11
	s_waitcnt vmcnt(0)
	ds_write_b128 v54, v[24:27]
	global_load_dwordx4 v[24:27], v[2:3], off
	s_waitcnt vmcnt(0)
	ds_write_b128 v55, v[24:27]
	s_waitcnt lgkmcnt(0)
	s_barrier
	ds_read2_b64 v[24:27], v23 offset1:32
	ds_read_u16 v2, v58
	ds_read_u16 v79, v58 offset:4
	ds_read_u16 v80, v58 offset:8
	;; [unrolled: 1-line block ×15, first 2 shown]
	s_waitcnt lgkmcnt(14)
	v_pk_mul_f16 v3, v24, v2 op_sel_hi:[1,0]
	v_pk_fma_f16 v24, v0, v28, v3 op_sel_hi:[1,0,1]
	v_pk_mul_f16 v0, v25, v2 op_sel_hi:[1,0]
	v_pk_fma_f16 v25, v1, v28, v0 op_sel_hi:[1,0,1]
	v_pk_fma_f16 v26, v26, v2, v29 op_sel_hi:[1,0,1]
	v_pk_fma_f16 v27, v27, v2, v78 op_sel_hi:[1,0,1]
	ds_read2_b64 v[0:3], v62 offset1:32
	s_waitcnt lgkmcnt(0)
	v_pk_fma_f16 v24, v0, v79, v24 op_sel_hi:[1,0,1]
	v_pk_fma_f16 v25, v1, v79, v25 op_sel_hi:[1,0,1]
	v_pk_fma_f16 v26, v2, v79, v26 op_sel_hi:[1,0,1]
	v_pk_fma_f16 v27, v3, v79, v27 op_sel_hi:[1,0,1]
	ds_read2_b64 v[0:3], v63 offset1:32
	s_waitcnt lgkmcnt(0)
	v_pk_fma_f16 v24, v0, v80, v24 op_sel_hi:[1,0,1]
	;; [unrolled: 6-line block ×14, first 2 shown]
	v_pk_fma_f16 v25, v1, v92, v25 op_sel_hi:[1,0,1]
	v_pk_fma_f16 v26, v2, v92, v26 op_sel_hi:[1,0,1]
	;; [unrolled: 1-line block ×3, first 2 shown]
	ds_read2_b64 v[0:3], v76 offset1:32
	s_waitcnt lgkmcnt(0)
	s_barrier
	v_pk_fma_f16 v24, v0, v93, v24 op_sel_hi:[1,0,1]
	v_pk_fma_f16 v25, v1, v93, v25 op_sel_hi:[1,0,1]
	v_add_co_u32_e32 v0, vcc, s10, v14
	v_mov_b32_e32 v1, s11
	v_addc_co_u32_e32 v1, vcc, v1, v15, vcc
	v_add_co_u32_e32 v0, vcc, v0, v35
	v_addc_co_u32_e32 v1, vcc, 0, v1, vcc
	v_pk_fma_f16 v26, v2, v93, v26 op_sel_hi:[1,0,1]
	v_pk_fma_f16 v27, v3, v93, v27 op_sel_hi:[1,0,1]
	global_load_dwordx4 v[0:3], v[0:1], off
	s_waitcnt vmcnt(0)
	ds_write_b128 v52, v[0:3]
	v_add_co_u32_e32 v0, vcc, s10, v16
	v_mov_b32_e32 v1, s11
	v_addc_co_u32_e32 v1, vcc, v1, v17, vcc
	v_add_co_u32_e32 v0, vcc, v0, v35
	v_addc_co_u32_e32 v1, vcc, 0, v1, vcc
	global_load_dwordx4 v[0:3], v[0:1], off
	s_waitcnt vmcnt(0)
	ds_write_b128 v53, v[0:3]
	v_add_co_u32_e32 v0, vcc, s10, v18
	v_mov_b32_e32 v1, s11
	v_addc_co_u32_e32 v1, vcc, v1, v19, vcc
	v_add_co_u32_e32 v0, vcc, v0, v35
	v_addc_co_u32_e32 v1, vcc, 0, v1, vcc
	;; [unrolled: 8-line block ×3, first 2 shown]
	global_load_dwordx4 v[0:3], v[0:1], off
	s_waitcnt vmcnt(0)
	ds_write_b128 v55, v[0:3]
	s_waitcnt lgkmcnt(0)
	s_barrier
	ds_read2_b64 v[0:3], v23 offset1:32
	ds_read_u16 v23, v58 offset:64
	ds_read_u16 v28, v58 offset:68
	ds_read_u16 v29, v58 offset:72
	ds_read_u16 v78, v58 offset:76
	ds_read_u16 v79, v58 offset:80
	ds_read_u16 v80, v58 offset:84
	ds_read_u16 v81, v58 offset:88
	ds_read_u16 v82, v58 offset:92
	ds_read_u16 v83, v58 offset:96
	ds_read_u16 v84, v58 offset:100
	ds_read_u16 v85, v58 offset:104
	ds_read_u16 v86, v58 offset:108
	ds_read_u16 v87, v58 offset:112
	ds_read_u16 v88, v58 offset:116
	ds_read_u16 v89, v58 offset:120
	ds_read_u16 v90, v58 offset:124
	s_waitcnt lgkmcnt(14)
	v_pk_fma_f16 v24, v0, v23, v24 op_sel_hi:[1,0,1]
	v_pk_fma_f16 v25, v1, v23, v25 op_sel_hi:[1,0,1]
	v_pk_fma_f16 v26, v2, v23, v26 op_sel_hi:[1,0,1]
	v_pk_fma_f16 v23, v3, v23, v27 op_sel_hi:[1,0,1]
	ds_read2_b64 v[0:3], v62 offset1:32
	s_waitcnt lgkmcnt(0)
	v_pk_fma_f16 v24, v0, v28, v24 op_sel_hi:[1,0,1]
	v_pk_fma_f16 v25, v1, v28, v25 op_sel_hi:[1,0,1]
	v_pk_fma_f16 v26, v2, v28, v26 op_sel_hi:[1,0,1]
	v_pk_fma_f16 v23, v3, v28, v23 op_sel_hi:[1,0,1]
	ds_read2_b64 v[0:3], v63 offset1:32
	;; [unrolled: 6-line block ×15, first 2 shown]
	s_waitcnt lgkmcnt(0)
	s_barrier
	s_load_dword s10, s[8:9], 0x4
	v_pk_fma_f16 v0, v0, v90, v24 op_sel_hi:[1,0,1]
	v_pk_fma_f16 v1, v1, v90, v25 op_sel_hi:[1,0,1]
	;; [unrolled: 1-line block ×4, first 2 shown]
	s_waitcnt lgkmcnt(0)
	s_lshl_b32 s10, s10, 6
	s_add_i32 s6, s10, s6
	s_cmp_lt_i32 s6, s24
	s_cbranch_scc0 .LBB23_13
; %bb.12:                               ;   in Loop: Header=BB23_9 Depth=1
	v_mov_b32_e32 v78, v22
	s_branch .LBB23_9
.LBB23_13:
	v_mov_b32_e32 v7, v36
.LBB23_14:
	v_cmp_lt_i32_e32 vcc, v42, v37
	v_cndmask_b32_e32 v6, v5, v42, vcc
	v_lshlrev_b32_e32 v6, 2, v6
	ds_bpermute_b32 v6, v6, v59
	v_cmp_lt_i32_e32 vcc, v41, v37
	v_cndmask_b32_e32 v8, v5, v41, vcc
	v_lshlrev_b32_e32 v8, 2, v8
	v_cmp_lt_i32_e32 vcc, v40, v37
	s_waitcnt lgkmcnt(0)
	v_add_f32_e32 v6, v59, v6
	ds_bpermute_b32 v8, v8, v6
	v_cndmask_b32_e32 v9, v5, v40, vcc
	v_lshlrev_b32_e32 v9, 2, v9
	v_cmp_lt_i32_e32 vcc, v39, v37
	v_lshlrev_b32_e32 v4, 7, v34
	s_waitcnt lgkmcnt(0)
	v_add_f32_e32 v6, v6, v8
	ds_bpermute_b32 v8, v9, v6
	v_cndmask_b32_e32 v9, v5, v39, vcc
	v_lshlrev_b32_e32 v9, 2, v9
	v_cmp_lt_i32_e32 vcc, v38, v37
	v_cndmask_b32_e32 v5, v5, v38, vcc
	s_waitcnt lgkmcnt(0)
	v_add_f32_e32 v6, v6, v8
	ds_bpermute_b32 v8, v9, v6
	v_lshlrev_b32_e32 v5, 2, v5
	v_cmp_eq_u32_e32 vcc, 0, v7
	v_cmp_ne_u32_e64 s[0:1], 0, v7
	s_waitcnt lgkmcnt(0)
	v_add_f32_e32 v6, v6, v8
	ds_bpermute_b32 v5, v5, v6
	s_waitcnt lgkmcnt(0)
	v_add_f32_e32 v23, v6, v5
	s_and_saveexec_b64 s[8:9], s[0:1]
	s_xor_b64 s[8:9], exec, s[8:9]
	s_cbranch_execnz .LBB23_18
; %bb.15:
	s_andn2_saveexec_b64 s[0:1], s[8:9]
	s_cbranch_execnz .LBB23_21
.LBB23_16:
	s_or_b64 exec, exec, s[0:1]
	s_and_saveexec_b64 s[0:1], vcc
	s_cbranch_execnz .LBB23_22
.LBB23_17:
	s_endpgm
.LBB23_18:
	v_lshl_add_u32 v4, v4, 2, v35
	v_cmp_eq_u32_e64 s[0:1], 0, v30
	ds_write_b128 v4, v[0:3]
	s_and_saveexec_b64 s[10:11], s[0:1]
	s_cbranch_execz .LBB23_20
; %bb.19:
	v_lshlrev_b32_e32 v4, 2, v34
	ds_write_b32 v4, v23 offset:17408
.LBB23_20:
	s_or_b64 exec, exec, s[10:11]
                                        ; implicit-def: $vgpr4
                                        ; implicit-def: $vgpr35
                                        ; implicit-def: $vgpr34
	s_andn2_saveexec_b64 s[0:1], s[8:9]
	s_cbranch_execz .LBB23_16
.LBB23_21:
	v_lshl_add_u32 v4, v4, 2, v35
	v_lshlrev_b32_e32 v8, 2, v34
	s_waitcnt lgkmcnt(0)
	s_barrier
	ds_read_b128 v[4:7], v4 offset:512
	ds_read_b32 v8, v8 offset:17412
	s_waitcnt lgkmcnt(1)
	v_pk_add_f16 v0, v4, v0
	v_pk_add_f16 v1, v5, v1
	;; [unrolled: 1-line block ×4, first 2 shown]
	s_waitcnt lgkmcnt(0)
	v_add_f32_e32 v23, v23, v8
	s_or_b64 exec, exec, s[0:1]
	s_and_saveexec_b64 s[0:1], vcc
	s_cbranch_execz .LBB23_17
.LBB23_22:
	s_cmp_eq_u64 s[16:17], 0
	s_cselect_b64 s[0:1], -1, 0
	s_cmp_lg_u32 s7, 0
	s_cselect_b64 s[8:9], -1, 0
	s_or_b64 s[0:1], s[8:9], s[0:1]
	v_add_u32_e32 v4, s25, v33
	s_and_b64 vcc, exec, s[0:1]
	s_cbranch_vccnz .LBB23_24
; %bb.23:
	v_ashrrev_i32_e32 v5, 31, v4
	v_lshlrev_b64 v[6:7], 2, v[4:5]
	v_mov_b32_e32 v5, s17
	v_add_co_u32_e32 v6, vcc, s16, v6
	v_addc_co_u32_e32 v7, vcc, v5, v7, vcc
	global_load_dword v5, v[6:7], off
	v_max_f32_e32 v6, v22, v22
	s_mov_b32 s0, 0x3fb8aa3b
	s_mov_b32 s1, 0xc2ce8ed0
	s_waitcnt vmcnt(0)
	v_max_f32_e32 v7, v5, v5
	v_max_f32_e32 v6, v6, v7
	v_sub_f32_e32 v7, v22, v6
	v_sub_f32_e32 v5, v5, v6
	v_mul_f32_e32 v8, 0x3fb8aa3b, v7
	v_mul_f32_e32 v9, 0x3fb8aa3b, v5
	v_fma_f32 v10, v7, s0, -v8
	v_rndne_f32_e32 v11, v8
	v_fma_f32 v12, v5, s0, -v9
	v_rndne_f32_e32 v13, v9
	v_fmac_f32_e32 v10, 0x32a5705f, v7
	v_sub_f32_e32 v8, v8, v11
	v_fmac_f32_e32 v12, 0x32a5705f, v5
	v_sub_f32_e32 v9, v9, v13
	v_add_f32_e32 v8, v8, v10
	v_cvt_i32_f32_e32 v11, v11
	v_add_f32_e32 v9, v9, v12
	v_exp_f32_e32 v8, v8
	v_cvt_i32_f32_e32 v13, v13
	v_exp_f32_e32 v9, v9
	v_cmp_ngt_f32_e32 vcc, s1, v7
	v_ldexp_f32 v8, v8, v11
	s_mov_b32 s0, 0x42b17218
	v_ldexp_f32 v9, v9, v13
	v_cndmask_b32_e32 v8, 0, v8, vcc
	v_cmp_ngt_f32_e32 vcc, s1, v5
	v_mov_b32_e32 v10, 0x7f800000
	v_cndmask_b32_e32 v9, 0, v9, vcc
	v_cmp_nlt_f32_e32 vcc, s0, v7
	v_cndmask_b32_e32 v8, v10, v8, vcc
	v_cvt_f16_f32_e32 v11, v8
	v_cmp_nlt_f32_e32 vcc, s0, v5
	v_cndmask_b32_e32 v7, v10, v9, vcc
	v_fmac_f32_e32 v7, v23, v8
	v_pk_mul_f16 v0, v11, v0 op_sel_hi:[0,1]
	v_pk_mul_f16 v1, v11, v1 op_sel_hi:[0,1]
	;; [unrolled: 1-line block ×4, first 2 shown]
	v_pk_mov_b32 v[22:23], v[6:7], v[6:7] op_sel:[0,1]
	s_branch .LBB23_25
.LBB23_24:
	v_mov_b32_e32 v7, v23
.LBB23_25:
	v_div_scale_f32 v5, s[0:1], v7, v7, 1.0
	v_rcp_f32_e32 v6, v5
	s_load_dword s4, s[4:5], 0xd4
	s_mul_i32 s30, s30, s2
	v_cvt_f32_f16_sdwa v15, v1 dst_sel:DWORD dst_unused:UNUSED_PAD src0_sel:WORD_1
	v_fma_f32 v8, -v5, v6, 1.0
	v_fmac_f32_e32 v6, v8, v6
	v_div_scale_f32 v8, vcc, 1.0, v7, 1.0
	v_mul_f32_e32 v9, v8, v6
	v_fma_f32 v10, -v5, v9, v8
	v_fmac_f32_e32 v9, v10, v6
	v_fma_f32 v5, -v5, v9, v8
	s_waitcnt lgkmcnt(0)
	s_cmp_lg_u32 s4, 1
	v_div_fmas_f32 v5, v5, v6, v9
	v_div_fixup_f32 v5, v5, v7, 1.0
	s_cselect_b64 s[0:1], -1, 0
	v_cndmask_b32_e64 v10, v5, 1.0, s[0:1]
	v_add_u32_e32 v5, s30, v31
	v_mad_u64_u32 v[4:5], s[2:3], v5, s3, v[4:5]
	v_mul_lo_u32 v4, s4, v4
	v_add_u32_e32 v4, s7, v4
	v_cvt_f32_f16_sdwa v9, v0 dst_sel:DWORD dst_unused:UNUSED_PAD src0_sel:WORD_1
	v_cvt_f32_f16_e32 v8, v0
	v_cvt_f32_f16_e32 v14, v1
	v_lshl_add_u32 v12, v4, 8, v32
	v_mov_b32_e32 v13, 0
	v_lshlrev_b64 v[6:7], 2, v[12:13]
	v_mov_b32_e32 v5, s21
	v_add_co_u32_e32 v0, vcc, s20, v6
	v_addc_co_u32_e32 v1, vcc, v5, v7, vcc
	v_pk_mul_f32 v[6:7], v[10:11], v[8:9] op_sel_hi:[0,1]
	v_pk_mul_f32 v[8:9], v[10:11], v[14:15] op_sel_hi:[0,1]
	v_add_u32_e32 v12, 0x80, v12
	global_store_dwordx4 v[0:1], v[6:9], off
	v_lshlrev_b64 v[0:1], 2, v[12:13]
	v_cvt_f32_f16_sdwa v7, v2 dst_sel:DWORD dst_unused:UNUSED_PAD src0_sel:WORD_1
	v_cvt_f32_f16_e32 v6, v2
	v_cvt_f32_f16_sdwa v9, v3 dst_sel:DWORD dst_unused:UNUSED_PAD src0_sel:WORD_1
	v_cvt_f32_f16_e32 v8, v3
	v_add_co_u32_e32 v12, vcc, s20, v0
	v_addc_co_u32_e32 v13, vcc, v5, v1, vcc
	v_cmp_eq_u32_e32 vcc, 0, v30
	v_pk_mul_f32 v[0:1], v[10:11], v[6:7] op_sel_hi:[0,1]
	v_pk_mul_f32 v[2:3], v[10:11], v[8:9] op_sel_hi:[0,1]
	s_and_b64 s[0:1], vcc, s[0:1]
	global_store_dwordx4 v[12:13], v[0:3], off
	s_and_b64 exec, exec, s[0:1]
	s_cbranch_execz .LBB23_17
; %bb.26:
	v_ashrrev_i32_e32 v5, 31, v4
	v_lshlrev_b64 v[0:1], 3, v[4:5]
	v_mov_b32_e32 v2, s23
	v_add_co_u32_e32 v0, vcc, s22, v0
	v_addc_co_u32_e32 v1, vcc, v2, v1, vcc
	global_store_dwordx2 v[0:1], v[22:23], off
	s_endpgm
	.section	.rodata,"a",@progbits
	.p2align	6, 0x0
	.amdhsa_kernel _ZL15flash_attn_tileILi256ELi256ELi1ELi4ELb0EEvPKcS1_S1_S1_S1_PKiPfP15HIP_vector_typeIfLj2EEffffjfiS5_IjLj3EEiiiiiiiiiiiliiliiiiil
		.amdhsa_group_segment_fixed_size 20000
		.amdhsa_private_segment_fixed_size 0
		.amdhsa_kernarg_size 464
		.amdhsa_user_sgpr_count 6
		.amdhsa_user_sgpr_private_segment_buffer 1
		.amdhsa_user_sgpr_dispatch_ptr 0
		.amdhsa_user_sgpr_queue_ptr 0
		.amdhsa_user_sgpr_kernarg_segment_ptr 1
		.amdhsa_user_sgpr_dispatch_id 0
		.amdhsa_user_sgpr_flat_scratch_init 0
		.amdhsa_user_sgpr_kernarg_preload_length 0
		.amdhsa_user_sgpr_kernarg_preload_offset 0
		.amdhsa_user_sgpr_private_segment_size 0
		.amdhsa_uses_dynamic_stack 0
		.amdhsa_system_sgpr_private_segment_wavefront_offset 0
		.amdhsa_system_sgpr_workgroup_id_x 1
		.amdhsa_system_sgpr_workgroup_id_y 1
		.amdhsa_system_sgpr_workgroup_id_z 1
		.amdhsa_system_sgpr_workgroup_info 0
		.amdhsa_system_vgpr_workitem_id 1
		.amdhsa_next_free_vgpr 96
		.amdhsa_next_free_sgpr 40
		.amdhsa_accum_offset 96
		.amdhsa_reserve_vcc 1
		.amdhsa_reserve_flat_scratch 0
		.amdhsa_float_round_mode_32 0
		.amdhsa_float_round_mode_16_64 0
		.amdhsa_float_denorm_mode_32 3
		.amdhsa_float_denorm_mode_16_64 3
		.amdhsa_dx10_clamp 1
		.amdhsa_ieee_mode 1
		.amdhsa_fp16_overflow 0
		.amdhsa_tg_split 0
		.amdhsa_exception_fp_ieee_invalid_op 0
		.amdhsa_exception_fp_denorm_src 0
		.amdhsa_exception_fp_ieee_div_zero 0
		.amdhsa_exception_fp_ieee_overflow 0
		.amdhsa_exception_fp_ieee_underflow 0
		.amdhsa_exception_fp_ieee_inexact 0
		.amdhsa_exception_int_div_zero 0
	.end_amdhsa_kernel
	.section	.text._ZL15flash_attn_tileILi256ELi256ELi1ELi4ELb0EEvPKcS1_S1_S1_S1_PKiPfP15HIP_vector_typeIfLj2EEffffjfiS5_IjLj3EEiiiiiiiiiiiliiliiiiil,"axG",@progbits,_ZL15flash_attn_tileILi256ELi256ELi1ELi4ELb0EEvPKcS1_S1_S1_S1_PKiPfP15HIP_vector_typeIfLj2EEffffjfiS5_IjLj3EEiiiiiiiiiiiliiliiiiil,comdat
.Lfunc_end23:
	.size	_ZL15flash_attn_tileILi256ELi256ELi1ELi4ELb0EEvPKcS1_S1_S1_S1_PKiPfP15HIP_vector_typeIfLj2EEffffjfiS5_IjLj3EEiiiiiiiiiiiliiliiiiil, .Lfunc_end23-_ZL15flash_attn_tileILi256ELi256ELi1ELi4ELb0EEvPKcS1_S1_S1_S1_PKiPfP15HIP_vector_typeIfLj2EEffffjfiS5_IjLj3EEiiiiiiiiiiiliiliiiiil
                                        ; -- End function
	.section	.AMDGPU.csdata,"",@progbits
; Kernel info:
; codeLenInByte = 7440
; NumSgprs: 44
; NumVgprs: 96
; NumAgprs: 0
; TotalNumVgprs: 96
; ScratchSize: 0
; MemoryBound: 0
; FloatMode: 240
; IeeeMode: 1
; LDSByteSize: 20000 bytes/workgroup (compile time only)
; SGPRBlocks: 5
; VGPRBlocks: 11
; NumSGPRsForWavesPerEU: 44
; NumVGPRsForWavesPerEU: 96
; AccumOffset: 96
; Occupancy: 3
; WaveLimiterHint : 1
; COMPUTE_PGM_RSRC2:SCRATCH_EN: 0
; COMPUTE_PGM_RSRC2:USER_SGPR: 6
; COMPUTE_PGM_RSRC2:TRAP_HANDLER: 0
; COMPUTE_PGM_RSRC2:TGID_X_EN: 1
; COMPUTE_PGM_RSRC2:TGID_Y_EN: 1
; COMPUTE_PGM_RSRC2:TGID_Z_EN: 1
; COMPUTE_PGM_RSRC2:TIDIG_COMP_CNT: 1
; COMPUTE_PGM_RSRC3_GFX90A:ACCUM_OFFSET: 23
; COMPUTE_PGM_RSRC3_GFX90A:TG_SPLIT: 0
	.section	.text._ZL33flash_attn_stream_k_fixup_uniformILi256ELi1ELi4EEvPfPK15HIP_vector_typeIfLj2EEiiiiiiS1_IjLj3EES5_S5_,"axG",@progbits,_ZL33flash_attn_stream_k_fixup_uniformILi256ELi1ELi4EEvPfPK15HIP_vector_typeIfLj2EEiiiiiiS1_IjLj3EES5_S5_,comdat
	.globl	_ZL33flash_attn_stream_k_fixup_uniformILi256ELi1ELi4EEvPfPK15HIP_vector_typeIfLj2EEiiiiiiS1_IjLj3EES5_S5_ ; -- Begin function _ZL33flash_attn_stream_k_fixup_uniformILi256ELi1ELi4EEvPfPK15HIP_vector_typeIfLj2EEiiiiiiS1_IjLj3EES5_S5_
	.p2align	8
	.type	_ZL33flash_attn_stream_k_fixup_uniformILi256ELi1ELi4EEvPfPK15HIP_vector_typeIfLj2EEiiiiiiS1_IjLj3EES5_S5_,@function
_ZL33flash_attn_stream_k_fixup_uniformILi256ELi1ELi4EEvPfPK15HIP_vector_typeIfLj2EEiiiiiiS1_IjLj3EES5_S5_: ; @_ZL33flash_attn_stream_k_fixup_uniformILi256ELi1ELi4EEvPfPK15HIP_vector_typeIfLj2EEiiiiiiS1_IjLj3EES5_S5_
; %bb.0:
	s_load_dwordx8 s[12:19], s[4:5], 0x1c
	s_load_dwordx2 s[10:11], s[4:5], 0x10
	s_load_dwordx4 s[0:3], s[4:5], 0x3c
	s_waitcnt lgkmcnt(0)
	s_mul_hi_u32 s9, s15, s6
	s_add_i32 s9, s6, s9
	s_lshr_b32 s9, s9, s16
	s_mul_i32 s15, s9, s17
	s_sub_i32 s16, s6, s15
	s_mul_hi_u32 s15, s16, s18
	s_add_i32 s15, s16, s15
	s_lshr_b32 s15, s15, s19
	s_mul_i32 s0, s15, s0
	s_sub_i32 s0, s16, s0
	;; [unrolled: 5-line block ×3, first 2 shown]
	s_lshl_b32 s17, s1, 2
	s_add_i32 s16, s16, s7
	s_cmp_lt_i32 s16, s10
	s_cselect_b64 s[0:1], -1, 0
	s_add_i32 s17, s17, s8
	s_cmp_lt_i32 s17, s13
	s_cselect_b64 s[2:3], -1, 0
	s_and_b64 s[0:1], s[0:1], s[2:3]
	s_andn2_b64 vcc, exec, s[0:1]
	s_cbranch_vccnz .LBB24_6
; %bb.1:
	s_mul_i32 s9, s9, s10
	s_load_dwordx4 s[0:3], s[4:5], 0x0
	s_mul_i32 s15, s15, s13
	s_add_i32 s4, s16, s9
	s_mul_i32 s4, s4, s11
	s_add_i32 s5, s17, s15
	s_add_i32 s5, s5, s4
	v_lshl_or_b32 v2, s5, 8, v0
	v_ashrrev_i32_e32 v3, 31, v2
	v_lshlrev_b64 v[2:3], 2, v[2:3]
	s_waitcnt lgkmcnt(0)
	v_mov_b32_e32 v1, s1
	v_add_co_u32_e32 v2, vcc, s0, v2
	v_addc_co_u32_e32 v3, vcc, v1, v3, vcc
	global_load_dword v8, v[2:3], off
	s_mul_i32 s9, s6, s14
	s_add_i32 s4, s9, s14
	s_add_i32 s0, s7, s4
	s_lshl_b32 s0, s0, 2
	s_add_i32 s0, s0, s8
	s_add_i32 s0, s0, -4
	s_ashr_i32 s1, s0, 31
	s_lshl_b64 s[0:1], s[0:1], 3
	s_add_u32 s0, s2, s0
	s_addc_u32 s1, s3, s1
	s_load_dword s5, s[0:1], 0x4
	s_add_i32 s10, s4, -2
	s_cmp_lt_i32 s10, s9
	s_cbranch_scc1 .LBB24_4
; %bb.2:
	s_lshl_b32 s10, s12, 4
	s_ashr_i32 s11, s10, 31
	s_lshl_b64 s[10:11], s[10:11], 2
	s_add_u32 s10, s2, s10
	s_addc_u32 s13, s3, s11
	s_load_dword s0, s[0:1], 0x0
	s_add_i32 s6, s6, 1
	s_lshl_b32 s1, s8, 8
	s_add_i32 s12, s7, s12
	s_mul_i32 s6, s14, s6
	s_lshl_b32 s7, s7, 10
	s_add_i32 s12, s12, s4
	s_lshl_b32 s6, s6, 10
	s_add_i32 s1, s1, s7
	s_add_i32 s11, s4, -1
	s_lshl_b32 s4, s12, 2
	s_add_i32 s1, s1, s6
	s_add_i32 s4, s8, s4
	v_or_b32_e32 v0, s1, v0
	s_add_i32 s4, s4, -8
	v_add_u32_e32 v0, 0xfffff800, v0
	s_waitcnt lgkmcnt(0)
	v_mov_b32_e32 v7, s5
	v_mov_b32_e32 v6, s0
	;; [unrolled: 1-line block ×3, first 2 shown]
	s_mov_b32 s6, 0x3fb8aa3b
	s_mov_b32 s7, 0xc2ce8ed0
	;; [unrolled: 1-line block ×3, first 2 shown]
	v_mov_b32_e32 v5, 0x7f800000
	s_mov_b32 s12, 0xc1a00000
.LBB24_3:                               ; =>This Inner Loop Header: Depth=1
	v_ashrrev_i32_e32 v1, 31, v0
	v_lshlrev_b64 v[10:11], 2, v[0:1]
	v_add_co_u32_e32 v10, vcc, s10, v10
	v_addc_co_u32_e32 v11, vcc, v4, v11, vcc
	global_load_dword v1, v[10:11], off
	s_ashr_i32 s5, s4, 31
	s_lshl_b64 s[0:1], s[4:5], 3
	s_add_u32 s0, s2, s0
	s_addc_u32 s1, s3, s1
	s_load_dwordx2 s[14:15], s[0:1], 0x0
	s_waitcnt vmcnt(1)
	v_mov_b32_e32 v9, v8
	v_max_f32_e32 v8, v6, v6
	v_mov_b32_e32 v10, v7
	s_add_i32 s11, s11, -1
	s_waitcnt lgkmcnt(0)
	v_max_f32_e64 v7, s14, s14
	v_max_f32_e32 v7, v8, v7
	v_sub_f32_e32 v11, s14, v7
	v_sub_f32_e32 v8, v6, v7
	v_mul_f32_e32 v12, 0x3fb8aa3b, v11
	v_mov_b32_e32 v6, v7
	v_mul_f32_e32 v7, 0x3fb8aa3b, v8
	v_fma_f32 v15, v11, s6, -v12
	v_rndne_f32_e32 v16, v12
	v_fma_f32 v13, v8, s6, -v7
	v_rndne_f32_e32 v14, v7
	v_fmac_f32_e32 v15, 0x32a5705f, v11
	v_sub_f32_e32 v12, v12, v16
	v_fmac_f32_e32 v13, 0x32a5705f, v8
	v_sub_f32_e32 v7, v7, v14
	v_add_f32_e32 v12, v12, v15
	v_cvt_i32_f32_e32 v16, v16
	v_add_f32_e32 v7, v7, v13
	v_exp_f32_e32 v12, v12
	v_cvt_i32_f32_e32 v14, v14
	v_exp_f32_e32 v7, v7
	v_cmp_ngt_f32_e32 vcc, s7, v11
	v_ldexp_f32 v12, v12, v16
	v_cmp_ngt_f32_e64 s[0:1], s7, v8
	v_ldexp_f32 v7, v7, v14
	v_cndmask_b32_e32 v12, 0, v12, vcc
	v_cmp_nlt_f32_e32 vcc, s8, v11
	v_cndmask_b32_e64 v7, 0, v7, s[0:1]
	v_cmp_nlt_f32_e64 s[0:1], s8, v8
	v_cndmask_b32_e32 v12, v5, v12, vcc
	v_cmp_le_f32_e32 vcc, s12, v11
	v_cndmask_b32_e64 v7, v5, v7, s[0:1]
	v_cmp_le_f32_e64 s[0:1], s12, v8
	v_cndmask_b32_e32 v8, 0, v12, vcc
	s_add_i32 s4, s4, -4
	v_cndmask_b32_e64 v11, 0, v7, s[0:1]
	v_mul_f32_e32 v7, s15, v8
	v_add_u32_e32 v0, 0xfffffc00, v0
	s_cmp_le_i32 s11, s9
	v_fmac_f32_e32 v7, v10, v11
	s_waitcnt vmcnt(0)
	v_mul_f32_e32 v8, v1, v8
	v_fmac_f32_e32 v8, v9, v11
	s_cbranch_scc0 .LBB24_3
	s_branch .LBB24_5
.LBB24_4:
	s_waitcnt lgkmcnt(0)
	v_mov_b32_e32 v7, s5
.LBB24_5:
	s_waitcnt vmcnt(0)
	v_div_scale_f32 v0, s[0:1], v7, v7, v8
	v_rcp_f32_e32 v1, v0
	v_div_scale_f32 v4, vcc, v8, v7, v8
	v_fma_f32 v5, -v0, v1, 1.0
	v_fmac_f32_e32 v1, v5, v1
	v_mul_f32_e32 v5, v4, v1
	v_fma_f32 v6, -v0, v5, v4
	v_fmac_f32_e32 v5, v6, v1
	v_fma_f32 v0, -v0, v5, v4
	v_div_fmas_f32 v0, v0, v1, v5
	v_div_fixup_f32 v0, v0, v7, v8
	global_store_dword v[2:3], v0, off
.LBB24_6:
	s_endpgm
	.section	.rodata,"a",@progbits
	.p2align	6, 0x0
	.amdhsa_kernel _ZL33flash_attn_stream_k_fixup_uniformILi256ELi1ELi4EEvPfPK15HIP_vector_typeIfLj2EEiiiiiiS1_IjLj3EES5_S5_
		.amdhsa_group_segment_fixed_size 0
		.amdhsa_private_segment_fixed_size 0
		.amdhsa_kernarg_size 76
		.amdhsa_user_sgpr_count 6
		.amdhsa_user_sgpr_private_segment_buffer 1
		.amdhsa_user_sgpr_dispatch_ptr 0
		.amdhsa_user_sgpr_queue_ptr 0
		.amdhsa_user_sgpr_kernarg_segment_ptr 1
		.amdhsa_user_sgpr_dispatch_id 0
		.amdhsa_user_sgpr_flat_scratch_init 0
		.amdhsa_user_sgpr_kernarg_preload_length 0
		.amdhsa_user_sgpr_kernarg_preload_offset 0
		.amdhsa_user_sgpr_private_segment_size 0
		.amdhsa_uses_dynamic_stack 0
		.amdhsa_system_sgpr_private_segment_wavefront_offset 0
		.amdhsa_system_sgpr_workgroup_id_x 1
		.amdhsa_system_sgpr_workgroup_id_y 1
		.amdhsa_system_sgpr_workgroup_id_z 1
		.amdhsa_system_sgpr_workgroup_info 0
		.amdhsa_system_vgpr_workitem_id 0
		.amdhsa_next_free_vgpr 17
		.amdhsa_next_free_sgpr 20
		.amdhsa_accum_offset 20
		.amdhsa_reserve_vcc 1
		.amdhsa_reserve_flat_scratch 0
		.amdhsa_float_round_mode_32 0
		.amdhsa_float_round_mode_16_64 0
		.amdhsa_float_denorm_mode_32 3
		.amdhsa_float_denorm_mode_16_64 3
		.amdhsa_dx10_clamp 1
		.amdhsa_ieee_mode 1
		.amdhsa_fp16_overflow 0
		.amdhsa_tg_split 0
		.amdhsa_exception_fp_ieee_invalid_op 0
		.amdhsa_exception_fp_denorm_src 0
		.amdhsa_exception_fp_ieee_div_zero 0
		.amdhsa_exception_fp_ieee_overflow 0
		.amdhsa_exception_fp_ieee_underflow 0
		.amdhsa_exception_fp_ieee_inexact 0
		.amdhsa_exception_int_div_zero 0
	.end_amdhsa_kernel
	.section	.text._ZL33flash_attn_stream_k_fixup_uniformILi256ELi1ELi4EEvPfPK15HIP_vector_typeIfLj2EEiiiiiiS1_IjLj3EES5_S5_,"axG",@progbits,_ZL33flash_attn_stream_k_fixup_uniformILi256ELi1ELi4EEvPfPK15HIP_vector_typeIfLj2EEiiiiiiS1_IjLj3EES5_S5_,comdat
.Lfunc_end24:
	.size	_ZL33flash_attn_stream_k_fixup_uniformILi256ELi1ELi4EEvPfPK15HIP_vector_typeIfLj2EEiiiiiiS1_IjLj3EES5_S5_, .Lfunc_end24-_ZL33flash_attn_stream_k_fixup_uniformILi256ELi1ELi4EEvPfPK15HIP_vector_typeIfLj2EEiiiiiiS1_IjLj3EES5_S5_
                                        ; -- End function
	.section	.AMDGPU.csdata,"",@progbits
; Kernel info:
; codeLenInByte = 828
; NumSgprs: 24
; NumVgprs: 17
; NumAgprs: 0
; TotalNumVgprs: 17
; ScratchSize: 0
; MemoryBound: 0
; FloatMode: 240
; IeeeMode: 1
; LDSByteSize: 0 bytes/workgroup (compile time only)
; SGPRBlocks: 2
; VGPRBlocks: 2
; NumSGPRsForWavesPerEU: 24
; NumVGPRsForWavesPerEU: 17
; AccumOffset: 20
; Occupancy: 8
; WaveLimiterHint : 0
; COMPUTE_PGM_RSRC2:SCRATCH_EN: 0
; COMPUTE_PGM_RSRC2:USER_SGPR: 6
; COMPUTE_PGM_RSRC2:TRAP_HANDLER: 0
; COMPUTE_PGM_RSRC2:TGID_X_EN: 1
; COMPUTE_PGM_RSRC2:TGID_Y_EN: 1
; COMPUTE_PGM_RSRC2:TGID_Z_EN: 1
; COMPUTE_PGM_RSRC2:TIDIG_COMP_CNT: 0
; COMPUTE_PGM_RSRC3_GFX90A:ACCUM_OFFSET: 4
; COMPUTE_PGM_RSRC3_GFX90A:TG_SPLIT: 0
	.section	.text._ZL33flash_attn_stream_k_fixup_generalILi256ELi1ELi4EEvPfPK15HIP_vector_typeIfLj2EEiiiiS1_IjLj3EES5_S5_S5_,"axG",@progbits,_ZL33flash_attn_stream_k_fixup_generalILi256ELi1ELi4EEvPfPK15HIP_vector_typeIfLj2EEiiiiS1_IjLj3EES5_S5_S5_,comdat
	.globl	_ZL33flash_attn_stream_k_fixup_generalILi256ELi1ELi4EEvPfPK15HIP_vector_typeIfLj2EEiiiiS1_IjLj3EES5_S5_S5_ ; -- Begin function _ZL33flash_attn_stream_k_fixup_generalILi256ELi1ELi4EEvPfPK15HIP_vector_typeIfLj2EEiiiiS1_IjLj3EES5_S5_S5_
	.p2align	8
	.type	_ZL33flash_attn_stream_k_fixup_generalILi256ELi1ELi4EEvPfPK15HIP_vector_typeIfLj2EEiiiiS1_IjLj3EES5_S5_S5_,@function
_ZL33flash_attn_stream_k_fixup_generalILi256ELi1ELi4EEvPfPK15HIP_vector_typeIfLj2EEiiiiS1_IjLj3EES5_S5_S5_: ; @_ZL33flash_attn_stream_k_fixup_generalILi256ELi1ELi4EEvPfPK15HIP_vector_typeIfLj2EEiiiiS1_IjLj3EES5_S5_S5_
; %bb.0:
	s_load_dwordx4 s[12:15], s[4:5], 0x10
	s_load_dword s9, s[4:5], 0x50
	s_mov_b32 s2, 0
	s_waitcnt lgkmcnt(0)
	s_mul_hi_i32 s3, s15, s6
	s_cmp_lg_u64 s[2:3], 0
	s_mul_i32 s2, s15, s6
	s_cbranch_scc0 .LBB25_21
; %bb.1:
	v_cvt_f32_u32_e32 v1, s9
	v_cvt_f32_ubyte0_e32 v2, 0
	s_sub_u32 s10, 0, s9
	s_subb_u32 s11, 0, 0
	v_madmk_f32 v1, v2, 0x4f800000, v1
	v_rcp_f32_e32 v1, v1
	v_mul_f32_e32 v1, 0x5f7ffffc, v1
	v_mul_f32_e32 v2, 0x2f800000, v1
	v_trunc_f32_e32 v2, v2
	v_madmk_f32 v1, v2, 0xcf800000, v1
	v_cvt_u32_f32_e32 v2, v2
	v_cvt_u32_f32_e32 v1, v1
	v_readfirstlane_b32 s16, v2
	v_readfirstlane_b32 s17, v1
	s_mul_i32 s18, s10, s16
	s_mul_hi_u32 s20, s10, s17
	s_mul_i32 s19, s11, s17
	s_add_i32 s18, s20, s18
	s_add_i32 s18, s18, s19
	s_mul_i32 s21, s10, s17
	s_mul_hi_u32 s19, s17, s18
	s_mul_i32 s20, s17, s18
	s_mul_hi_u32 s17, s17, s21
	s_add_u32 s17, s17, s20
	s_addc_u32 s19, 0, s19
	s_mul_hi_u32 s22, s16, s21
	s_mul_i32 s21, s16, s21
	s_add_u32 s17, s17, s21
	s_mul_hi_u32 s20, s16, s18
	s_addc_u32 s17, s19, s22
	s_addc_u32 s19, s20, 0
	s_mul_i32 s18, s16, s18
	s_add_u32 s17, s17, s18
	s_addc_u32 s18, 0, s19
	v_add_co_u32_e32 v1, vcc, s17, v1
	s_cmp_lg_u64 vcc, 0
	s_addc_u32 s16, s16, s18
	v_readfirstlane_b32 s18, v1
	s_mul_i32 s17, s10, s16
	s_mul_hi_u32 s19, s10, s18
	s_add_i32 s17, s19, s17
	s_mul_i32 s11, s11, s18
	s_add_i32 s17, s17, s11
	s_mul_i32 s10, s10, s18
	s_mul_hi_u32 s19, s16, s10
	s_mul_i32 s20, s16, s10
	s_mul_i32 s22, s18, s17
	s_mul_hi_u32 s10, s18, s10
	s_mul_hi_u32 s21, s18, s17
	s_add_u32 s10, s10, s22
	s_addc_u32 s18, 0, s21
	s_add_u32 s10, s10, s20
	s_mul_hi_u32 s11, s16, s17
	s_addc_u32 s10, s18, s19
	s_addc_u32 s11, s11, 0
	s_mul_i32 s17, s16, s17
	s_add_u32 s10, s10, s17
	s_addc_u32 s11, 0, s11
	v_add_co_u32_e32 v1, vcc, s10, v1
	s_cmp_lg_u64 vcc, 0
	s_addc_u32 s18, s16, s11
	s_ashr_i32 s10, s3, 31
	s_add_u32 s16, s2, s10
	s_mov_b32 s11, s10
	s_addc_u32 s17, s3, s10
	s_xor_b64 s[16:17], s[16:17], s[10:11]
	v_readfirstlane_b32 s20, v1
	s_mul_i32 s19, s16, s18
	s_mul_hi_u32 s21, s16, s20
	s_mul_hi_u32 s3, s16, s18
	s_add_u32 s19, s21, s19
	s_addc_u32 s3, 0, s3
	s_mul_hi_u32 s22, s17, s20
	s_mul_i32 s20, s17, s20
	s_add_u32 s19, s19, s20
	s_mul_hi_u32 s21, s17, s18
	s_addc_u32 s3, s3, s22
	s_addc_u32 s19, s21, 0
	s_mul_i32 s18, s17, s18
	s_add_u32 s3, s3, s18
	s_addc_u32 s18, 0, s19
	s_add_u32 s19, s3, 1
	s_addc_u32 s20, s18, 0
	s_add_u32 s21, s3, 2
	s_mul_i32 s23, s9, s18
	s_mul_hi_u32 s24, s9, s3
	s_addc_u32 s22, s18, 0
	s_add_i32 s24, s24, s23
	s_mul_i32 s23, s9, s3
	v_mov_b32_e32 v1, s23
	v_sub_co_u32_e32 v1, vcc, s16, v1
	s_cmp_lg_u64 vcc, 0
	s_subb_u32 s16, s17, s24
	v_subrev_co_u32_e32 v2, vcc, s9, v1
	s_cmp_lg_u64 vcc, 0
	s_subb_u32 s17, s16, 0
	v_readfirstlane_b32 s23, v2
	s_cmp_ge_u32 s23, s9
	s_cselect_b32 s23, -1, 0
	s_cmp_eq_u32 s17, 0
	s_cselect_b32 s17, s23, -1
	s_cmp_lg_u32 s17, 0
	s_cselect_b32 s17, s22, s20
	v_readfirstlane_b32 s20, v1
	s_cselect_b32 s19, s21, s19
	s_cmp_ge_u32 s20, s9
	s_cselect_b32 s20, -1, 0
	s_cmp_eq_u32 s16, 0
	s_cselect_b32 s16, s20, -1
	s_cmp_lg_u32 s16, 0
	s_cselect_b32 s17, s17, s18
	s_cselect_b32 s16, s19, s3
	s_xor_b64 s[16:17], s[16:17], s[10:11]
	s_sub_u32 s20, s16, s10
	s_load_dwordx4 s[16:19], s[4:5], 0x44
	s_cbranch_execnz .LBB25_3
.LBB25_2:
	v_cvt_f32_u32_e32 v1, s9
	s_sub_i32 s0, 0, s9
	v_rcp_iflag_f32_e32 v1, v1
	v_mul_f32_e32 v1, 0x4f7ffffe, v1
	v_cvt_u32_f32_e32 v1, v1
	v_readfirstlane_b32 s1, v1
	s_mul_i32 s0, s0, s1
	s_mul_hi_u32 s0, s1, s0
	s_add_i32 s1, s1, s0
	s_mul_hi_u32 s0, s2, s1
	s_mul_i32 s3, s0, s9
	s_sub_i32 s2, s2, s3
	s_add_i32 s1, s0, 1
	s_sub_i32 s3, s2, s9
	s_cmp_ge_u32 s2, s9
	s_cselect_b32 s0, s1, s0
	s_cselect_b32 s2, s3, s2
	s_add_i32 s1, s0, 1
	s_cmp_ge_u32 s2, s9
	s_cselect_b32 s20, s1, s0
.LBB25_3:
	s_add_i32 s0, s6, 1
	s_mul_hi_i32 s3, s15, s0
	s_mov_b32 s2, 0
	s_cmp_lg_u64 s[2:3], 0
	s_mul_i32 s2, s15, s0
	s_cbranch_scc0 .LBB25_22
; %bb.4:
	v_cvt_f32_u32_e32 v1, s9
	v_cvt_f32_ubyte0_e32 v2, 0
	s_sub_u32 s10, 0, s9
	s_subb_u32 s11, 0, 0
	v_madmk_f32 v1, v2, 0x4f800000, v1
	v_rcp_f32_e32 v1, v1
	v_mul_f32_e32 v1, 0x5f7ffffc, v1
	v_mul_f32_e32 v2, 0x2f800000, v1
	v_trunc_f32_e32 v2, v2
	v_madmk_f32 v1, v2, 0xcf800000, v1
	v_cvt_u32_f32_e32 v2, v2
	v_cvt_u32_f32_e32 v1, v1
	s_waitcnt lgkmcnt(0)
	v_readfirstlane_b32 s19, v2
	v_readfirstlane_b32 s21, v1
	s_mul_i32 s22, s10, s19
	s_mul_hi_u32 s24, s10, s21
	s_mul_i32 s23, s11, s21
	s_add_i32 s22, s24, s22
	s_add_i32 s22, s22, s23
	s_mul_i32 s25, s10, s21
	s_mul_hi_u32 s23, s21, s22
	s_mul_i32 s24, s21, s22
	s_mul_hi_u32 s21, s21, s25
	s_add_u32 s21, s21, s24
	s_addc_u32 s23, 0, s23
	s_mul_hi_u32 s26, s19, s25
	s_mul_i32 s25, s19, s25
	s_add_u32 s21, s21, s25
	s_mul_hi_u32 s24, s19, s22
	s_addc_u32 s21, s23, s26
	s_addc_u32 s23, s24, 0
	s_mul_i32 s22, s19, s22
	s_add_u32 s21, s21, s22
	s_addc_u32 s22, 0, s23
	v_add_co_u32_e32 v1, vcc, s21, v1
	s_cmp_lg_u64 vcc, 0
	s_addc_u32 s19, s19, s22
	v_readfirstlane_b32 s22, v1
	s_mul_i32 s21, s10, s19
	s_mul_hi_u32 s23, s10, s22
	s_add_i32 s21, s23, s21
	s_mul_i32 s11, s11, s22
	s_add_i32 s21, s21, s11
	s_mul_i32 s10, s10, s22
	s_mul_hi_u32 s23, s19, s10
	s_mul_i32 s24, s19, s10
	s_mul_i32 s26, s22, s21
	s_mul_hi_u32 s10, s22, s10
	s_mul_hi_u32 s25, s22, s21
	s_add_u32 s10, s10, s26
	s_addc_u32 s22, 0, s25
	s_add_u32 s10, s10, s24
	s_mul_hi_u32 s11, s19, s21
	s_addc_u32 s10, s22, s23
	s_addc_u32 s11, s11, 0
	s_mul_i32 s21, s19, s21
	s_add_u32 s10, s10, s21
	s_addc_u32 s11, 0, s11
	v_add_co_u32_e32 v1, vcc, s10, v1
	s_cmp_lg_u64 vcc, 0
	s_addc_u32 s19, s19, s11
	s_ashr_i32 s10, s3, 31
	s_add_u32 s22, s2, s10
	s_mov_b32 s11, s10
	s_addc_u32 s23, s3, s10
	s_xor_b64 s[22:23], s[22:23], s[10:11]
	v_readfirstlane_b32 s21, v1
	s_mul_i32 s11, s22, s19
	s_mul_hi_u32 s24, s22, s21
	s_mul_hi_u32 s3, s22, s19
	s_add_u32 s11, s24, s11
	s_addc_u32 s3, 0, s3
	s_mul_hi_u32 s25, s23, s21
	s_mul_i32 s21, s23, s21
	s_add_u32 s11, s11, s21
	s_mul_hi_u32 s24, s23, s19
	s_addc_u32 s3, s3, s25
	s_addc_u32 s11, s24, 0
	s_mul_i32 s19, s23, s19
	s_add_u32 s3, s3, s19
	s_addc_u32 s11, 0, s11
	s_mul_i32 s11, s9, s11
	s_mul_hi_u32 s24, s9, s3
	s_add_i32 s24, s24, s11
	s_mul_i32 s11, s9, s3
	v_mov_b32_e32 v1, s11
	s_add_u32 s19, s3, 1
	s_add_u32 s21, s3, 2
	v_sub_co_u32_e32 v1, vcc, s22, v1
	s_cmp_lg_u64 vcc, 0
	s_subb_u32 s11, s23, s24
	v_subrev_co_u32_e32 v2, vcc, s9, v1
	s_cmp_lg_u64 vcc, 0
	s_subb_u32 s22, s11, 0
	v_cmp_le_u32_e32 vcc, s9, v2
	s_cmp_eq_u32 s22, 0
	v_cndmask_b32_e64 v2, 0, -1, vcc
	s_cselect_b64 vcc, -1, 0
	v_cndmask_b32_e32 v2, -1, v2, vcc
	v_mov_b32_e32 v3, s19
	v_mov_b32_e32 v4, s21
	v_cmp_ne_u32_e32 vcc, 0, v2
	v_cndmask_b32_e32 v2, v3, v4, vcc
	v_cmp_le_u32_e32 vcc, s9, v1
	s_cmp_eq_u32 s11, 0
	v_cndmask_b32_e64 v1, 0, -1, vcc
	s_cselect_b64 vcc, -1, 0
	v_cndmask_b32_e32 v1, -1, v1, vcc
	v_mov_b32_e32 v3, s3
	v_cmp_ne_u32_e32 vcc, 0, v1
	v_cndmask_b32_e32 v1, v3, v2, vcc
	v_xor_b32_e32 v1, s10, v1
	v_subrev_co_u32_e32 v2, vcc, s10, v1
	s_cbranch_execnz .LBB25_6
.LBB25_5:
	v_cvt_f32_u32_e32 v1, s9
	s_sub_i32 s0, 0, s9
	s_mov_b32 s1, 0
	v_rcp_iflag_f32_e32 v1, v1
	v_mul_f32_e32 v1, 0x4f7ffffe, v1
	v_cvt_u32_f32_e32 v1, v1
	v_readfirstlane_b32 s3, v1
	s_mul_i32 s0, s0, s3
	s_mul_hi_u32 s0, s3, s0
	s_add_i32 s3, s3, s0
	s_mul_hi_u32 s0, s2, s3
	s_mul_i32 s10, s0, s9
	s_sub_i32 s2, s2, s10
	s_add_i32 s3, s0, 1
	s_sub_i32 s10, s2, s9
	s_cmp_ge_u32 s2, s9
	s_cselect_b32 s0, s3, s0
	s_cselect_b32 s2, s10, s2
	s_add_i32 s3, s0, 1
	s_cmp_ge_u32 s2, s9
	s_cselect_b32 s0, s3, s0
	v_pk_mov_b32 v[2:3], s[0:1], s[0:1] op_sel:[0,1]
.LBB25_6:
	s_waitcnt lgkmcnt(0)
	s_mul_hi_u32 s0, s20, s16
	s_add_i32 s0, s0, s20
	v_mul_hi_u32 v1, v2, s16
	s_lshr_b32 s19, s0, s17
	v_add_u32_e32 v1, v1, v2
	s_mul_i32 s0, s19, s18
	v_lshrrev_b32_e32 v1, s17, v1
	s_cmp_eq_u32 s0, s20
	v_cmp_eq_u32_e64 s[0:1], s19, v1
	v_mul_lo_u32 v1, v1, s18
	v_cmp_eq_u32_e32 vcc, s20, v2
	s_cselect_b64 s[10:11], -1, 0
	v_cmp_ne_u32_e64 s[2:3], v1, v2
	s_and_b64 s[0:1], s[0:1], s[2:3]
	s_or_b64 s[2:3], vcc, s[10:11]
	s_or_b64 s[0:1], s[2:3], s[0:1]
	s_and_b64 vcc, exec, s[0:1]
	s_cbranch_vccnz .LBB25_24
; %bb.7:
	s_load_dwordx8 s[24:31], s[4:5], 0x20
	s_load_dword s0, s[4:5], 0x40
	s_mov_b32 s10, 0
	s_waitcnt lgkmcnt(0)
	s_mul_hi_u32 s1, s20, s24
	s_add_i32 s1, s1, s20
	s_lshr_b32 s11, s1, s25
	s_mul_i32 s1, s11, s26
	s_sub_i32 s1, s20, s1
	s_mul_hi_u32 s2, s1, s27
	s_add_i32 s2, s1, s2
	s_lshr_b32 s21, s2, s28
	s_mul_i32 s2, s21, s29
	s_sub_i32 s1, s1, s2
	s_mul_hi_u32 s2, s1, s30
	s_add_i32 s2, s1, s2
	s_lshr_b32 s2, s2, s31
	s_mul_i32 s0, s2, s0
	s_sub_i32 s0, s1, s0
	s_mul_hi_u32 s1, s0, s16
	s_add_i32 s0, s0, s1
	s_lshr_b32 s22, s0, s17
	s_lshl_b32 s23, s2, 2
	s_add_i32 s22, s22, s7
	s_cmp_lt_i32 s22, s12
	s_cselect_b64 s[0:1], -1, 0
	s_add_i32 s23, s23, s8
	s_cmp_lt_i32 s23, s14
	s_cselect_b64 s[2:3], -1, 0
	s_and_b64 s[0:1], s[0:1], s[2:3]
	s_andn2_b64 vcc, exec, s[0:1]
	s_cbranch_vccnz .LBB25_24
; %bb.8:
	s_load_dwordx4 s[0:3], s[4:5], 0x0
	s_lshl_b32 s4, s9, 4
	s_mov_b32 s5, s10
	s_lshl_b64 s[4:5], s[4:5], 2
	s_mul_i32 s24, s21, s14
	s_waitcnt lgkmcnt(0)
	s_add_u32 s14, s2, s4
	s_mul_i32 s11, s11, s12
	s_addc_u32 s21, s3, s5
	s_add_i32 s4, s22, s11
	s_mul_i32 s4, s4, s13
	s_add_i32 s5, s23, s24
	s_add_i32 s5, s5, s4
	v_lshl_or_b32 v2, s5, 8, v0
	v_ashrrev_i32_e32 v3, 31, v2
	v_lshlrev_b64 v[2:3], 2, v[2:3]
	v_mov_b32_e32 v1, s1
	v_add_co_u32_e32 v2, vcc, s0, v2
	v_addc_co_u32_e32 v3, vcc, v1, v3, vcc
	global_load_dword v5, v[2:3], off
	v_lshl_or_b32 v4, s8, 8, v0
	v_cvt_f32_u32_e32 v0, s9
	v_cvt_f32_ubyte0_e32 v1, 0
	s_add_i32 s0, s7, s6
	s_lshl_b32 s0, s0, 2
	v_mac_f32_e32 v0, 0x4f800000, v1
	v_rcp_f32_e32 v0, v0
	v_cvt_f32_u32_e32 v1, s9
	s_add_i32 s0, s0, s8
	s_ashr_i32 s1, s0, 31
	s_lshl_b64 s[0:1], s[0:1], 3
	v_mul_f32_e32 v0, 0x5f7ffffc, v0
	v_rcp_iflag_f32_e32 v1, v1
	s_add_u32 s0, s2, s0
	v_mul_f32_e32 v9, 0x2f800000, v0
	s_addc_u32 s1, s3, s1
	v_trunc_f32_e32 v10, v9
	s_load_dwordx2 s[0:1], s[0:1], 0x0
	v_mac_f32_e32 v0, 0xcf800000, v10
	v_cvt_u32_f32_e32 v9, v0
	v_mul_f32_e32 v0, 0x4f7ffffe, v1
	v_cvt_u32_f32_e32 v10, v10
	v_cvt_u32_f32_e32 v11, v0
	s_add_i32 s13, s6, -1
	s_waitcnt lgkmcnt(0)
	v_mov_b32_e32 v6, s1
	v_mov_b32_e32 v7, s0
	;; [unrolled: 1-line block ×3, first 2 shown]
	s_mov_b32 s6, 0x3fb8aa3b
	s_mov_b32 s12, 0xc2ce8ed0
	;; [unrolled: 1-line block ×4, first 2 shown]
	v_mov_b32_e32 v12, 0x7f800000
	s_mul_hi_i32 s11, s13, s15
	s_cmp_lg_u64 s[10:11], 0
	s_mul_i32 s4, s13, s15
	s_cbranch_scc0 .LBB25_15
.LBB25_9:
	s_sub_u32 s0, 0, s9
	v_readfirstlane_b32 s5, v9
	v_readfirstlane_b32 s25, v10
	s_subb_u32 s1, 0, 0
	s_mul_hi_u32 s24, s0, s5
	s_mul_i32 s26, s0, s25
	s_mul_i32 s23, s1, s5
	s_add_i32 s24, s24, s26
	s_add_i32 s24, s24, s23
	s_mul_i32 s27, s0, s5
	s_mul_hi_u32 s23, s5, s24
	s_mul_i32 s26, s5, s24
	s_mul_hi_u32 s5, s5, s27
	s_add_u32 s5, s5, s26
	s_addc_u32 s23, 0, s23
	s_mul_hi_u32 s28, s25, s27
	s_mul_i32 s27, s25, s27
	s_add_u32 s5, s5, s27
	s_mul_hi_u32 s26, s25, s24
	s_addc_u32 s5, s23, s28
	s_addc_u32 s23, s26, 0
	s_mul_i32 s24, s25, s24
	s_add_u32 s5, s5, s24
	s_addc_u32 s23, 0, s23
	v_add_co_u32_e32 v0, vcc, s5, v9
	s_cmp_lg_u64 vcc, 0
	s_addc_u32 s5, s25, s23
	v_readfirstlane_b32 s24, v0
	s_mul_i32 s23, s0, s5
	s_mul_hi_u32 s25, s0, s24
	s_add_i32 s23, s25, s23
	s_mul_i32 s1, s1, s24
	s_add_i32 s23, s23, s1
	s_mul_i32 s0, s0, s24
	s_mul_hi_u32 s25, s5, s0
	s_mul_i32 s26, s5, s0
	s_mul_i32 s28, s24, s23
	s_mul_hi_u32 s0, s24, s0
	s_mul_hi_u32 s27, s24, s23
	s_add_u32 s0, s0, s28
	s_addc_u32 s24, 0, s27
	s_add_u32 s0, s0, s26
	s_mul_hi_u32 s1, s5, s23
	s_addc_u32 s0, s24, s25
	s_addc_u32 s1, s1, 0
	s_mul_i32 s23, s5, s23
	s_add_u32 s0, s0, s23
	s_addc_u32 s1, 0, s1
	v_add_co_u32_e32 v0, vcc, s0, v0
	s_cmp_lg_u64 vcc, 0
	s_addc_u32 s5, s5, s1
	s_ashr_i32 s0, s11, 31
	s_add_u32 s24, s4, s0
	s_mov_b32 s1, s0
	s_addc_u32 s25, s11, s0
	s_xor_b64 s[24:25], s[24:25], s[0:1]
	v_readfirstlane_b32 s23, v0
	s_mul_i32 s11, s24, s5
	s_mul_hi_u32 s26, s24, s23
	s_mul_hi_u32 s1, s24, s5
	s_add_u32 s11, s26, s11
	s_addc_u32 s1, 0, s1
	s_mul_hi_u32 s27, s25, s23
	s_mul_i32 s23, s25, s23
	s_add_u32 s11, s11, s23
	s_mul_hi_u32 s26, s25, s5
	s_addc_u32 s1, s1, s27
	s_addc_u32 s11, s26, 0
	s_mul_i32 s5, s25, s5
	s_add_u32 s1, s1, s5
	s_addc_u32 s5, 0, s11
	s_mul_i32 s5, s9, s5
	s_mul_hi_u32 s26, s9, s1
	s_add_i32 s26, s26, s5
	s_mul_i32 s5, s9, s1
	v_mov_b32_e32 v0, s5
	s_add_u32 s11, s1, 1
	s_add_u32 s23, s1, 2
	v_sub_co_u32_e32 v0, vcc, s24, v0
	s_cmp_lg_u64 vcc, 0
	s_subb_u32 s5, s25, s26
	v_subrev_co_u32_e32 v1, vcc, s9, v0
	s_cmp_lg_u64 vcc, 0
	s_subb_u32 s24, s5, 0
	v_cmp_le_u32_e32 vcc, s9, v1
	s_cmp_eq_u32 s24, 0
	v_cndmask_b32_e64 v1, 0, -1, vcc
	s_cselect_b64 vcc, -1, 0
	v_cndmask_b32_e32 v1, -1, v1, vcc
	v_mov_b32_e32 v13, s11
	v_mov_b32_e32 v14, s23
	v_cmp_ne_u32_e32 vcc, 0, v1
	v_cndmask_b32_e32 v1, v13, v14, vcc
	v_cmp_le_u32_e32 vcc, s9, v0
	s_cmp_eq_u32 s5, 0
	v_cndmask_b32_e64 v0, 0, -1, vcc
	s_cselect_b64 vcc, -1, 0
	v_cndmask_b32_e32 v0, -1, v0, vcc
	v_mov_b32_e32 v13, s1
	v_cmp_ne_u32_e32 vcc, 0, v0
	v_cndmask_b32_e32 v0, v13, v1, vcc
	v_xor_b32_e32 v0, s0, v0
	v_subrev_co_u32_e32 v0, vcc, s0, v0
	s_cbranch_execnz .LBB25_11
.LBB25_10:
	s_sub_i32 s0, 0, s9
	v_mul_lo_u32 v0, s0, v11
	v_mul_hi_u32 v0, v11, v0
	v_add_u32_e32 v0, v11, v0
	v_mul_hi_u32 v0, s4, v0
	v_mul_lo_u32 v13, v0, s9
	v_sub_u32_e32 v13, s4, v13
	v_add_u32_e32 v1, 1, v0
	v_subrev_u32_e32 v14, s9, v13
	v_cmp_le_u32_e32 vcc, s9, v13
	v_cndmask_b32_e32 v13, v13, v14, vcc
	v_cndmask_b32_e32 v0, v0, v1, vcc
	v_add_u32_e32 v1, 1, v0
	v_cmp_le_u32_e32 vcc, s9, v13
	v_cndmask_b32_e32 v0, v0, v1, vcc
.LBB25_11:
	v_cmp_ne_u32_e32 vcc, v8, v0
	s_cbranch_vccz .LBB25_14
; %bb.12:
	s_add_i32 s23, s13, s7
	s_add_i32 s0, s23, s9
	s_lshl_b32 s0, s0, 2
	v_mul_hi_u32 v1, v0, s16
	s_add_i32 s0, s0, s8
	s_mov_b32 s1, s10
	v_add_u32_e32 v1, v1, v0
	s_lshl_b64 s[0:1], s[0:1], 3
	v_lshrrev_b32_e32 v1, s17, v1
	s_add_u32 s4, s2, s0
	v_mul_lo_u32 v13, v1, s18
	s_addc_u32 s5, s3, s1
	v_cmp_eq_u32_e32 vcc, v13, v0
	v_cmp_gt_u32_e64 s[0:1], s19, v1
	s_or_b64 s[0:1], s[0:1], vcc
	s_and_b64 vcc, exec, s[0:1]
	s_cbranch_vccnz .LBB25_16
; %bb.13:
	s_add_i32 s11, s13, -1
	s_mov_b64 s[0:1], 0
	s_branch .LBB25_17
.LBB25_14:
                                        ; implicit-def: $sgpr0_sgpr1
                                        ; implicit-def: $vgpr14
                                        ; implicit-def: $vgpr1
                                        ; implicit-def: $vgpr13
                                        ; implicit-def: $sgpr11
                                        ; implicit-def: $vgpr0
	s_branch .LBB25_18
.LBB25_15:
                                        ; implicit-def: $vgpr0_vgpr1
	s_branch .LBB25_10
.LBB25_16:
	s_mov_b64 s[0:1], -1
	s_mov_b32 s11, s13
	v_mov_b32_e32 v0, v8
.LBB25_17:
	v_lshl_add_u32 v14, s23, 10, v4
	v_ashrrev_i32_e32 v15, 31, v14
	v_lshlrev_b64 v[14:15], 2, v[14:15]
	v_mov_b32_e32 v1, s21
	v_add_co_u32_e32 v14, vcc, s14, v14
	v_addc_co_u32_e32 v15, vcc, v1, v15, vcc
	global_load_dword v14, v[14:15], off
	s_load_dwordx2 s[4:5], s[4:5], 0x0
	v_max_f32_e32 v1, v7, v7
	s_waitcnt lgkmcnt(0)
	v_max_f32_e64 v13, s4, s4
	v_max_f32_e32 v1, v1, v13
	v_sub_f32_e32 v13, v7, v1
	v_sub_f32_e32 v15, s4, v1
	v_mul_f32_e32 v16, 0x3fb8aa3b, v13
	v_mul_f32_e32 v17, 0x3fb8aa3b, v15
	v_fma_f32 v18, v13, s6, -v16
	v_rndne_f32_e32 v19, v16
	v_fma_f32 v20, v15, s6, -v17
	v_rndne_f32_e32 v21, v17
	v_fmac_f32_e32 v18, 0x32a5705f, v13
	v_sub_f32_e32 v16, v16, v19
	v_fmac_f32_e32 v20, 0x32a5705f, v15
	v_sub_f32_e32 v17, v17, v21
	v_add_f32_e32 v16, v16, v18
	v_cvt_i32_f32_e32 v19, v19
	v_add_f32_e32 v17, v17, v20
	v_exp_f32_e32 v16, v16
	v_cvt_i32_f32_e32 v21, v21
	v_exp_f32_e32 v17, v17
	v_cmp_ngt_f32_e32 vcc, s12, v13
	v_ldexp_f32 v16, v16, v19
	v_cndmask_b32_e32 v16, 0, v16, vcc
	v_ldexp_f32 v17, v17, v21
	v_cmp_ngt_f32_e32 vcc, s12, v15
	v_cndmask_b32_e32 v17, 0, v17, vcc
	v_cmp_nlt_f32_e32 vcc, s20, v13
	v_cndmask_b32_e32 v16, v12, v16, vcc
	v_cmp_nlt_f32_e32 vcc, s20, v15
	v_cndmask_b32_e32 v17, v12, v17, vcc
	v_cmp_le_f32_e32 vcc, s22, v13
	v_cndmask_b32_e32 v16, 0, v16, vcc
	v_cmp_le_f32_e32 vcc, s22, v15
	v_cndmask_b32_e32 v15, 0, v17, vcc
	v_mul_f32_e32 v13, s5, v15
	v_fmac_f32_e32 v13, v6, v16
	s_waitcnt vmcnt(0)
	v_mul_f32_e32 v14, v14, v15
	v_fmac_f32_e32 v14, v5, v16
	s_cbranch_execnz .LBB25_19
.LBB25_18:
	s_add_i32 s11, s13, -1
	s_mov_b64 s[0:1], 0
	v_mov_b32_e32 v0, v8
	v_mov_b32_e32 v13, v6
	;; [unrolled: 1-line block ×3, first 2 shown]
	s_waitcnt vmcnt(0)
	v_mov_b32_e32 v14, v5
.LBB25_19:
	s_andn2_b64 vcc, exec, s[0:1]
	s_cbranch_vccz .LBB25_23
; %bb.20:
	v_mov_b32_e32 v8, v0
	s_mov_b32 s13, s11
	v_mov_b32_e32 v6, v13
	v_mov_b32_e32 v7, v1
	s_waitcnt vmcnt(0)
	v_mov_b32_e32 v5, v14
	s_mul_hi_i32 s11, s13, s15
	s_cmp_lg_u64 s[10:11], 0
	s_mul_i32 s4, s13, s15
	s_cbranch_scc1 .LBB25_9
	s_branch .LBB25_15
.LBB25_21:
                                        ; implicit-def: $sgpr20_sgpr21
	s_load_dwordx4 s[16:19], s[4:5], 0x44
	s_branch .LBB25_2
.LBB25_22:
                                        ; implicit-def: $vgpr2_vgpr3
	s_branch .LBB25_5
.LBB25_23:
	v_div_scale_f32 v0, s[0:1], v13, v13, v14
	v_rcp_f32_e32 v1, v0
	v_div_scale_f32 v4, vcc, v14, v13, v14
	s_waitcnt vmcnt(0)
	v_fma_f32 v5, -v0, v1, 1.0
	v_fmac_f32_e32 v1, v5, v1
	v_mul_f32_e32 v5, v4, v1
	v_fma_f32 v6, -v0, v5, v4
	v_fmac_f32_e32 v5, v6, v1
	v_fma_f32 v0, -v0, v5, v4
	v_div_fmas_f32 v0, v0, v1, v5
	v_div_fixup_f32 v0, v0, v13, v14
	global_store_dword v[2:3], v0, off
.LBB25_24:
	s_endpgm
	.section	.rodata,"a",@progbits
	.p2align	6, 0x0
	.amdhsa_kernel _ZL33flash_attn_stream_k_fixup_generalILi256ELi1ELi4EEvPfPK15HIP_vector_typeIfLj2EEiiiiS1_IjLj3EES5_S5_S5_
		.amdhsa_group_segment_fixed_size 0
		.amdhsa_private_segment_fixed_size 0
		.amdhsa_kernarg_size 336
		.amdhsa_user_sgpr_count 6
		.amdhsa_user_sgpr_private_segment_buffer 1
		.amdhsa_user_sgpr_dispatch_ptr 0
		.amdhsa_user_sgpr_queue_ptr 0
		.amdhsa_user_sgpr_kernarg_segment_ptr 1
		.amdhsa_user_sgpr_dispatch_id 0
		.amdhsa_user_sgpr_flat_scratch_init 0
		.amdhsa_user_sgpr_kernarg_preload_length 0
		.amdhsa_user_sgpr_kernarg_preload_offset 0
		.amdhsa_user_sgpr_private_segment_size 0
		.amdhsa_uses_dynamic_stack 0
		.amdhsa_system_sgpr_private_segment_wavefront_offset 0
		.amdhsa_system_sgpr_workgroup_id_x 1
		.amdhsa_system_sgpr_workgroup_id_y 1
		.amdhsa_system_sgpr_workgroup_id_z 1
		.amdhsa_system_sgpr_workgroup_info 0
		.amdhsa_system_vgpr_workitem_id 0
		.amdhsa_next_free_vgpr 22
		.amdhsa_next_free_sgpr 32
		.amdhsa_accum_offset 24
		.amdhsa_reserve_vcc 1
		.amdhsa_reserve_flat_scratch 0
		.amdhsa_float_round_mode_32 0
		.amdhsa_float_round_mode_16_64 0
		.amdhsa_float_denorm_mode_32 3
		.amdhsa_float_denorm_mode_16_64 3
		.amdhsa_dx10_clamp 1
		.amdhsa_ieee_mode 1
		.amdhsa_fp16_overflow 0
		.amdhsa_tg_split 0
		.amdhsa_exception_fp_ieee_invalid_op 0
		.amdhsa_exception_fp_denorm_src 0
		.amdhsa_exception_fp_ieee_div_zero 0
		.amdhsa_exception_fp_ieee_overflow 0
		.amdhsa_exception_fp_ieee_underflow 0
		.amdhsa_exception_fp_ieee_inexact 0
		.amdhsa_exception_int_div_zero 0
	.end_amdhsa_kernel
	.section	.text._ZL33flash_attn_stream_k_fixup_generalILi256ELi1ELi4EEvPfPK15HIP_vector_typeIfLj2EEiiiiS1_IjLj3EES5_S5_S5_,"axG",@progbits,_ZL33flash_attn_stream_k_fixup_generalILi256ELi1ELi4EEvPfPK15HIP_vector_typeIfLj2EEiiiiS1_IjLj3EES5_S5_S5_,comdat
.Lfunc_end25:
	.size	_ZL33flash_attn_stream_k_fixup_generalILi256ELi1ELi4EEvPfPK15HIP_vector_typeIfLj2EEiiiiS1_IjLj3EES5_S5_S5_, .Lfunc_end25-_ZL33flash_attn_stream_k_fixup_generalILi256ELi1ELi4EEvPfPK15HIP_vector_typeIfLj2EEiiiiS1_IjLj3EES5_S5_S5_
                                        ; -- End function
	.section	.AMDGPU.csdata,"",@progbits
; Kernel info:
; codeLenInByte = 2804
; NumSgprs: 36
; NumVgprs: 22
; NumAgprs: 0
; TotalNumVgprs: 22
; ScratchSize: 0
; MemoryBound: 0
; FloatMode: 240
; IeeeMode: 1
; LDSByteSize: 0 bytes/workgroup (compile time only)
; SGPRBlocks: 4
; VGPRBlocks: 2
; NumSGPRsForWavesPerEU: 36
; NumVGPRsForWavesPerEU: 22
; AccumOffset: 24
; Occupancy: 8
; WaveLimiterHint : 0
; COMPUTE_PGM_RSRC2:SCRATCH_EN: 0
; COMPUTE_PGM_RSRC2:USER_SGPR: 6
; COMPUTE_PGM_RSRC2:TRAP_HANDLER: 0
; COMPUTE_PGM_RSRC2:TGID_X_EN: 1
; COMPUTE_PGM_RSRC2:TGID_Y_EN: 1
; COMPUTE_PGM_RSRC2:TGID_Z_EN: 1
; COMPUTE_PGM_RSRC2:TIDIG_COMP_CNT: 0
; COMPUTE_PGM_RSRC3_GFX90A:ACCUM_OFFSET: 5
; COMPUTE_PGM_RSRC3_GFX90A:TG_SPLIT: 0
	.section	.text._ZL15flash_attn_tileILi256ELi256ELi16ELi2ELb0EEvPKcS1_S1_S1_S1_PKiPfP15HIP_vector_typeIfLj2EEffffjfiS5_IjLj3EEiiiiiiiiiiiliiliiiiil,"axG",@progbits,_ZL15flash_attn_tileILi256ELi256ELi16ELi2ELb0EEvPKcS1_S1_S1_S1_PKiPfP15HIP_vector_typeIfLj2EEffffjfiS5_IjLj3EEiiiiiiiiiiiliiliiiiil,comdat
	.globl	_ZL15flash_attn_tileILi256ELi256ELi16ELi2ELb0EEvPKcS1_S1_S1_S1_PKiPfP15HIP_vector_typeIfLj2EEffffjfiS5_IjLj3EEiiiiiiiiiiiliiliiiiil ; -- Begin function _ZL15flash_attn_tileILi256ELi256ELi16ELi2ELb0EEvPKcS1_S1_S1_S1_PKiPfP15HIP_vector_typeIfLj2EEffffjfiS5_IjLj3EEiiiiiiiiiiiliiliiiiil
	.p2align	8
	.type	_ZL15flash_attn_tileILi256ELi256ELi16ELi2ELb0EEvPKcS1_S1_S1_S1_PKiPfP15HIP_vector_typeIfLj2EEffffjfiS5_IjLj3EEiiiiiiiiiiiliiliiiiil,@function
_ZL15flash_attn_tileILi256ELi256ELi16ELi2ELb0EEvPKcS1_S1_S1_S1_PKiPfP15HIP_vector_typeIfLj2EEffffjfiS5_IjLj3EEiiiiiiiiiiiliiliiiiil: ; @_ZL15flash_attn_tileILi256ELi256ELi16ELi2ELb0EEvPKcS1_S1_S1_S1_PKiPfP15HIP_vector_typeIfLj2EEffffjfiS5_IjLj3EEiiiiiiiiiiiliiliiiiil
; %bb.0:
	s_load_dwordx4 s[28:31], s[4:5], 0x5c
	s_load_dwordx2 s[36:37], s[4:5], 0x80
	s_load_dwordx16 s[12:27], s[4:5], 0x0
	s_mov_b64 s[38:39], 0
	s_waitcnt lgkmcnt(0)
	s_lshr_b32 s0, s31, 31
	s_add_i32 s0, s31, s0
	s_ashr_i32 s0, s0, 1
	v_cvt_f32_u32_e32 v1, s0
	s_sub_i32 s1, 0, s0
	v_rcp_iflag_f32_e32 v1, v1
	v_mul_f32_e32 v1, 0x4f7ffffe, v1
	v_cvt_u32_f32_e32 v1, v1
	v_readfirstlane_b32 s2, v1
	s_mul_i32 s1, s1, s2
	s_mul_hi_u32 s1, s2, s1
	s_add_i32 s2, s2, s1
	s_mul_hi_u32 s1, s8, s2
	s_mul_i32 s2, s1, s0
	s_sub_i32 s2, s8, s2
	s_add_i32 s3, s1, 1
	s_sub_i32 s9, s2, s0
	s_cmp_ge_u32 s2, s0
	s_cselect_b32 s1, s3, s1
	s_cselect_b32 s2, s9, s2
	s_add_i32 s3, s1, 1
	s_cmp_ge_u32 s2, s0
	s_cselect_b32 s33, s3, s1
	s_abs_i32 s0, s37
	v_cvt_f32_u32_e32 v1, s0
	s_lshl_b32 s1, s8, 1
	s_mul_i32 s8, s33, s31
	s_sub_i32 s9, 0, s0
	v_rcp_iflag_f32_e32 v1, v1
	s_sub_i32 s34, s1, s8
	s_abs_i32 s3, s31
	s_xor_b32 s2, s31, s37
	v_mul_f32_e32 v1, 0x4f7ffffe, v1
	v_cvt_u32_f32_e32 v1, v1
	s_ashr_i32 s2, s2, 31
	v_readfirstlane_b32 s1, v1
	s_mul_i32 s9, s9, s1
	s_mul_hi_u32 s8, s1, s9
	s_add_i32 s1, s1, s8
	s_mul_hi_u32 s1, s3, s1
	s_mul_i32 s8, s1, s0
	s_sub_i32 s3, s3, s8
	s_add_i32 s9, s1, 1
	s_sub_i32 s8, s3, s0
	s_cmp_ge_u32 s3, s0
	s_cselect_b32 s1, s9, s1
	s_cselect_b32 s3, s8, s3
	s_add_i32 s8, s1, 1
	s_cmp_ge_u32 s3, s0
	s_cselect_b32 s0, s8, s1
	s_xor_b32 s0, s0, s2
	s_sub_i32 s11, s0, s2
	s_abs_i32 s10, s11
	v_cvt_f32_u32_e32 v1, s10
	s_load_dwordx2 s[8:9], s[4:5], 0xb8
	s_cmp_eq_u64 s[18:19], 0
	v_rcp_iflag_f32_e32 v1, v1
	v_mul_f32_e32 v1, 0x4f7ffffe, v1
	v_cvt_u32_f32_e32 v1, v1
	v_readfirstlane_b32 s35, v1
	s_cbranch_scc1 .LBB26_2
; %bb.1:
	s_waitcnt lgkmcnt(0)
	s_abs_i32 s2, s8
	v_cvt_f32_u32_e32 v1, s2
	s_sub_i32 s37, 0, s2
	s_abs_i32 s8, s33
	s_ashr_i32 s3, s33, 31
	v_rcp_iflag_f32_e32 v1, v1
	s_load_dwordx2 s[0:1], s[4:5], 0xc8
	v_mul_f32_e32 v1, 0x4f7ffffe, v1
	v_cvt_u32_f32_e32 v1, v1
	v_readfirstlane_b32 s38, v1
	s_mul_i32 s37, s37, s38
	s_mul_hi_u32 s37, s38, s37
	s_add_i32 s38, s38, s37
	s_mul_hi_u32 s37, s8, s38
	s_mul_i32 s37, s37, s2
	s_sub_i32 s8, s8, s37
	s_sub_i32 s37, s8, s2
	s_cmp_ge_u32 s8, s2
	s_cselect_b32 s8, s37, s8
	s_sub_i32 s37, s8, s2
	s_cmp_ge_u32 s8, s2
	s_cselect_b32 s2, s37, s8
	s_xor_b32 s2, s2, s3
	s_sub_i32 s2, s2, s3
	s_ashr_i32 s3, s2, 31
	s_waitcnt lgkmcnt(0)
	s_mul_i32 s1, s2, s1
	s_mul_hi_u32 s8, s2, s0
	s_add_i32 s1, s8, s1
	s_mul_i32 s3, s3, s0
	s_add_i32 s1, s1, s3
	s_mul_i32 s2, s2, s0
	s_add_u32 s38, s18, s2
	s_addc_u32 s39, s19, s1
.LBB26_2:
	s_load_dwordx4 s[0:3], s[4:5], 0x70
	v_bfe_u32 v4, v0, 10, 10
	s_lshl_b32 s37, s6, 4
	v_lshlrev_b32_e32 v117, 1, v4
	v_add_u32_e32 v119, s37, v117
	s_waitcnt lgkmcnt(0)
	s_mul_i32 s2, s33, s2
	s_ashr_i32 s8, s2, 31
	v_and_b32_e32 v118, 0x3ff, v0
	v_mul_hi_u32 v0, v119, s28
	s_mul_i32 s3, s34, s1
	s_add_u32 s2, s12, s2
	v_add_u32_e32 v0, v119, v0
	s_addc_u32 s8, s13, s8
	s_ashr_i32 s12, s3, 31
	v_lshrrev_b32_e32 v0, s29, v0
	s_add_u32 s13, s2, s3
	v_mul_lo_u32 v0, v0, s30
	s_addc_u32 s8, s8, s12
	s_ashr_i32 s18, s0, 31
	v_sub_u32_e32 v5, v119, v0
	v_mov_b32_e32 v0, s0
	v_alignbit_b32 v29, s18, v0, 2
	v_mad_u64_u32 v[0:1], s[2:3], v29, v5, 0
	v_mov_b32_e32 v2, v1
	s_lshr_b32 s18, s18, 2
	v_mad_u64_u32 v[2:3], s[2:3], s18, v5, v[2:3]
	v_mov_b32_e32 v1, v2
	v_lshlrev_b64 v[6:7], 2, v[0:1]
	v_mov_b32_e32 v0, s8
	v_add_co_u32_e32 v1, vcc, s13, v6
	s_ashr_i32 s12, s1, 31
	v_addc_co_u32_e32 v0, vcc, v0, v7, vcc
	v_lshlrev_b32_e32 v30, 4, v118
	s_and_b32 s0, s1, -4
	v_add_co_u32_e32 v12, vcc, v1, v30
	s_add_u32 s2, s13, s0
	v_addc_co_u32_e32 v13, vcc, 0, v0, vcc
	s_addc_u32 s3, s8, s12
	v_lshlrev_b32_e32 v28, 2, v4
	global_load_dwordx4 v[0:3], v[12:13], off
	global_load_dwordx4 v[8:11], v[12:13], off offset:512
	v_mov_b32_e32 v12, s3
	v_add_co_u32_e32 v6, vcc, s2, v6
	v_addc_co_u32_e32 v7, vcc, v12, v7, vcc
	v_or_b32_e32 v36, 2, v28
	v_add_co_u32_e32 v6, vcc, v6, v30
	v_lshrrev_b32_e32 v114, 1, v36
	v_addc_co_u32_e32 v7, vcc, 0, v7, vcc
	v_add_u32_e32 v115, s37, v114
	global_load_dwordx4 v[12:15], v[6:7], off
	global_load_dwordx4 v[16:19], v[6:7], off offset:512
	v_mul_hi_u32 v6, v115, s28
	v_add_u32_e32 v6, v115, v6
	v_lshrrev_b32_e32 v6, s29, v6
	v_mul_lo_u32 v6, v6, s30
	v_sub_u32_e32 v21, v115, v6
	v_mad_u64_u32 v[6:7], s[0:1], v29, v21, 0
	v_mov_b32_e32 v20, v7
	v_mad_u64_u32 v[20:21], s[0:1], s18, v21, v[20:21]
	v_mov_b32_e32 v7, v20
	v_lshlrev_b64 v[6:7], 2, v[6:7]
	v_mov_b32_e32 v20, s8
	v_add_co_u32_e32 v6, vcc, s13, v6
	v_addc_co_u32_e32 v7, vcc, v20, v7, vcc
	v_or_b32_e32 v37, 3, v28
	v_add_co_u32_e32 v6, vcc, v6, v30
	v_lshrrev_b32_e32 v112, 1, v37
	v_addc_co_u32_e32 v7, vcc, 0, v7, vcc
	v_add_u32_e32 v113, s37, v112
	global_load_dwordx4 v[20:23], v[6:7], off
	global_load_dwordx4 v[24:27], v[6:7], off offset:512
	v_mul_hi_u32 v6, v113, s28
	v_add_u32_e32 v6, v113, v6
	v_lshrrev_b32_e32 v6, s29, v6
	v_mul_lo_u32 v6, v6, s30
	v_sub_u32_e32 v31, v113, v6
	v_mad_u64_u32 v[6:7], s[0:1], v29, v31, 0
	v_mov_b32_e32 v28, v7
	v_mad_u64_u32 v[28:29], s[0:1], s18, v31, v[28:29]
	v_mov_b32_e32 v7, v28
	v_lshlrev_b64 v[6:7], 2, v[6:7]
	v_mov_b32_e32 v28, s3
	v_add_co_u32_e32 v6, vcc, s2, v6
	v_addc_co_u32_e32 v7, vcc, v28, v7, vcc
	v_add_co_u32_e32 v6, vcc, v6, v30
	v_addc_co_u32_e32 v7, vcc, 0, v7, vcc
	global_load_dwordx4 v[28:31], v[6:7], off
	global_load_dwordx4 v[32:35], v[6:7], off offset:512
	s_load_dword s0, s[4:5], 0x40
	v_lshlrev_b32_e32 v6, 3, v118
	v_lshl_or_b32 v42, v4, 11, v6
	v_lshlrev_b32_e32 v7, 1, v118
	s_cmp_eq_u64 s[22:23], 0
	s_waitcnt vmcnt(7) lgkmcnt(0)
	v_pk_mul_f32 v[0:1], v[0:1], s[0:1] op_sel_hi:[1,0]
	v_cvt_f16_f32_e32 v38, v1
	v_cvt_f16_f32_e32 v39, v0
	v_pk_mul_f32 v[0:1], v[2:3], s[0:1] op_sel_hi:[1,0]
	v_cvt_f16_f32_e32 v40, v1
	v_cvt_f16_f32_e32 v41, v0
	s_waitcnt vmcnt(6)
	v_pk_mul_f32 v[0:1], v[8:9], s[0:1] op_sel_hi:[1,0]
	v_pk_mul_f32 v[2:3], v[10:11], s[0:1] op_sel_hi:[1,0]
	v_cvt_f16_f32_e32 v8, v1
	v_cvt_f16_f32_e32 v3, v3
	v_cvt_f16_f32_e32 v2, v2
	v_cvt_f16_f32_e32 v9, v0
	v_pack_b32_f16 v1, v41, v40
	v_pack_b32_f16 v0, v39, v38
	;; [unrolled: 1-line block ×4, first 2 shown]
	ds_write2_b64 v42, v[0:1], v[2:3] offset1:32
	s_waitcnt vmcnt(5)
	v_pk_mul_f32 v[0:1], v[12:13], s[0:1] op_sel_hi:[1,0]
	v_cvt_f16_f32_e32 v8, v1
	v_cvt_f16_f32_e32 v9, v0
	v_pk_mul_f32 v[0:1], v[14:15], s[0:1] op_sel_hi:[1,0]
	v_cvt_f16_f32_e32 v10, v1
	v_cvt_f16_f32_e32 v11, v0
	s_waitcnt vmcnt(4)
	v_pk_mul_f32 v[0:1], v[16:17], s[0:1] op_sel_hi:[1,0]
	v_pk_mul_f32 v[2:3], v[18:19], s[0:1] op_sel_hi:[1,0]
	v_cvt_f16_f32_e32 v12, v1
	v_cvt_f16_f32_e32 v3, v3
	;; [unrolled: 1-line block ×4, first 2 shown]
	v_pack_b32_f16 v1, v11, v10
	v_pack_b32_f16 v0, v9, v8
	;; [unrolled: 1-line block ×4, first 2 shown]
	ds_write2_b64 v42, v[0:1], v[2:3] offset0:64 offset1:96
	v_lshlrev_b32_e32 v2, 7, v36
	v_add_lshl_u32 v12, v2, v7, 2
	s_waitcnt vmcnt(3)
	v_pk_mul_f32 v[0:1], v[20:21], s[0:1] op_sel_hi:[1,0]
	v_cvt_f16_f32_e32 v8, v1
	v_cvt_f16_f32_e32 v9, v0
	v_pk_mul_f32 v[0:1], v[22:23], s[0:1] op_sel_hi:[1,0]
	v_cvt_f16_f32_e32 v10, v1
	v_cvt_f16_f32_e32 v11, v0
	s_waitcnt vmcnt(2)
	v_pk_mul_f32 v[0:1], v[24:25], s[0:1] op_sel_hi:[1,0]
	v_pk_mul_f32 v[2:3], v[26:27], s[0:1] op_sel_hi:[1,0]
	v_cvt_f16_f32_e32 v13, v1
	v_cvt_f16_f32_e32 v3, v3
	;; [unrolled: 1-line block ×4, first 2 shown]
	v_pack_b32_f16 v1, v11, v10
	v_pack_b32_f16 v0, v9, v8
	;; [unrolled: 1-line block ×4, first 2 shown]
	ds_write2_b64 v12, v[0:1], v[2:3] offset1:32
	v_lshlrev_b32_e32 v2, 7, v37
	v_add_lshl_u32 v7, v2, v7, 2
	s_waitcnt vmcnt(1)
	v_pk_mul_f32 v[0:1], v[28:29], s[0:1] op_sel_hi:[1,0]
	v_cvt_f16_f32_e32 v8, v1
	v_cvt_f16_f32_e32 v9, v0
	v_pk_mul_f32 v[0:1], v[30:31], s[0:1] op_sel_hi:[1,0]
	v_cvt_f16_f32_e32 v10, v1
	v_cvt_f16_f32_e32 v11, v0
	s_waitcnt vmcnt(0)
	v_pk_mul_f32 v[0:1], v[32:33], s[0:1] op_sel_hi:[1,0]
	v_pk_mul_f32 v[2:3], v[34:35], s[0:1] op_sel_hi:[1,0]
	v_cvt_f16_f32_e32 v12, v1
	v_cvt_f16_f32_e32 v3, v3
	;; [unrolled: 1-line block ×4, first 2 shown]
	v_pack_b32_f16 v1, v11, v10
	v_pack_b32_f16 v0, v9, v8
	;; [unrolled: 1-line block ×4, first 2 shown]
	ds_write2_b64 v7, v[0:1], v[2:3] offset1:32
	s_waitcnt lgkmcnt(0)
	s_barrier
	s_cbranch_scc1 .LBB26_4
; %bb.3:
	s_load_dword s0, s[4:5], 0xd0
	s_mov_b32 s1, 0
	s_waitcnt lgkmcnt(0)
	s_mul_i32 s0, s0, s33
	s_add_i32 s0, s0, s6
	s_lshl_b64 s[0:1], s[0:1], 2
	s_add_u32 s0, s22, s0
	s_addc_u32 s1, s23, s1
	s_load_dword s36, s[0:1], 0x0
.LBB26_4:
	s_lshl_b32 s22, s7, 5
	v_lshlrev_b32_e32 v116, 2, v118
	s_waitcnt lgkmcnt(0)
	s_cmp_lt_i32 s22, s36
	v_mbcnt_lo_u32_b32 v7, -1, 0
	s_cbranch_scc1 .LBB26_6
; %bb.5:
	v_mbcnt_hi_u32_b32 v120, -1, v7
	v_and_b32_e32 v0, 0x60, v120
	s_mov_b32 s2, 0
	v_add_u32_e32 v121, 32, v0
	v_xor_b32_e32 v124, 16, v120
	v_xor_b32_e32 v125, 8, v120
	;; [unrolled: 1-line block ×5, first 2 shown]
	s_mov_b64 s[0:1], 0
	s_mov_b32 s3, 0xfeffffff
	s_branch .LBB26_7
.LBB26_6:
	s_mov_b64 s[0:1], -1
                                        ; implicit-def: $sgpr3
                                        ; implicit-def: $sgpr2
                                        ; implicit-def: $vgpr120
                                        ; implicit-def: $vgpr121
                                        ; implicit-def: $vgpr124
                                        ; implicit-def: $vgpr125
                                        ; implicit-def: $vgpr126
                                        ; implicit-def: $vgpr123
                                        ; implicit-def: $vgpr122
.LBB26_7:
	s_andn2_b64 vcc, exec, s[0:1]
	v_mov_b32_e32 v3, s3
	v_mov_b32_e32 v101, s2
	;; [unrolled: 1-line block ×24, first 2 shown]
	s_cbranch_vccnz .LBB26_10
; %bb.8:
	s_sub_i32 s0, 0, s10
	s_mul_i32 s0, s0, s35
	s_mul_hi_u32 s0, s35, s0
	s_add_i32 s35, s35, s0
	s_load_dwordx2 s[12:13], s[4:5], 0x8c
	s_load_dwordx4 s[0:3], s[4:5], 0x98
	s_abs_i32 s6, s34
	s_mul_hi_u32 s8, s6, s35
	s_ashr_i32 s40, s34, 31
	s_waitcnt lgkmcnt(0)
	s_ashr_i32 s35, s12, 2
	s_ashr_i32 s23, s2, 2
	;; [unrolled: 1-line block ×4, first 2 shown]
	s_mul_i32 s1, s33, s1
	s_mul_hi_u32 s12, s33, s0
	s_add_i32 s1, s12, s1
	s_mul_i32 s12, s9, s0
	s_ashr_i32 s11, s11, 31
	s_add_i32 s1, s1, s12
	s_mul_i32 s0, s33, s0
	s_add_u32 s0, s14, s0
	s_mul_i32 s12, s8, s10
	s_addc_u32 s1, s15, s1
	s_sub_i32 s6, s6, s12
	s_xor_b32 s11, s40, s11
	s_add_i32 s12, s8, 1
	s_sub_i32 s14, s6, s10
	s_cmp_ge_u32 s6, s10
	s_cselect_b32 s8, s12, s8
	s_cselect_b32 s6, s14, s6
	s_add_i32 s12, s8, 1
	s_cmp_ge_u32 s6, s10
	s_cselect_b32 s6, s12, s8
	s_load_dwordx2 s[18:19], s[4:5], 0xa8
	s_xor_b32 s6, s6, s11
	s_sub_i32 s6, s6, s11
	s_mul_i32 s8, s6, s13
	s_ashr_i32 s10, s8, 31
	s_add_u32 s40, s0, s8
	s_addc_u32 s41, s1, s10
	s_waitcnt lgkmcnt(0)
	s_mul_i32 s0, s33, s19
	s_mul_hi_u32 s1, s33, s18
	s_add_i32 s0, s1, s0
	s_mul_i32 s9, s9, s18
	s_add_i32 s0, s0, s9
	s_mul_i32 s1, s33, s18
	s_add_u32 s1, s16, s1
	s_mul_i32 s6, s6, s3
	s_addc_u32 s0, s17, s0
	s_ashr_i32 s3, s6, 31
	s_add_u32 s42, s1, s6
	v_lshrrev_b32_e32 v0, 4, v118
	v_and_b32_e32 v2, 60, v116
	s_addc_u32 s43, s0, s3
	v_add_u32_e32 v0, v0, v117
	v_lshlrev_b32_e32 v1, 2, v2
	s_movk_i32 s0, 0x110
	v_mad_u32_u24 v1, v0, s0, v1
	v_mul_lo_u32 v8, s35, v0
	v_mov_b32_e32 v0, 0x4000
	v_mad_u32_u24 v129, v118, s0, v0
	v_add3_u32 v0, s37, v117, 1
	v_add_u32_e32 v127, 0x4000, v1
	v_add_u32_e32 v128, 0x5100, v1
	v_mul_hi_u32 v1, s28, v0
	v_add_u32_e32 v1, v0, v1
	v_lshrrev_b32_e32 v1, s29, v1
	v_mul_lo_u32 v1, v1, s30
	v_sub_u32_e32 v0, v0, v1
	v_mul_lo_u32 v132, v0, s2
	v_mov_b32_e32 v0, 0x6200
	v_lshlrev_b32_e32 v134, 2, v116
	v_lshlrev_b32_e32 v130, 11, v4
	v_lshl_add_u32 v133, v4, 8, v0
	v_lshl_add_u32 v0, v4, 9, v134
	v_mul_lo_u32 v4, s23, v4
	v_lshl_add_u32 v10, s35, 4, v8
	v_lshl_add_u32 v12, s23, 3, v4
	v_mbcnt_hi_u32_b32 v120, -1, v7
	v_mov_b32_e32 v20, 0
	v_ashrrev_i32_e32 v9, 31, v8
	v_ashrrev_i32_e32 v11, 31, v10
	v_mul_lo_u32 v131, v5, s2
	v_add_u32_e32 v135, 0x4000, v0
	v_ashrrev_i32_e32 v5, 31, v4
	v_add_u32_e32 v136, 0x5000, v0
	v_ashrrev_i32_e32 v13, 31, v12
	s_add_u32 s18, s4, 0xd0
	v_mov_b32_e32 v0, 0xfeffffff
	v_and_b32_e32 v1, 0x60, v120
	s_addc_u32 s19, s5, 0
	v_lshlrev_b64 v[104:105], 2, v[8:9]
	v_lshlrev_b32_e32 v137, 2, v2
	v_lshlrev_b64 v[106:107], 2, v[10:11]
	v_add_u32_e32 v121, 32, v1
	v_xor_b32_e32 v124, 16, v120
	v_xor_b32_e32 v125, 8, v120
	;; [unrolled: 1-line block ×5, first 2 shown]
	v_mov_b32_e32 v138, s39
	s_mov_b32 s6, 0x40051340
	s_mov_b32 s28, 0x3fb8aa3b
	;; [unrolled: 1-line block ×4, first 2 shown]
	v_mov_b32_e32 v139, 0x7f800000
	v_add_u32_e32 v140, v133, v6
	v_lshlrev_b64 v[108:109], 2, v[4:5]
	v_lshlrev_b64 v[110:111], 2, v[12:13]
	v_add_u32_e32 v141, 0x4000, v6
	v_add_u32_e32 v142, 0x4800, v6
	;; [unrolled: 1-line block ×4, first 2 shown]
	v_mov_b32_e32 v21, 0
	v_mov_b32_e32 v22, 0
	;; [unrolled: 1-line block ×22, first 2 shown]
.LBB26_9:                               ; =>This Inner Loop Header: Depth=1
	v_cmp_lt_i32_e32 vcc, v124, v121
	v_cndmask_b32_e32 v4, v120, v124, vcc
	v_cmp_lt_i32_e32 vcc, v125, v121
	s_mul_hi_i32 s1, s22, s35
	s_mul_i32 s0, s22, s35
	v_add_u32_e32 v5, s22, v118
	v_cndmask_b32_e32 v6, v120, v125, vcc
	v_cmp_lt_i32_e32 vcc, v126, v121
	v_cndmask_b32_e32 v7, v120, v126, vcc
	v_cmp_lt_i32_e32 vcc, v123, v121
	s_lshl_b64 s[0:1], s[0:1], 2
	v_lshlrev_b32_e32 v44, 2, v4
	v_add_u32_e32 v4, v5, v131
	v_cndmask_b32_e32 v8, v120, v123, vcc
	v_cmp_lt_i32_e32 vcc, v122, v121
	v_lshlrev_b32_e32 v43, 2, v6
	v_add_u32_e32 v6, v5, v132
	s_add_u32 s8, s40, s0
	v_ashrrev_i32_e32 v5, 31, v4
	v_cndmask_b32_e32 v9, v120, v122, vcc
	s_addc_u32 s0, s41, s1
	v_lshlrev_b64 v[4:5], 1, v[4:5]
	v_lshlrev_b32_e32 v42, 2, v7
	v_lshlrev_b32_e32 v41, 2, v8
	;; [unrolled: 1-line block ×3, first 2 shown]
	v_ashrrev_i32_e32 v7, 31, v6
	v_mov_b32_e32 v8, s0
	v_mov_b32_e32 v9, s0
	v_add_co_u32_e64 v4, s[0:1], s38, v4
	v_lshlrev_b64 v[6:7], 1, v[6:7]
	v_addc_co_u32_e64 v5, s[0:1], v138, v5, s[0:1]
	v_add_co_u32_e64 v6, s[0:1], s38, v6
	v_addc_co_u32_e64 v7, s[0:1], v138, v7, s[0:1]
	v_add_co_u32_e64 v11, s[0:1], s8, v104
	v_add_co_u32_e32 v10, vcc, s8, v106
	v_addc_co_u32_e64 v12, s[0:1], v8, v105, s[0:1]
	v_addc_co_u32_e32 v9, vcc, v9, v107, vcc
	v_add_co_u32_e64 v18, s[0:1], v11, v137
	v_add_co_u32_e32 v8, vcc, v10, v137
	v_addc_co_u32_e64 v19, s[0:1], 0, v12, s[0:1]
	v_addc_co_u32_e32 v9, vcc, 0, v9, vcc
	global_load_dwordx4 v[50:53], v[18:19], off
	global_load_dwordx4 v[54:57], v[8:9], off
	s_mul_hi_i32 s3, s22, s23
	s_mul_i32 s2, s22, s23
	s_lshl_b64 s[2:3], s[2:3], 2
	s_add_u32 s2, s42, s2
	s_addc_u32 s3, s43, s3
	s_or_b32 s8, s22, 16
	v_mov_b32_e32 v10, s3
	v_add_co_u32_e32 v11, vcc, s2, v108
	v_mov_b32_e32 v12, s3
	v_add_co_u32_e64 v13, s[0:1], s2, v110
	s_mul_hi_i32 s3, s8, s23
	s_mul_i32 s2, s8, s23
	v_addc_co_u32_e32 v15, vcc, v10, v109, vcc
	v_addc_co_u32_e64 v12, vcc, v12, v111, s[0:1]
	v_add_co_u32_e64 v14, s[0:1], v11, v134
	s_lshl_b64 s[2:3], s[2:3], 2
	v_addc_co_u32_e64 v15, s[0:1], 0, v15, s[0:1]
	v_add_co_u32_e32 v10, vcc, v13, v134
	s_add_u32 s0, s42, s2
	v_addc_co_u32_e32 v11, vcc, 0, v12, vcc
	s_addc_u32 s1, s43, s3
	v_mov_b32_e32 v13, s1
	v_add_co_u32_e32 v16, vcc, s0, v110
	v_mov_b32_e32 v12, s1
	v_add_co_u32_e64 v17, s[0:1], s0, v108
	v_addc_co_u32_e32 v58, vcc, v13, v111, vcc
	v_addc_co_u32_e64 v49, s[0:1], v12, v109, s[0:1]
	v_add_co_u32_e32 v16, vcc, v16, v134
	v_add_co_u32_e64 v12, s[0:1], v17, v134
	v_addc_co_u32_e32 v17, vcc, 0, v58, vcc
	s_waitcnt vmcnt(1)
	ds_write_b128 v127, v[50:53]
	s_waitcnt vmcnt(0)
	ds_write_b128 v128, v[54:57]
	s_waitcnt lgkmcnt(0)
	s_barrier
	ds_read_b128 v[50:53], v129
	ds_read_b128 v[54:57], v130
	ds_read_b128 v[58:61], v130 offset:512
	ds_read_b128 v[62:65], v130 offset:1024
	;; [unrolled: 1-line block ×3, first 2 shown]
	v_mov_b32_e32 v38, v0
	v_mov_b32_e32 v0, 0
	s_waitcnt lgkmcnt(3)
	;;#ASMSTART
	v_dot2_f32_f16 v0, v50, v54, v0
	;;#ASMEND
	;;#ASMSTART
	v_dot2_f32_f16 v0, v51, v55, v0
	;;#ASMEND
	v_mov_b32_e32 v36, v1
	v_mov_b32_e32 v1, 0
	;;#ASMSTART
	v_dot2_f32_f16 v0, v52, v56, v0
	;;#ASMEND
	;;#ASMSTART
	v_dot2_f32_f16 v0, v53, v57, v0
	;;#ASMEND
	s_waitcnt lgkmcnt(2)
	;;#ASMSTART
	v_dot2_f32_f16 v1, v50, v58, v1
	;;#ASMEND
	;;#ASMSTART
	v_dot2_f32_f16 v1, v51, v59, v1
	;;#ASMEND
	v_mov_b32_e32 v39, v2
	v_mov_b32_e32 v2, 0
	;;#ASMSTART
	v_dot2_f32_f16 v1, v52, v60, v1
	;;#ASMEND
	;;#ASMSTART
	v_dot2_f32_f16 v1, v53, v61, v1
	;;#ASMEND
	;; [unrolled: 15-line block ×3, first 2 shown]
	s_waitcnt lgkmcnt(0)
	;;#ASMSTART
	v_dot2_f32_f16 v3, v50, v66, v3
	;;#ASMEND
	;;#ASMSTART
	v_dot2_f32_f16 v3, v51, v67, v3
	;;#ASMEND
	;;#ASMSTART
	v_dot2_f32_f16 v3, v52, v68, v3
	;;#ASMEND
	;;#ASMSTART
	v_dot2_f32_f16 v3, v53, v69, v3
	;;#ASMEND
	ds_read_b128 v[50:53], v129 offset:16
	ds_read_b128 v[54:57], v130 offset:16
	ds_read_b128 v[58:61], v130 offset:528
	ds_read_b128 v[62:65], v130 offset:1040
	ds_read_b128 v[66:69], v130 offset:1552
	s_waitcnt lgkmcnt(3)
	;;#ASMSTART
	v_dot2_f32_f16 v0, v50, v54, v0
	;;#ASMEND
	;;#ASMSTART
	v_dot2_f32_f16 v0, v51, v55, v0
	;;#ASMEND
	;;#ASMSTART
	v_dot2_f32_f16 v0, v52, v56, v0
	;;#ASMEND
	;;#ASMSTART
	v_dot2_f32_f16 v0, v53, v57, v0
	;;#ASMEND
	s_waitcnt lgkmcnt(2)
	;;#ASMSTART
	v_dot2_f32_f16 v1, v50, v58, v1
	;;#ASMEND
	;;#ASMSTART
	v_dot2_f32_f16 v1, v51, v59, v1
	;;#ASMEND
	;;#ASMSTART
	v_dot2_f32_f16 v1, v52, v60, v1
	;;#ASMEND
	;;#ASMSTART
	v_dot2_f32_f16 v1, v53, v61, v1
	;;#ASMEND
	s_waitcnt lgkmcnt(1)
	;;#ASMSTART
	v_dot2_f32_f16 v2, v50, v62, v2
	;;#ASMEND
	;;#ASMSTART
	v_dot2_f32_f16 v2, v51, v63, v2
	;;#ASMEND
	;;#ASMSTART
	v_dot2_f32_f16 v2, v52, v64, v2
	;;#ASMEND
	;;#ASMSTART
	v_dot2_f32_f16 v2, v53, v65, v2
	;;#ASMEND
	s_waitcnt lgkmcnt(0)
	;;#ASMSTART
	v_dot2_f32_f16 v3, v50, v66, v3
	;;#ASMEND
	;;#ASMSTART
	v_dot2_f32_f16 v3, v51, v67, v3
	;;#ASMEND
	;;#ASMSTART
	v_dot2_f32_f16 v3, v52, v68, v3
	;;#ASMEND
	;;#ASMSTART
	v_dot2_f32_f16 v3, v53, v69, v3
	;;#ASMEND
	ds_read_b128 v[50:53], v129 offset:32
	ds_read_b128 v[54:57], v130 offset:32
	ds_read_b128 v[58:61], v130 offset:544
	ds_read_b128 v[62:65], v130 offset:1056
	ds_read_b128 v[66:69], v130 offset:1568
	s_waitcnt lgkmcnt(3)
	;;#ASMSTART
	v_dot2_f32_f16 v0, v50, v54, v0
	;;#ASMEND
	;;#ASMSTART
	v_dot2_f32_f16 v0, v51, v55, v0
	;;#ASMEND
	;;#ASMSTART
	v_dot2_f32_f16 v0, v52, v56, v0
	;;#ASMEND
	;;#ASMSTART
	v_dot2_f32_f16 v0, v53, v57, v0
	;;#ASMEND
	s_waitcnt lgkmcnt(2)
	;;#ASMSTART
	v_dot2_f32_f16 v1, v50, v58, v1
	;;#ASMEND
	;;#ASMSTART
	v_dot2_f32_f16 v1, v51, v59, v1
	;;#ASMEND
	;;#ASMSTART
	v_dot2_f32_f16 v1, v52, v60, v1
	;;#ASMEND
	;;#ASMSTART
	v_dot2_f32_f16 v1, v53, v61, v1
	;;#ASMEND
	s_waitcnt lgkmcnt(1)
	;;#ASMSTART
	v_dot2_f32_f16 v2, v50, v62, v2
	;;#ASMEND
	;;#ASMSTART
	v_dot2_f32_f16 v2, v51, v63, v2
	;;#ASMEND
	;;#ASMSTART
	v_dot2_f32_f16 v2, v52, v64, v2
	;;#ASMEND
	;;#ASMSTART
	v_dot2_f32_f16 v2, v53, v65, v2
	;;#ASMEND
	;; [unrolled: 57-line block ×15, first 2 shown]
	s_waitcnt lgkmcnt(0)
	;;#ASMSTART
	v_dot2_f32_f16 v3, v50, v66, v3
	;;#ASMEND
	;;#ASMSTART
	v_dot2_f32_f16 v3, v51, v67, v3
	;;#ASMEND
	;; [unrolled: 3-line block ×4, first 2 shown]
	s_barrier
	global_load_dwordx4 v[50:53], v[18:19], off offset:256
	global_load_dwordx4 v[54:57], v[8:9], off offset:256
	s_waitcnt vmcnt(1)
	ds_write_b128 v127, v[50:53]
	s_waitcnt vmcnt(0)
	ds_write_b128 v128, v[54:57]
	s_waitcnt lgkmcnt(0)
	s_barrier
	ds_read_b128 v[50:53], v129
	ds_read_b128 v[54:57], v130 offset:256
	ds_read_b128 v[58:61], v130 offset:768
	ds_read_b128 v[62:65], v130 offset:1280
	ds_read_b128 v[66:69], v130 offset:1792
	s_waitcnt lgkmcnt(3)
	;;#ASMSTART
	v_dot2_f32_f16 v0, v50, v54, v0
	;;#ASMEND
	;;#ASMSTART
	v_dot2_f32_f16 v0, v51, v55, v0
	;;#ASMEND
	;;#ASMSTART
	v_dot2_f32_f16 v0, v52, v56, v0
	;;#ASMEND
	;;#ASMSTART
	v_dot2_f32_f16 v0, v53, v57, v0
	;;#ASMEND
	s_waitcnt lgkmcnt(2)
	;;#ASMSTART
	v_dot2_f32_f16 v1, v50, v58, v1
	;;#ASMEND
	;;#ASMSTART
	v_dot2_f32_f16 v1, v51, v59, v1
	;;#ASMEND
	;;#ASMSTART
	v_dot2_f32_f16 v1, v52, v60, v1
	;;#ASMEND
	;;#ASMSTART
	v_dot2_f32_f16 v1, v53, v61, v1
	;;#ASMEND
	s_waitcnt lgkmcnt(1)
	;;#ASMSTART
	v_dot2_f32_f16 v2, v50, v62, v2
	;;#ASMEND
	;;#ASMSTART
	v_dot2_f32_f16 v2, v51, v63, v2
	;;#ASMEND
	;;#ASMSTART
	v_dot2_f32_f16 v2, v52, v64, v2
	;;#ASMEND
	;;#ASMSTART
	v_dot2_f32_f16 v2, v53, v65, v2
	;;#ASMEND
	s_waitcnt lgkmcnt(0)
	;;#ASMSTART
	v_dot2_f32_f16 v3, v50, v66, v3
	;;#ASMEND
	;;#ASMSTART
	v_dot2_f32_f16 v3, v51, v67, v3
	;;#ASMEND
	;;#ASMSTART
	v_dot2_f32_f16 v3, v52, v68, v3
	;;#ASMEND
	;;#ASMSTART
	v_dot2_f32_f16 v3, v53, v69, v3
	;;#ASMEND
	ds_read_b128 v[50:53], v129 offset:16
	ds_read_b128 v[54:57], v130 offset:272
	ds_read_b128 v[58:61], v130 offset:784
	ds_read_b128 v[62:65], v130 offset:1296
	ds_read_b128 v[66:69], v130 offset:1808
	s_waitcnt lgkmcnt(3)
	;;#ASMSTART
	v_dot2_f32_f16 v0, v50, v54, v0
	;;#ASMEND
	;;#ASMSTART
	v_dot2_f32_f16 v0, v51, v55, v0
	;;#ASMEND
	;;#ASMSTART
	v_dot2_f32_f16 v0, v52, v56, v0
	;;#ASMEND
	;;#ASMSTART
	v_dot2_f32_f16 v0, v53, v57, v0
	;;#ASMEND
	s_waitcnt lgkmcnt(2)
	;;#ASMSTART
	v_dot2_f32_f16 v1, v50, v58, v1
	;;#ASMEND
	;;#ASMSTART
	v_dot2_f32_f16 v1, v51, v59, v1
	;;#ASMEND
	;;#ASMSTART
	v_dot2_f32_f16 v1, v52, v60, v1
	;;#ASMEND
	;;#ASMSTART
	v_dot2_f32_f16 v1, v53, v61, v1
	;;#ASMEND
	s_waitcnt lgkmcnt(1)
	;;#ASMSTART
	v_dot2_f32_f16 v2, v50, v62, v2
	;;#ASMEND
	;;#ASMSTART
	v_dot2_f32_f16 v2, v51, v63, v2
	;;#ASMEND
	;;#ASMSTART
	v_dot2_f32_f16 v2, v52, v64, v2
	;;#ASMEND
	;;#ASMSTART
	v_dot2_f32_f16 v2, v53, v65, v2
	;;#ASMEND
	s_waitcnt lgkmcnt(0)
	;;#ASMSTART
	v_dot2_f32_f16 v3, v50, v66, v3
	;;#ASMEND
	;;#ASMSTART
	v_dot2_f32_f16 v3, v51, v67, v3
	;;#ASMEND
	;;#ASMSTART
	v_dot2_f32_f16 v3, v52, v68, v3
	;;#ASMEND
	;;#ASMSTART
	v_dot2_f32_f16 v3, v53, v69, v3
	;;#ASMEND
	ds_read_b128 v[50:53], v129 offset:32
	;; [unrolled: 57-line block ×15, first 2 shown]
	ds_read_b128 v[54:57], v130 offset:496
	ds_read_b128 v[58:61], v130 offset:1008
	;; [unrolled: 1-line block ×4, first 2 shown]
	s_waitcnt lgkmcnt(3)
	;;#ASMSTART
	v_dot2_f32_f16 v0, v50, v54, v0
	;;#ASMEND
	;;#ASMSTART
	v_dot2_f32_f16 v0, v51, v55, v0
	;;#ASMEND
	;;#ASMSTART
	v_dot2_f32_f16 v0, v52, v56, v0
	;;#ASMEND
	;;#ASMSTART
	v_dot2_f32_f16 v0, v53, v57, v0
	;;#ASMEND
	s_waitcnt lgkmcnt(2)
	;;#ASMSTART
	v_dot2_f32_f16 v1, v50, v58, v1
	;;#ASMEND
	;;#ASMSTART
	v_dot2_f32_f16 v1, v51, v59, v1
	;;#ASMEND
	;;#ASMSTART
	v_dot2_f32_f16 v1, v52, v60, v1
	;;#ASMEND
	;;#ASMSTART
	v_dot2_f32_f16 v1, v53, v61, v1
	;;#ASMEND
	;; [unrolled: 13-line block ×4, first 2 shown]
	flat_load_ushort v8, v[6:7]
	flat_load_ushort v9, v[4:5]
	s_waitcnt lgkmcnt(0)
	s_barrier
	global_load_dwordx4 v[4:7], v[14:15], off
	global_load_dwordx4 v[50:53], v[10:11], off
	v_max_f32_e32 v45, v37, v37
	v_max_f32_e32 v46, v39, v39
	;; [unrolled: 1-line block ×4, first 2 shown]
	v_addc_co_u32_e64 v13, s[0:1], 0, v49, s[0:1]
	s_waitcnt vmcnt(0)
	v_cvt_f32_f16_e32 v8, v8
	v_cvt_f32_f16_e32 v10, v9
	v_pk_add_f32 v[8:9], v[2:3], v[8:9] op_sel_hi:[1,0]
	v_pk_add_f32 v[10:11], v[0:1], v[10:11] op_sel_hi:[1,0]
	;; [unrolled: 1-line block ×4, first 2 shown]
	v_max_f32_e32 v3, v45, v3
	v_max_f32_e32 v2, v46, v2
	v_max_f32_e32 v1, v47, v1
	v_max_f32_e32 v0, v48, v0
	ds_bpermute_b32 v14, v44, v3
	ds_bpermute_b32 v15, v44, v2
	ds_bpermute_b32 v18, v44, v1
	ds_bpermute_b32 v19, v44, v0
	s_waitcnt lgkmcnt(3)
	v_max_f32_e32 v14, v14, v14
	s_waitcnt lgkmcnt(2)
	v_max_f32_e32 v15, v15, v15
	s_waitcnt lgkmcnt(1)
	v_max_f32_e32 v18, v18, v18
	s_waitcnt lgkmcnt(0)
	v_max_f32_e32 v19, v19, v19
	v_max_f32_e32 v3, v3, v14
	v_max_f32_e32 v2, v2, v15
	v_max_f32_e32 v1, v1, v18
	v_max_f32_e32 v0, v0, v19
	ds_bpermute_b32 v14, v43, v3
	ds_bpermute_b32 v15, v43, v2
	ds_bpermute_b32 v18, v43, v1
	ds_bpermute_b32 v19, v43, v0
	s_waitcnt lgkmcnt(3)
	v_max_f32_e32 v14, v14, v14
	s_waitcnt lgkmcnt(2)
	v_max_f32_e32 v15, v15, v15
	s_waitcnt lgkmcnt(1)
	v_max_f32_e32 v18, v18, v18
	s_waitcnt lgkmcnt(0)
	v_max_f32_e32 v19, v19, v19
	;; [unrolled: 16-line block ×5, first 2 shown]
	v_max_f32_e32 v0, v0, v14
	v_max_f32_e32 v1, v1, v15
	;; [unrolled: 1-line block ×4, first 2 shown]
	v_sub_f32_e32 v9, v9, v3
	v_sub_f32_e32 v8, v8, v2
	;; [unrolled: 1-line block ×8, first 2 shown]
	v_mul_f32_e32 v36, 0x3fb8aa3b, v10
	v_mul_f32_e32 v37, 0x3fb8aa3b, v11
	;; [unrolled: 1-line block ×8, first 2 shown]
	v_fma_f32 v44, v10, s28, -v36
	v_rndne_f32_e32 v45, v36
	v_fma_f32 v46, v11, s28, -v37
	v_rndne_f32_e32 v47, v37
	;; [unrolled: 2-line block ×8, first 2 shown]
	v_fmac_f32_e32 v44, 0x32a5705f, v10
	v_sub_f32_e32 v36, v36, v45
	v_fmac_f32_e32 v46, 0x32a5705f, v11
	v_sub_f32_e32 v37, v37, v47
	;; [unrolled: 2-line block ×8, first 2 shown]
	v_add_f32_e32 v36, v36, v44
	v_add_f32_e32 v37, v37, v46
	;; [unrolled: 1-line block ×4, first 2 shown]
	v_cvt_i32_f32_e32 v45, v45
	v_cvt_i32_f32_e32 v47, v47
	v_cvt_i32_f32_e32 v49, v49
	v_cvt_i32_f32_e32 v55, v55
	v_add_f32_e32 v40, v40, v56
	v_add_f32_e32 v41, v41, v58
	;; [unrolled: 1-line block ×4, first 2 shown]
	v_exp_f32_e32 v36, v36
	v_exp_f32_e32 v37, v37
	v_exp_f32_e32 v38, v38
	v_exp_f32_e32 v39, v39
	v_cvt_i32_f32_e32 v57, v57
	v_cvt_i32_f32_e32 v59, v59
	;; [unrolled: 1-line block ×4, first 2 shown]
	v_exp_f32_e32 v40, v40
	v_exp_f32_e32 v41, v41
	;; [unrolled: 1-line block ×4, first 2 shown]
	v_ldexp_f32 v36, v36, v45
	v_ldexp_f32 v37, v37, v47
	v_cmp_ngt_f32_e32 vcc, s29, v11
	v_ldexp_f32 v38, v38, v49
	v_cmp_ngt_f32_e64 s[0:1], s29, v8
	v_ldexp_f32 v39, v39, v55
	v_cmp_ngt_f32_e64 s[2:3], s29, v9
	v_cmp_ngt_f32_e64 s[16:17], s29, v10
	v_ldexp_f32 v40, v40, v57
	v_cmp_ngt_f32_e64 s[8:9], s29, v19
	v_ldexp_f32 v41, v41, v59
	;; [unrolled: 2-line block ×4, first 2 shown]
	v_cmp_ngt_f32_e64 s[14:15], s29, v14
	v_cndmask_b32_e64 v36, 0, v36, s[16:17]
	v_cndmask_b32_e32 v37, 0, v37, vcc
	v_cmp_nlt_f32_e32 vcc, s39, v11
	v_cndmask_b32_e64 v11, 0, v38, s[0:1]
	v_cmp_nlt_f32_e64 s[0:1], s39, v8
	v_cndmask_b32_e64 v38, 0, v39, s[2:3]
	v_cmp_nlt_f32_e64 s[2:3], s39, v9
	v_cmp_nlt_f32_e64 s[16:17], s39, v10
	v_cndmask_b32_e64 v39, 0, v40, s[8:9]
	v_cmp_nlt_f32_e64 s[8:9], s39, v19
	v_cndmask_b32_e64 v19, 0, v41, s[10:11]
	;; [unrolled: 2-line block ×5, first 2 shown]
	v_cndmask_b32_e32 v9, v139, v37, vcc
	v_cndmask_b32_e64 v10, v139, v11, s[0:1]
	v_cndmask_b32_e64 v11, v139, v38, s[2:3]
	;; [unrolled: 1-line block ×6, first 2 shown]
	v_cvt_f16_f32_e32 v36, v11
	v_cvt_f16_f32_e32 v37, v10
	;; [unrolled: 1-line block ×5, first 2 shown]
	v_pk_fma_f32 v[100:101], v[100:101], v[18:19], v[10:11]
	v_cvt_f16_f32_e32 v10, v19
	v_pk_fma_f32 v[102:103], v[102:103], v[14:15], v[8:9]
	v_pack_b32_f16 v9, v37, v36
	v_pack_b32_f16 v8, v39, v38
	v_cvt_f16_f32_e32 v99, v15
	v_cvt_f16_f32_e32 v145, v18
	v_pk_mul_f16 v166, v98, v35 op_sel_hi:[0,1]
	v_pk_mul_f16 v167, v98, v34 op_sel_hi:[0,1]
	;; [unrolled: 1-line block ×6, first 2 shown]
	ds_write_b64 v140, v[8:9]
	ds_write_b128 v135, v[4:7]
	ds_write_b128 v136, v[50:53]
	s_waitcnt lgkmcnt(0)
	s_barrier
	ds_read2_b64 v[20:23], v141 offset1:32
	ds_read_b128 v[34:37], v133
	ds_read_b128 v[38:41], v133 offset:16
	ds_read_b128 v[42:45], v133 offset:32
	;; [unrolled: 1-line block ×3, first 2 shown]
	ds_read2_b64 v[50:53], v141 offset0:64 offset1:96
	ds_read2_b64 v[54:57], v141 offset0:128 offset1:160
	ds_read2_b64 v[58:61], v141 offset0:192 offset1:224
	ds_read2_b64 v[62:65], v142 offset1:32
	ds_read2_b64 v[66:69], v142 offset0:64 offset1:96
	ds_read2_b64 v[70:73], v142 offset0:128 offset1:160
	;; [unrolled: 1-line block ×3, first 2 shown]
	ds_read2_b64 v[78:81], v143 offset1:32
	ds_read2_b64 v[82:85], v143 offset0:64 offset1:96
	ds_read2_b64 v[86:89], v143 offset0:128 offset1:160
	ds_read_b128 v[90:93], v133 offset:64
	ds_read_b128 v[94:97], v133 offset:80
	ds_read2_b64 v[146:149], v143 offset0:192 offset1:224
	ds_read2_b64 v[150:153], v144 offset1:32
	ds_read2_b64 v[154:157], v144 offset0:64 offset1:96
	ds_read2_b64 v[158:161], v144 offset0:128 offset1:160
	ds_read_b128 v[162:165], v133 offset:96
	ds_read_b128 v[4:7], v133 offset:112
	ds_read2_b64 v[8:11], v144 offset0:192 offset1:224
	s_waitcnt lgkmcnt(0)
	s_barrier
	global_load_dwordx4 v[12:15], v[12:13], off
	s_nop 0
	global_load_dwordx4 v[16:19], v[16:17], off
	v_pk_mul_f16 v33, v98, v33 op_sel_hi:[0,1]
	v_pk_mul_f16 v31, v99, v31 op_sel_hi:[0,1]
	;; [unrolled: 1-line block ×8, first 2 shown]
	v_pk_mul_f16 v173, v20, v34 op_sel:[0,1]
	v_pk_mul_f16 v174, v20, v35 op_sel_hi:[1,0]
	v_pk_fma_f16 v20, v20, v35, v168 op_sel:[0,1,0]
	v_pk_fma_f16 v166, v21, v34, v166 op_sel_hi:[1,0,1]
	v_pk_fma_f16 v31, v21, v34, v31 op_sel:[0,1,0]
	v_pk_fma_f16 v27, v21, v35, v27 op_sel_hi:[1,0,1]
	;; [unrolled: 2-line block ×7, first 2 shown]
	v_pk_fma_f16 v28, v99, v28, v173 op_sel_hi:[0,1,1]
	v_pk_fma_f16 v24, v145, v24, v174 op_sel_hi:[0,1,1]
	v_pk_fma_f16 v20, v50, v37, v20 op_sel:[0,1,0]
	v_pk_fma_f16 v34, v51, v36, v166 op_sel_hi:[1,0,1]
	v_pk_fma_f16 v31, v51, v36, v31 op_sel:[0,1,0]
	;; [unrolled: 2-line block ×120, first 2 shown]
	v_pk_fma_f16 v160, v8, v7, v5 op_sel_hi:[1,0,1]
	s_waitcnt vmcnt(1)
	ds_write_b128 v135, v[12:15]
	s_waitcnt vmcnt(0)
	ds_write_b128 v136, v[16:19]
	s_waitcnt lgkmcnt(0)
	s_barrier
	ds_read2_b64 v[20:23], v141 offset1:32
	ds_read_b128 v[16:19], v133 offset:128
	ds_read_b128 v[12:15], v133 offset:144
	;; [unrolled: 1-line block ×4, first 2 shown]
	ds_read2_b64 v[24:27], v141 offset0:64 offset1:96
	ds_read2_b64 v[28:31], v141 offset0:128 offset1:160
	ds_read2_b64 v[32:35], v141 offset0:192 offset1:224
	ds_read2_b64 v[36:39], v142 offset1:32
	ds_read2_b64 v[40:43], v142 offset0:64 offset1:96
	ds_read2_b64 v[44:47], v142 offset0:128 offset1:160
	;; [unrolled: 1-line block ×3, first 2 shown]
	ds_read2_b64 v[56:59], v143 offset1:32
	ds_read2_b64 v[60:63], v143 offset0:64 offset1:96
	ds_read2_b64 v[64:67], v143 offset0:128 offset1:160
	ds_read_b128 v[88:91], v133 offset:192
	ds_read_b128 v[48:51], v133 offset:208
	ds_read2_b64 v[72:75], v143 offset0:192 offset1:224
	ds_read2_b64 v[76:79], v144 offset1:32
	ds_read2_b64 v[80:83], v144 offset0:64 offset1:96
	ds_read2_b64 v[84:87], v144 offset0:128 offset1:160
	ds_read_b128 v[96:99], v133 offset:224
	ds_read_b128 v[68:71], v133 offset:240
	ds_read2_b64 v[92:95], v144 offset0:192 offset1:224
	s_waitcnt lgkmcnt(14)
	v_pk_fma_f16 v158, v20, v16, v158 op_sel_hi:[1,0,1]
	v_pk_fma_f16 v159, v20, v16, v159 op_sel:[0,1,0]
	v_pk_fma_f16 v160, v20, v17, v160 op_sel_hi:[1,0,1]
	v_pk_fma_f16 v20, v20, v17, v145 op_sel:[0,1,0]
	v_pk_fma_f16 v145, v21, v16, v146 op_sel_hi:[1,0,1]
	v_pk_fma_f16 v146, v21, v16, v147 op_sel:[0,1,0]
	v_pk_fma_f16 v147, v21, v17, v148 op_sel_hi:[1,0,1]
	v_pk_fma_f16 v21, v21, v17, v149 op_sel:[0,1,0]
	v_pk_fma_f16 v148, v22, v16, v150 op_sel_hi:[1,0,1]
	v_pk_fma_f16 v149, v22, v16, v151 op_sel:[0,1,0]
	v_pk_fma_f16 v150, v22, v17, v152 op_sel_hi:[1,0,1]
	v_pk_fma_f16 v22, v22, v17, v153 op_sel:[0,1,0]
	v_pk_fma_f16 v151, v23, v16, v154 op_sel_hi:[1,0,1]
	v_pk_fma_f16 v16, v23, v16, v155 op_sel:[0,1,0]
	v_pk_fma_f16 v152, v23, v17, v156 op_sel_hi:[1,0,1]
	v_pk_fma_f16 v17, v23, v17, v157 op_sel:[0,1,0]
	v_pk_fma_f16 v23, v24, v18, v158 op_sel_hi:[1,0,1]
	v_pk_fma_f16 v153, v24, v18, v159 op_sel:[0,1,0]
	v_pk_fma_f16 v154, v24, v19, v160 op_sel_hi:[1,0,1]
	v_pk_fma_f16 v20, v24, v19, v20 op_sel:[0,1,0]
	v_pk_fma_f16 v24, v25, v18, v145 op_sel_hi:[1,0,1]
	v_pk_fma_f16 v145, v25, v18, v146 op_sel:[0,1,0]
	v_pk_fma_f16 v146, v25, v19, v147 op_sel_hi:[1,0,1]
	v_pk_fma_f16 v21, v25, v19, v21 op_sel:[0,1,0]
	v_pk_fma_f16 v25, v26, v18, v148 op_sel_hi:[1,0,1]
	v_pk_fma_f16 v147, v26, v18, v149 op_sel:[0,1,0]
	v_pk_fma_f16 v148, v26, v19, v150 op_sel_hi:[1,0,1]
	v_pk_fma_f16 v22, v26, v19, v22 op_sel:[0,1,0]
	v_pk_fma_f16 v26, v27, v18, v151 op_sel_hi:[1,0,1]
	v_pk_fma_f16 v16, v27, v18, v16 op_sel:[0,1,0]
	v_pk_fma_f16 v18, v27, v19, v152 op_sel_hi:[1,0,1]
	v_pk_fma_f16 v17, v27, v19, v17 op_sel:[0,1,0]
	v_pk_fma_f16 v19, v28, v12, v23 op_sel_hi:[1,0,1]
	v_pk_fma_f16 v23, v28, v12, v153 op_sel:[0,1,0]
	v_pk_fma_f16 v27, v28, v13, v154 op_sel_hi:[1,0,1]
	v_pk_fma_f16 v20, v28, v13, v20 op_sel:[0,1,0]
	v_pk_fma_f16 v24, v29, v12, v24 op_sel_hi:[1,0,1]
	v_pk_fma_f16 v28, v29, v12, v145 op_sel:[0,1,0]
	v_pk_fma_f16 v145, v29, v13, v146 op_sel_hi:[1,0,1]
	v_pk_fma_f16 v21, v29, v13, v21 op_sel:[0,1,0]
	v_pk_fma_f16 v25, v30, v12, v25 op_sel_hi:[1,0,1]
	v_pk_fma_f16 v29, v30, v12, v147 op_sel:[0,1,0]
	v_pk_fma_f16 v146, v30, v13, v148 op_sel_hi:[1,0,1]
	v_pk_fma_f16 v22, v30, v13, v22 op_sel:[0,1,0]
	v_pk_fma_f16 v26, v31, v12, v26 op_sel_hi:[1,0,1]
	v_pk_fma_f16 v12, v31, v12, v16 op_sel:[0,1,0]
	v_pk_fma_f16 v16, v31, v13, v18 op_sel_hi:[1,0,1]
	v_pk_fma_f16 v13, v31, v13, v17 op_sel:[0,1,0]
	v_pk_fma_f16 v17, v32, v14, v19 op_sel_hi:[1,0,1]
	v_pk_fma_f16 v18, v32, v14, v23 op_sel:[0,1,0]
	v_pk_fma_f16 v19, v32, v15, v27 op_sel_hi:[1,0,1]
	v_pk_fma_f16 v20, v32, v15, v20 op_sel:[0,1,0]
	v_pk_fma_f16 v23, v33, v14, v24 op_sel_hi:[1,0,1]
	v_pk_fma_f16 v24, v33, v14, v28 op_sel:[0,1,0]
	v_pk_fma_f16 v27, v33, v15, v145 op_sel_hi:[1,0,1]
	v_pk_fma_f16 v21, v33, v15, v21 op_sel:[0,1,0]
	v_pk_fma_f16 v25, v34, v14, v25 op_sel_hi:[1,0,1]
	v_pk_fma_f16 v28, v34, v14, v29 op_sel:[0,1,0]
	v_pk_fma_f16 v29, v34, v15, v146 op_sel_hi:[1,0,1]
	v_pk_fma_f16 v22, v34, v15, v22 op_sel:[0,1,0]
	v_pk_fma_f16 v26, v35, v14, v26 op_sel_hi:[1,0,1]
	v_pk_fma_f16 v12, v35, v14, v12 op_sel:[0,1,0]
	v_pk_fma_f16 v14, v35, v15, v16 op_sel_hi:[1,0,1]
	v_pk_fma_f16 v13, v35, v15, v13 op_sel:[0,1,0]
	v_pk_fma_f16 v15, v36, v8, v17 op_sel_hi:[1,0,1]
	v_pk_fma_f16 v16, v36, v8, v18 op_sel:[0,1,0]
	v_pk_fma_f16 v17, v36, v9, v19 op_sel_hi:[1,0,1]
	v_pk_fma_f16 v18, v36, v9, v20 op_sel:[0,1,0]
	v_pk_fma_f16 v19, v37, v8, v23 op_sel_hi:[1,0,1]
	v_pk_fma_f16 v20, v37, v8, v24 op_sel:[0,1,0]
	v_pk_fma_f16 v23, v37, v9, v27 op_sel_hi:[1,0,1]
	v_pk_fma_f16 v21, v37, v9, v21 op_sel:[0,1,0]
	v_pk_fma_f16 v24, v38, v8, v25 op_sel_hi:[1,0,1]
	v_pk_fma_f16 v25, v38, v8, v28 op_sel:[0,1,0]
	v_pk_fma_f16 v27, v38, v9, v29 op_sel_hi:[1,0,1]
	v_pk_fma_f16 v22, v38, v9, v22 op_sel:[0,1,0]
	v_pk_fma_f16 v26, v39, v8, v26 op_sel_hi:[1,0,1]
	v_pk_fma_f16 v8, v39, v8, v12 op_sel:[0,1,0]
	v_pk_fma_f16 v12, v39, v9, v14 op_sel_hi:[1,0,1]
	v_pk_fma_f16 v9, v39, v9, v13 op_sel:[0,1,0]
	v_pk_fma_f16 v13, v40, v10, v15 op_sel_hi:[1,0,1]
	v_pk_fma_f16 v14, v40, v10, v16 op_sel:[0,1,0]
	v_pk_fma_f16 v15, v40, v11, v17 op_sel_hi:[1,0,1]
	v_pk_fma_f16 v16, v40, v11, v18 op_sel:[0,1,0]
	v_pk_fma_f16 v17, v41, v10, v19 op_sel_hi:[1,0,1]
	v_pk_fma_f16 v18, v41, v10, v20 op_sel:[0,1,0]
	v_pk_fma_f16 v19, v41, v11, v23 op_sel_hi:[1,0,1]
	v_pk_fma_f16 v20, v41, v11, v21 op_sel:[0,1,0]
	v_pk_fma_f16 v21, v42, v10, v24 op_sel_hi:[1,0,1]
	v_pk_fma_f16 v23, v42, v10, v25 op_sel:[0,1,0]
	v_pk_fma_f16 v24, v42, v11, v27 op_sel_hi:[1,0,1]
	v_pk_fma_f16 v22, v42, v11, v22 op_sel:[0,1,0]
	v_pk_fma_f16 v25, v43, v10, v26 op_sel_hi:[1,0,1]
	v_pk_fma_f16 v8, v43, v10, v8 op_sel:[0,1,0]
	v_pk_fma_f16 v10, v43, v11, v12 op_sel_hi:[1,0,1]
	v_pk_fma_f16 v9, v43, v11, v9 op_sel:[0,1,0]
	s_waitcnt lgkmcnt(13)
	v_pk_fma_f16 v11, v44, v4, v13 op_sel_hi:[1,0,1]
	v_pk_fma_f16 v12, v44, v4, v14 op_sel:[0,1,0]
	v_pk_fma_f16 v13, v44, v5, v15 op_sel_hi:[1,0,1]
	v_pk_fma_f16 v14, v44, v5, v16 op_sel:[0,1,0]
	;; [unrolled: 2-line block ×8, first 2 shown]
	s_waitcnt lgkmcnt(12)
	v_pk_fma_f16 v9, v52, v6, v11 op_sel_hi:[1,0,1]
	v_pk_fma_f16 v10, v52, v6, v12 op_sel:[0,1,0]
	v_pk_fma_f16 v11, v52, v7, v13 op_sel_hi:[1,0,1]
	v_pk_fma_f16 v12, v52, v7, v14 op_sel:[0,1,0]
	;; [unrolled: 2-line block ×8, first 2 shown]
	s_waitcnt lgkmcnt(0)
	s_barrier
	s_load_dword s0, s[18:19], 0x4
	v_pk_fma_f16 v7, v56, v88, v9 op_sel_hi:[1,0,1]
	v_pk_fma_f16 v8, v56, v88, v10 op_sel:[0,1,0]
	v_pk_fma_f16 v9, v56, v89, v11 op_sel_hi:[1,0,1]
	v_pk_fma_f16 v10, v56, v89, v12 op_sel:[0,1,0]
	;; [unrolled: 2-line block ×40, first 2 shown]
	s_waitcnt lgkmcnt(0)
	s_lshl_b32 s0, s0, 5
	v_pk_fma_f16 v7, v80, v98, v7 op_sel_hi:[1,0,1]
	v_pk_fma_f16 v8, v80, v98, v8 op_sel:[0,1,0]
	v_pk_fma_f16 v9, v80, v99, v9 op_sel_hi:[1,0,1]
	v_pk_fma_f16 v10, v80, v99, v10 op_sel:[0,1,0]
	;; [unrolled: 2-line block ×8, first 2 shown]
	s_add_i32 s22, s0, s22
	v_pk_fma_f16 v7, v84, v68, v7 op_sel_hi:[1,0,1]
	v_pk_fma_f16 v8, v84, v68, v8 op_sel:[0,1,0]
	v_pk_fma_f16 v9, v84, v69, v9 op_sel_hi:[1,0,1]
	v_pk_fma_f16 v10, v84, v69, v10 op_sel:[0,1,0]
	v_pk_fma_f16 v11, v85, v68, v11 op_sel_hi:[1,0,1]
	v_pk_fma_f16 v12, v85, v68, v12 op_sel:[0,1,0]
	v_pk_fma_f16 v13, v85, v69, v13 op_sel_hi:[1,0,1]
	v_pk_fma_f16 v14, v85, v69, v14 op_sel:[0,1,0]
	v_pk_fma_f16 v15, v86, v68, v15 op_sel_hi:[1,0,1]
	v_pk_fma_f16 v16, v86, v68, v16 op_sel:[0,1,0]
	v_pk_fma_f16 v17, v86, v69, v17 op_sel_hi:[1,0,1]
	v_pk_fma_f16 v18, v86, v69, v18 op_sel:[0,1,0]
	v_pk_fma_f16 v19, v87, v68, v19 op_sel_hi:[1,0,1]
	v_pk_fma_f16 v4, v87, v68, v4 op_sel:[0,1,0]
	v_pk_fma_f16 v6, v87, v69, v6 op_sel_hi:[1,0,1]
	v_pk_fma_f16 v5, v87, v69, v5 op_sel:[0,1,0]
	s_cmp_ge_i32 s22, s36
	v_pk_fma_f16 v32, v92, v70, v7 op_sel_hi:[1,0,1]
	v_pk_fma_f16 v28, v92, v70, v8 op_sel:[0,1,0]
	v_pk_fma_f16 v24, v92, v71, v9 op_sel_hi:[1,0,1]
	v_pk_fma_f16 v23, v92, v71, v10 op_sel:[0,1,0]
	;; [unrolled: 2-line block ×8, first 2 shown]
	s_cbranch_scc0 .LBB26_9
.LBB26_10:
	v_cmp_lt_i32_e32 vcc, v124, v121
	v_cndmask_b32_e32 v4, v120, v124, vcc
	v_cmp_lt_i32_e32 vcc, v125, v121
	v_lshlrev_b32_e32 v7, 2, v4
	v_cndmask_b32_e32 v4, v120, v125, vcc
	v_cmp_lt_i32_e32 vcc, v126, v121
	v_lshlrev_b32_e32 v11, 2, v4
	v_cndmask_b32_e32 v4, v120, v126, vcc
	v_lshlrev_b32_e32 v12, 2, v4
	ds_bpermute_b32 v4, v7, v102
	ds_bpermute_b32 v5, v7, v103
	;; [unrolled: 1-line block ×4, first 2 shown]
	v_cmp_lt_i32_e32 vcc, v123, v121
	v_cndmask_b32_e32 v13, v120, v123, vcc
	s_waitcnt lgkmcnt(2)
	v_pk_add_f32 v[4:5], v[102:103], v[4:5]
	ds_bpermute_b32 v8, v11, v4
	s_waitcnt lgkmcnt(1)
	v_pk_add_f32 v[6:7], v[100:101], v[6:7]
	ds_bpermute_b32 v9, v11, v5
	ds_bpermute_b32 v10, v11, v6
	;; [unrolled: 1-line block ×3, first 2 shown]
	v_lshlrev_b32_e32 v13, 2, v13
	v_cmp_lt_i32_e32 vcc, v122, v121
	s_waitcnt lgkmcnt(2)
	v_pk_add_f32 v[4:5], v[4:5], v[8:9]
	ds_bpermute_b32 v8, v12, v4
	s_waitcnt lgkmcnt(1)
	v_pk_add_f32 v[6:7], v[6:7], v[10:11]
	ds_bpermute_b32 v9, v12, v5
	ds_bpermute_b32 v10, v12, v6
	;; [unrolled: 1-line block ×3, first 2 shown]
	v_cndmask_b32_e32 v12, v120, v122, vcc
	s_cmp_lg_u64 s[20:21], 0
	s_waitcnt lgkmcnt(2)
	v_pk_add_f32 v[4:5], v[4:5], v[8:9]
	ds_bpermute_b32 v8, v13, v4
	s_waitcnt lgkmcnt(1)
	v_pk_add_f32 v[6:7], v[6:7], v[10:11]
	ds_bpermute_b32 v9, v13, v5
	ds_bpermute_b32 v10, v13, v6
	;; [unrolled: 1-line block ×3, first 2 shown]
	v_lshlrev_b32_e32 v13, 2, v12
	s_cselect_b64 s[0:1], -1, 0
	s_waitcnt lgkmcnt(2)
	v_pk_add_f32 v[4:5], v[4:5], v[8:9]
	ds_bpermute_b32 v8, v13, v4
	s_waitcnt lgkmcnt(1)
	v_pk_add_f32 v[10:11], v[6:7], v[10:11]
	ds_bpermute_b32 v9, v13, v5
	ds_bpermute_b32 v12, v13, v10
	;; [unrolled: 1-line block ×3, first 2 shown]
	s_cmp_eq_u32 s7, 0
	s_cselect_b64 s[2:3], -1, 0
	s_and_b64 s[0:1], s[2:3], s[0:1]
	s_waitcnt lgkmcnt(2)
	v_pk_add_f32 v[6:7], v[4:5], v[8:9]
	s_waitcnt lgkmcnt(0)
	v_pk_add_f32 v[4:5], v[10:11], v[12:13]
	s_and_b64 vcc, exec, s[0:1]
	s_cbranch_vccz .LBB26_12
; %bb.11:
	s_ashr_i32 s35, s34, 31
	s_lshl_b64 s[0:1], s[34:35], 2
	s_add_u32 s0, s20, s0
	s_addc_u32 s1, s21, s1
	v_mov_b32_e32 v8, 0
	global_load_dwordx2 v[12:13], v8, s[0:1]
	v_max_f32_e32 v8, v1, v1
	v_max_f32_e32 v10, v0, v0
	;; [unrolled: 1-line block ×4, first 2 shown]
	s_mov_b32 s2, 0x3fb8aa3b
	s_mov_b32 s0, 0xc2ce8ed0
	;; [unrolled: 1-line block ×3, first 2 shown]
	v_mov_b32_e32 v14, 0x7f800000
	s_waitcnt vmcnt(0)
	v_max_f32_e32 v16, v13, v13
	v_max_f32_e32 v17, v12, v12
	;; [unrolled: 1-line block ×4, first 2 shown]
	v_pk_add_f32 v[0:1], v[0:1], v[8:9] neg_lo:[0,1] neg_hi:[0,1]
	v_max_f32_e32 v11, v11, v16
	v_max_f32_e32 v10, v15, v17
	v_mul_f32_e32 v16, 0x3fb8aa3b, v1
	v_pk_add_f32 v[2:3], v[2:3], v[10:11] neg_lo:[0,1] neg_hi:[0,1]
	v_mul_f32_e32 v17, 0x3fb8aa3b, v0
	v_fma_f32 v37, v1, s2, -v16
	v_rndne_f32_e32 v38, v16
	v_mul_f32_e32 v18, 0x3fb8aa3b, v3
	v_fma_f32 v39, v0, s2, -v17
	v_rndne_f32_e32 v40, v17
	v_fmac_f32_e32 v37, 0x32a5705f, v1
	v_sub_f32_e32 v16, v16, v38
	v_mul_f32_e32 v19, 0x3fb8aa3b, v2
	v_fma_f32 v41, v3, s2, -v18
	v_rndne_f32_e32 v42, v18
	v_fmac_f32_e32 v39, 0x32a5705f, v0
	v_sub_f32_e32 v17, v17, v40
	v_add_f32_e32 v16, v16, v37
	v_fma_f32 v43, v2, s2, -v19
	v_rndne_f32_e32 v44, v19
	v_cvt_i32_f32_e32 v38, v38
	v_fmac_f32_e32 v41, 0x32a5705f, v3
	v_sub_f32_e32 v18, v18, v42
	v_add_f32_e32 v17, v17, v39
	v_exp_f32_e32 v16, v16
	v_cvt_i32_f32_e32 v40, v40
	v_fmac_f32_e32 v43, 0x32a5705f, v2
	v_sub_f32_e32 v19, v19, v44
	v_add_f32_e32 v18, v18, v41
	v_exp_f32_e32 v17, v17
	v_cvt_i32_f32_e32 v42, v42
	v_add_f32_e32 v19, v19, v43
	v_exp_f32_e32 v18, v18
	v_cvt_i32_f32_e32 v44, v44
	v_exp_f32_e32 v19, v19
	v_ldexp_f32 v16, v16, v38
	v_cmp_ngt_f32_e32 vcc, s0, v1
	v_ldexp_f32 v17, v17, v40
	v_cndmask_b32_e32 v16, 0, v16, vcc
	v_cmp_ngt_f32_e32 vcc, s0, v0
	v_ldexp_f32 v18, v18, v42
	v_cndmask_b32_e32 v17, 0, v17, vcc
	;; [unrolled: 3-line block ×3, first 2 shown]
	v_cmp_ngt_f32_e32 vcc, s0, v2
	v_cndmask_b32_e32 v19, 0, v19, vcc
	v_cmp_nlt_f32_e32 vcc, s1, v1
	v_sub_f32_e32 v15, v13, v9
	v_cndmask_b32_e32 v1, v14, v16, vcc
	v_cmp_nlt_f32_e32 vcc, s1, v0
	v_mul_f32_e32 v36, 0x3fb8aa3b, v15
	v_cndmask_b32_e32 v0, v14, v17, vcc
	v_cmp_nlt_f32_e32 vcc, s1, v3
	v_fma_f32 v45, v15, s2, -v36
	v_rndne_f32_e32 v46, v36
	v_cndmask_b32_e32 v3, v14, v18, vcc
	v_cmp_nlt_f32_e32 vcc, s1, v2
	v_fmac_f32_e32 v45, 0x32a5705f, v15
	v_sub_f32_e32 v36, v36, v46
	v_cndmask_b32_e32 v2, v14, v19, vcc
	v_cvt_f16_f32_e32 v16, v0
	v_add_f32_e32 v36, v36, v45
	v_cvt_f16_f32_e32 v18, v2
	v_cvt_i32_f32_e32 v46, v46
	v_exp_f32_e32 v36, v36
	v_cvt_f16_f32_e32 v17, v1
	v_cvt_f16_f32_e32 v19, v3
	v_pk_mul_f16 v32, v16, v32 op_sel_hi:[0,1]
	v_pk_mul_f16 v35, v16, v35 op_sel_hi:[0,1]
	;; [unrolled: 1-line block ×4, first 2 shown]
	v_sub_f32_e32 v16, v12, v10
	v_sub_f32_e32 v12, v12, v8
	v_pk_mul_f16 v24, v18, v24 op_sel_hi:[0,1]
	v_pk_mul_f16 v27, v18, v27 op_sel_hi:[0,1]
	;; [unrolled: 1-line block ×4, first 2 shown]
	v_mul_f32_e32 v18, 0x3fb8aa3b, v12
	v_pk_mul_f16 v28, v17, v28 op_sel_hi:[0,1]
	v_pk_mul_f16 v31, v17, v31 op_sel_hi:[0,1]
	;; [unrolled: 1-line block ×8, first 2 shown]
	v_sub_f32_e32 v17, v13, v11
	v_ldexp_f32 v13, v36, v46
	v_fma_f32 v19, v12, s2, -v18
	v_rndne_f32_e32 v36, v18
	v_fmac_f32_e32 v19, 0x32a5705f, v12
	v_sub_f32_e32 v18, v18, v36
	v_add_f32_e32 v18, v18, v19
	v_exp_f32_e32 v18, v18
	v_cvt_i32_f32_e32 v19, v36
	v_cmp_ngt_f32_e32 vcc, s0, v15
	v_cndmask_b32_e32 v13, 0, v13, vcc
	v_cmp_nlt_f32_e32 vcc, s1, v15
	v_ldexp_f32 v15, v18, v19
	v_mul_f32_e32 v18, 0x3fb8aa3b, v17
	v_fma_f32 v19, v17, s2, -v18
	v_rndne_f32_e32 v36, v18
	v_fmac_f32_e32 v19, 0x32a5705f, v17
	v_sub_f32_e32 v18, v18, v36
	v_add_f32_e32 v18, v18, v19
	v_exp_f32_e32 v18, v18
	v_cvt_i32_f32_e32 v19, v36
	v_cndmask_b32_e32 v13, v14, v13, vcc
	v_cmp_ngt_f32_e32 vcc, s0, v12
	v_cndmask_b32_e32 v15, 0, v15, vcc
	v_cmp_nlt_f32_e32 vcc, s1, v12
	v_cndmask_b32_e32 v12, v14, v15, vcc
	v_ldexp_f32 v15, v18, v19
	v_mul_f32_e32 v18, 0x3fb8aa3b, v16
	v_fma_f32 v19, v16, s2, -v18
	v_rndne_f32_e32 v36, v18
	v_fmac_f32_e32 v19, 0x32a5705f, v16
	v_sub_f32_e32 v18, v18, v36
	v_add_f32_e32 v18, v18, v19
	v_exp_f32_e32 v18, v18
	v_cvt_i32_f32_e32 v19, v36
	v_cmp_ngt_f32_e32 vcc, s0, v17
	v_cndmask_b32_e32 v15, 0, v15, vcc
	v_cmp_nlt_f32_e32 vcc, s1, v17
	v_cndmask_b32_e32 v15, v14, v15, vcc
	v_ldexp_f32 v17, v18, v19
	v_cmp_ngt_f32_e32 vcc, s0, v16
	v_cndmask_b32_e32 v17, 0, v17, vcc
	v_cmp_nlt_f32_e32 vcc, s1, v16
	v_cndmask_b32_e32 v14, v14, v17, vcc
	v_pk_fma_f32 v[4:5], v[4:5], v[2:3], v[14:15]
	v_pk_fma_f32 v[6:7], v[6:7], v[0:1], v[12:13]
	v_pk_mov_b32 v[0:1], v[8:9], v[8:9] op_sel:[0,1]
	v_pk_mov_b32 v[2:3], v[10:11], v[10:11] op_sel:[0,1]
.LBB26_12:
	v_cmp_gt_i32_e32 vcc, s30, v119
	s_and_saveexec_b64 s[0:1], vcc
	s_cbranch_execz .LBB26_31
; %bb.13:
	s_load_dword s6, s[4:5], 0xd4
	v_mov_b32_e32 v8, 1.0
	s_waitcnt lgkmcnt(0)
	s_cmp_lg_u32 s6, 1
	s_cselect_b64 s[2:3], -1, 0
	s_cmp_eq_u32 s6, 1
	s_cselect_b64 s[4:5], -1, 0
	s_and_b64 vcc, exec, s[2:3]
	s_cbranch_vccnz .LBB26_15
; %bb.14:
	v_div_scale_f32 v8, s[0:1], v6, v6, 1.0
	v_rcp_f32_e32 v9, v8
	v_div_scale_f32 v10, vcc, 1.0, v6, 1.0
	v_fma_f32 v11, -v8, v9, 1.0
	v_fmac_f32_e32 v9, v11, v9
	v_mul_f32_e32 v11, v10, v9
	v_fma_f32 v12, -v8, v11, v10
	v_fmac_f32_e32 v11, v12, v9
	v_fma_f32 v8, -v8, v11, v10
	v_div_fmas_f32 v8, v8, v9, v11
	v_div_fixup_f32 v8, v8, v6, 1.0
.LBB26_15:
	s_mul_i32 s8, s33, s30
	s_add_i32 s8, s8, s37
	v_add_u32_e32 v9, s8, v117
	v_mul_lo_u32 v9, v9, s31
	v_add_u32_e32 v10, s34, v9
	v_mul_lo_u32 v10, s6, v10
	v_add_u32_e32 v10, s7, v10
	v_cvt_f32_f16_sdwa v15, v32 dst_sel:DWORD dst_unused:UNUSED_PAD src0_sel:WORD_1
	v_cvt_f32_f16_e32 v14, v32
	v_cvt_f32_f16_sdwa v19, v35 dst_sel:DWORD dst_unused:UNUSED_PAD src0_sel:WORD_1
	v_cvt_f32_f16_e32 v18, v35
	v_lshl_add_u32 v16, v10, 8, v116
	v_mov_b32_e32 v17, 0
	v_lshlrev_b64 v[12:13], 2, v[16:17]
	v_mov_b32_e32 v11, s25
	v_add_co_u32_e64 v36, s[0:1], s24, v12
	v_addc_co_u32_e64 v37, s[0:1], v11, v13, s[0:1]
	v_pk_mul_f32 v[12:13], v[8:9], v[14:15] op_sel_hi:[0,1]
	v_pk_mul_f32 v[14:15], v[8:9], v[18:19] op_sel_hi:[0,1]
	v_add_u32_e32 v16, 0x80, v16
	global_store_dwordx4 v[36:37], v[12:15], off
	v_cmp_eq_u32_e32 vcc, 0, v118
	v_lshlrev_b64 v[12:13], 2, v[16:17]
	v_cvt_f32_f16_sdwa v15, v34 dst_sel:DWORD dst_unused:UNUSED_PAD src0_sel:WORD_1
	v_cvt_f32_f16_e32 v14, v34
	v_cvt_f32_f16_sdwa v17, v33 dst_sel:DWORD dst_unused:UNUSED_PAD src0_sel:WORD_1
	v_cvt_f32_f16_e32 v16, v33
	v_add_co_u32_e64 v18, s[0:1], s24, v12
	v_addc_co_u32_e64 v19, s[0:1], v11, v13, s[0:1]
	v_pk_mul_f32 v[12:13], v[8:9], v[14:15] op_sel_hi:[0,1]
	v_pk_mul_f32 v[14:15], v[8:9], v[16:17] op_sel_hi:[0,1]
	s_and_b64 s[2:3], vcc, s[2:3]
	global_store_dwordx4 v[18:19], v[12:15], off
	s_and_saveexec_b64 s[0:1], s[2:3]
	s_cbranch_execz .LBB26_17
; %bb.16:
	v_ashrrev_i32_e32 v11, 31, v10
	v_lshlrev_b64 v[10:11], 3, v[10:11]
	v_mov_b32_e32 v8, s27
	v_add_co_u32_e32 v10, vcc, s26, v10
	v_addc_co_u32_e32 v11, vcc, v8, v11, vcc
	v_mov_b32_e32 v12, v0
	v_mov_b32_e32 v13, v6
	global_store_dwordx2 v[10:11], v[12:13], off
.LBB26_17:
	s_or_b64 exec, exec, s[0:1]
	v_cndmask_b32_e64 v0, 0, 1, s[4:5]
	v_cmp_ne_u32_e64 s[0:1], 1, v0
	s_andn2_b64 vcc, exec, s[4:5]
	v_mov_b32_e32 v0, 1.0
	s_cbranch_vccnz .LBB26_19
; %bb.18:
	v_div_scale_f32 v0, s[4:5], v7, v7, 1.0
	v_rcp_f32_e32 v6, v0
	v_div_scale_f32 v8, vcc, 1.0, v7, 1.0
	v_fma_f32 v10, -v0, v6, 1.0
	v_fmac_f32_e32 v6, v10, v6
	v_mul_f32_e32 v10, v8, v6
	v_fma_f32 v11, -v0, v10, v8
	v_fmac_f32_e32 v10, v11, v6
	v_fma_f32 v0, -v0, v10, v8
	v_div_fmas_f32 v0, v0, v6, v10
	v_div_fixup_f32 v0, v0, v7, 1.0
.LBB26_19:
	s_add_i32 s9, s34, 1
	v_add_u32_e32 v6, s9, v9
	v_mul_lo_u32 v6, s6, v6
	v_add_u32_e32 v8, s7, v6
	v_cvt_f32_f16_sdwa v13, v28 dst_sel:DWORD dst_unused:UNUSED_PAD src0_sel:WORD_1
	v_cvt_f32_f16_e32 v12, v28
	v_cvt_f32_f16_sdwa v17, v31 dst_sel:DWORD dst_unused:UNUSED_PAD src0_sel:WORD_1
	v_cvt_f32_f16_e32 v16, v31
	v_lshl_add_u32 v14, v8, 8, v116
	v_mov_b32_e32 v15, 0
	v_lshlrev_b64 v[10:11], 2, v[14:15]
	v_mov_b32_e32 v6, s25
	v_add_co_u32_e32 v18, vcc, s24, v10
	v_addc_co_u32_e32 v19, vcc, v6, v11, vcc
	v_pk_mul_f32 v[10:11], v[0:1], v[12:13] op_sel_hi:[0,1]
	v_pk_mul_f32 v[12:13], v[0:1], v[16:17] op_sel_hi:[0,1]
	v_add_u32_e32 v14, 0x80, v14
	global_store_dwordx4 v[18:19], v[10:13], off
	s_nop 0
	v_lshlrev_b64 v[10:11], 2, v[14:15]
	v_cvt_f32_f16_sdwa v13, v30 dst_sel:DWORD dst_unused:UNUSED_PAD src0_sel:WORD_1
	v_cvt_f32_f16_e32 v12, v30
	v_cvt_f32_f16_sdwa v15, v29 dst_sel:DWORD dst_unused:UNUSED_PAD src0_sel:WORD_1
	v_cvt_f32_f16_e32 v14, v29
	v_add_co_u32_e32 v16, vcc, s24, v10
	v_addc_co_u32_e32 v17, vcc, v6, v11, vcc
	v_pk_mul_f32 v[10:11], v[0:1], v[12:13] op_sel_hi:[0,1]
	v_pk_mul_f32 v[12:13], v[0:1], v[14:15] op_sel_hi:[0,1]
	global_store_dwordx4 v[16:17], v[10:13], off
	s_and_saveexec_b64 s[4:5], s[2:3]
	s_cbranch_execz .LBB26_21
; %bb.20:
	v_ashrrev_i32_e32 v9, 31, v8
	v_lshlrev_b64 v[8:9], 3, v[8:9]
	v_mov_b32_e32 v0, s27
	v_add_co_u32_e32 v8, vcc, s26, v8
	v_addc_co_u32_e32 v9, vcc, v0, v9, vcc
	v_mov_b32_e32 v6, v1
	global_store_dwordx2 v[8:9], v[6:7], off
.LBB26_21:
	s_or_b64 exec, exec, s[4:5]
	v_cmp_gt_i32_e32 vcc, s30, v115
	s_and_b64 exec, exec, vcc
	s_cbranch_execz .LBB26_31
; %bb.22:
	s_and_b64 vcc, exec, s[0:1]
	v_mov_b32_e32 v6, 1.0
	s_cbranch_vccnz .LBB26_24
; %bb.23:
	v_div_scale_f32 v0, s[4:5], v4, v4, 1.0
	v_rcp_f32_e32 v1, v0
	v_div_scale_f32 v6, vcc, 1.0, v4, 1.0
	v_fma_f32 v7, -v0, v1, 1.0
	v_fmac_f32_e32 v1, v7, v1
	v_mul_f32_e32 v7, v6, v1
	v_fma_f32 v8, -v0, v7, v6
	v_fmac_f32_e32 v7, v8, v1
	v_fma_f32 v0, -v0, v7, v6
	v_div_fmas_f32 v0, v0, v1, v7
	v_div_fixup_f32 v6, v0, v4, 1.0
.LBB26_24:
	v_add_u32_e32 v0, s8, v114
	v_mul_lo_u32 v0, v0, s31
	v_add_u32_e32 v0, s34, v0
	v_mul_lo_u32 v0, s6, v0
	v_add_u32_e32 v0, s7, v0
	v_cvt_f32_f16_sdwa v11, v24 dst_sel:DWORD dst_unused:UNUSED_PAD src0_sel:WORD_1
	v_cvt_f32_f16_e32 v10, v24
	v_cvt_f32_f16_sdwa v15, v27 dst_sel:DWORD dst_unused:UNUSED_PAD src0_sel:WORD_1
	v_cvt_f32_f16_e32 v14, v27
	v_lshl_add_u32 v12, v0, 8, v116
	v_mov_b32_e32 v13, 0
	v_lshlrev_b64 v[8:9], 2, v[12:13]
	v_mov_b32_e32 v1, s25
	v_add_co_u32_e32 v16, vcc, s24, v8
	v_addc_co_u32_e32 v17, vcc, v1, v9, vcc
	v_pk_mul_f32 v[8:9], v[6:7], v[10:11] op_sel_hi:[0,1]
	v_pk_mul_f32 v[10:11], v[6:7], v[14:15] op_sel_hi:[0,1]
	v_add_u32_e32 v12, 0x80, v12
	global_store_dwordx4 v[16:17], v[8:11], off
	s_nop 0
	v_lshlrev_b64 v[8:9], 2, v[12:13]
	v_cvt_f32_f16_sdwa v11, v26 dst_sel:DWORD dst_unused:UNUSED_PAD src0_sel:WORD_1
	v_cvt_f32_f16_e32 v10, v26
	v_cvt_f32_f16_sdwa v13, v25 dst_sel:DWORD dst_unused:UNUSED_PAD src0_sel:WORD_1
	v_cvt_f32_f16_e32 v12, v25
	v_add_co_u32_e32 v14, vcc, s24, v8
	v_addc_co_u32_e32 v15, vcc, v1, v9, vcc
	v_pk_mul_f32 v[8:9], v[6:7], v[10:11] op_sel_hi:[0,1]
	v_pk_mul_f32 v[10:11], v[6:7], v[12:13] op_sel_hi:[0,1]
	global_store_dwordx4 v[14:15], v[8:11], off
	s_and_saveexec_b64 s[4:5], s[2:3]
	s_cbranch_execz .LBB26_26
; %bb.25:
	v_ashrrev_i32_e32 v1, 31, v0
	v_lshlrev_b64 v[0:1], 3, v[0:1]
	v_mov_b32_e32 v6, s27
	v_add_co_u32_e32 v0, vcc, s26, v0
	v_addc_co_u32_e32 v1, vcc, v6, v1, vcc
	v_mov_b32_e32 v6, v2
	v_mov_b32_e32 v7, v4
	global_store_dwordx2 v[0:1], v[6:7], off
.LBB26_26:
	s_or_b64 exec, exec, s[4:5]
	v_cmp_gt_i32_e32 vcc, s30, v113
	s_and_b64 exec, exec, vcc
	s_cbranch_execz .LBB26_31
; %bb.27:
	s_and_b64 vcc, exec, s[0:1]
	v_mov_b32_e32 v2, 1.0
	s_cbranch_vccnz .LBB26_29
; %bb.28:
	v_div_scale_f32 v0, s[0:1], v5, v5, 1.0
	v_rcp_f32_e32 v1, v0
	v_div_scale_f32 v2, vcc, 1.0, v5, 1.0
	v_fma_f32 v4, -v0, v1, 1.0
	v_fmac_f32_e32 v1, v4, v1
	v_mul_f32_e32 v4, v2, v1
	v_fma_f32 v6, -v0, v4, v2
	v_fmac_f32_e32 v4, v6, v1
	v_fma_f32 v0, -v0, v4, v2
	v_div_fmas_f32 v0, v0, v1, v4
	v_div_fixup_f32 v2, v0, v5, 1.0
.LBB26_29:
	v_add_u32_e32 v0, s8, v112
	v_mul_lo_u32 v0, v0, s31
	v_add_u32_e32 v0, s9, v0
	v_mul_lo_u32 v0, s6, v0
	v_add_u32_e32 v0, s7, v0
	v_cvt_f32_f16_sdwa v9, v23 dst_sel:DWORD dst_unused:UNUSED_PAD src0_sel:WORD_1
	v_cvt_f32_f16_e32 v8, v23
	v_cvt_f32_f16_sdwa v13, v22 dst_sel:DWORD dst_unused:UNUSED_PAD src0_sel:WORD_1
	v_cvt_f32_f16_e32 v12, v22
	v_lshl_add_u32 v10, v0, 8, v116
	v_mov_b32_e32 v11, 0
	v_lshlrev_b64 v[6:7], 2, v[10:11]
	v_mov_b32_e32 v1, s25
	v_add_co_u32_e32 v14, vcc, s24, v6
	v_addc_co_u32_e32 v15, vcc, v1, v7, vcc
	v_pk_mul_f32 v[6:7], v[2:3], v[8:9] op_sel_hi:[0,1]
	v_pk_mul_f32 v[8:9], v[2:3], v[12:13] op_sel_hi:[0,1]
	v_add_u32_e32 v10, 0x80, v10
	global_store_dwordx4 v[14:15], v[6:9], off
	s_nop 0
	v_lshlrev_b64 v[6:7], 2, v[10:11]
	v_cvt_f32_f16_sdwa v9, v21 dst_sel:DWORD dst_unused:UNUSED_PAD src0_sel:WORD_1
	v_cvt_f32_f16_e32 v8, v21
	v_cvt_f32_f16_sdwa v11, v20 dst_sel:DWORD dst_unused:UNUSED_PAD src0_sel:WORD_1
	v_cvt_f32_f16_e32 v10, v20
	v_add_co_u32_e32 v12, vcc, s24, v6
	v_addc_co_u32_e32 v13, vcc, v1, v7, vcc
	v_pk_mul_f32 v[6:7], v[2:3], v[8:9] op_sel_hi:[0,1]
	v_pk_mul_f32 v[8:9], v[2:3], v[10:11] op_sel_hi:[0,1]
	global_store_dwordx4 v[12:13], v[6:9], off
	s_and_b64 exec, exec, s[2:3]
	s_cbranch_execz .LBB26_31
; %bb.30:
	v_ashrrev_i32_e32 v1, 31, v0
	v_lshlrev_b64 v[0:1], 3, v[0:1]
	v_mov_b32_e32 v2, s27
	v_add_co_u32_e32 v0, vcc, s26, v0
	v_addc_co_u32_e32 v1, vcc, v2, v1, vcc
	v_mov_b32_e32 v4, v3
	global_store_dwordx2 v[0:1], v[4:5], off
.LBB26_31:
	s_endpgm
	.section	.rodata,"a",@progbits
	.p2align	6, 0x0
	.amdhsa_kernel _ZL15flash_attn_tileILi256ELi256ELi16ELi2ELb0EEvPKcS1_S1_S1_S1_PKiPfP15HIP_vector_typeIfLj2EEffffjfiS5_IjLj3EEiiiiiiiiiiiliiliiiiil
		.amdhsa_group_segment_fixed_size 27136
		.amdhsa_private_segment_fixed_size 0
		.amdhsa_kernarg_size 464
		.amdhsa_user_sgpr_count 6
		.amdhsa_user_sgpr_private_segment_buffer 1
		.amdhsa_user_sgpr_dispatch_ptr 0
		.amdhsa_user_sgpr_queue_ptr 0
		.amdhsa_user_sgpr_kernarg_segment_ptr 1
		.amdhsa_user_sgpr_dispatch_id 0
		.amdhsa_user_sgpr_flat_scratch_init 0
		.amdhsa_user_sgpr_kernarg_preload_length 0
		.amdhsa_user_sgpr_kernarg_preload_offset 0
		.amdhsa_user_sgpr_private_segment_size 0
		.amdhsa_uses_dynamic_stack 0
		.amdhsa_system_sgpr_private_segment_wavefront_offset 0
		.amdhsa_system_sgpr_workgroup_id_x 1
		.amdhsa_system_sgpr_workgroup_id_y 1
		.amdhsa_system_sgpr_workgroup_id_z 1
		.amdhsa_system_sgpr_workgroup_info 0
		.amdhsa_system_vgpr_workitem_id 1
		.amdhsa_next_free_vgpr 175
		.amdhsa_next_free_sgpr 44
		.amdhsa_accum_offset 176
		.amdhsa_reserve_vcc 1
		.amdhsa_reserve_flat_scratch 0
		.amdhsa_float_round_mode_32 0
		.amdhsa_float_round_mode_16_64 0
		.amdhsa_float_denorm_mode_32 3
		.amdhsa_float_denorm_mode_16_64 3
		.amdhsa_dx10_clamp 1
		.amdhsa_ieee_mode 1
		.amdhsa_fp16_overflow 0
		.amdhsa_tg_split 0
		.amdhsa_exception_fp_ieee_invalid_op 0
		.amdhsa_exception_fp_denorm_src 0
		.amdhsa_exception_fp_ieee_div_zero 0
		.amdhsa_exception_fp_ieee_overflow 0
		.amdhsa_exception_fp_ieee_underflow 0
		.amdhsa_exception_fp_ieee_inexact 0
		.amdhsa_exception_int_div_zero 0
	.end_amdhsa_kernel
	.section	.text._ZL15flash_attn_tileILi256ELi256ELi16ELi2ELb0EEvPKcS1_S1_S1_S1_PKiPfP15HIP_vector_typeIfLj2EEffffjfiS5_IjLj3EEiiiiiiiiiiiliiliiiiil,"axG",@progbits,_ZL15flash_attn_tileILi256ELi256ELi16ELi2ELb0EEvPKcS1_S1_S1_S1_PKiPfP15HIP_vector_typeIfLj2EEffffjfiS5_IjLj3EEiiiiiiiiiiiliiliiiiil,comdat
.Lfunc_end26:
	.size	_ZL15flash_attn_tileILi256ELi256ELi16ELi2ELb0EEvPKcS1_S1_S1_S1_PKiPfP15HIP_vector_typeIfLj2EEffffjfiS5_IjLj3EEiiiiiiiiiiiliiliiiiil, .Lfunc_end26-_ZL15flash_attn_tileILi256ELi256ELi16ELi2ELb0EEvPKcS1_S1_S1_S1_PKiPfP15HIP_vector_typeIfLj2EEffffjfiS5_IjLj3EEiiiiiiiiiiiliiliiiiil
                                        ; -- End function
	.section	.AMDGPU.csdata,"",@progbits
; Kernel info:
; codeLenInByte = 17352
; NumSgprs: 48
; NumVgprs: 175
; NumAgprs: 0
; TotalNumVgprs: 175
; ScratchSize: 0
; MemoryBound: 0
; FloatMode: 240
; IeeeMode: 1
; LDSByteSize: 27136 bytes/workgroup (compile time only)
; SGPRBlocks: 5
; VGPRBlocks: 21
; NumSGPRsForWavesPerEU: 48
; NumVGPRsForWavesPerEU: 175
; AccumOffset: 176
; Occupancy: 2
; WaveLimiterHint : 1
; COMPUTE_PGM_RSRC2:SCRATCH_EN: 0
; COMPUTE_PGM_RSRC2:USER_SGPR: 6
; COMPUTE_PGM_RSRC2:TRAP_HANDLER: 0
; COMPUTE_PGM_RSRC2:TGID_X_EN: 1
; COMPUTE_PGM_RSRC2:TGID_Y_EN: 1
; COMPUTE_PGM_RSRC2:TGID_Z_EN: 1
; COMPUTE_PGM_RSRC2:TIDIG_COMP_CNT: 1
; COMPUTE_PGM_RSRC3_GFX90A:ACCUM_OFFSET: 43
; COMPUTE_PGM_RSRC3_GFX90A:TG_SPLIT: 0
	.section	.text._ZL25flash_attn_mask_to_KV_maxILi16EEvPK7__half2Piiii,"axG",@progbits,_ZL25flash_attn_mask_to_KV_maxILi16EEvPK7__half2Piiii,comdat
	.globl	_ZL25flash_attn_mask_to_KV_maxILi16EEvPK7__half2Piiii ; -- Begin function _ZL25flash_attn_mask_to_KV_maxILi16EEvPK7__half2Piiii
	.p2align	8
	.type	_ZL25flash_attn_mask_to_KV_maxILi16EEvPK7__half2Piiii,@function
_ZL25flash_attn_mask_to_KV_maxILi16EEvPK7__half2Piiii: ; @_ZL25flash_attn_mask_to_KV_maxILi16EEvPK7__half2Piiii
; %bb.0:
	s_load_dwordx4 s[8:11], s[4:5], 0x0
	v_cmp_gt_u32_e32 vcc, 32, v0
	s_and_saveexec_b64 s[0:1], vcc
	s_cbranch_execz .LBB27_2
; %bb.1:
	v_lshlrev_b32_e32 v1, 2, v0
	v_mov_b32_e32 v2, 1
	ds_write_b32 v1, v2
.LBB27_2:
	s_or_b64 exec, exec, s[0:1]
	s_load_dwordx4 s[12:15], s[4:5], 0x10
	s_load_dword s33, s[4:5], 0x20
	v_and_b32_e32 v2, 31, v0
	v_lshlrev_b32_e32 v6, 2, v2
	v_lshrrev_b32_e32 v1, 3, v0
	s_waitcnt lgkmcnt(0)
	s_mul_i32 s1, s6, s13
	s_mul_i32 s0, s7, s14
	s_lshl_b32 s1, s1, 4
	s_add_i32 s0, s0, s1
	s_ashr_i32 s1, s0, 31
	s_lshl_b64 s[0:1], s[0:1], 2
	s_add_u32 s74, s8, s0
	s_addc_u32 s75, s9, s1
	v_cmp_eq_u32_e64 s[0:1], 0, v2
	v_mbcnt_lo_u32_b32 v2, -1, 0
	s_lshl_b32 s12, s12, 8
	s_mov_b64 s[4:5], 0
	v_mov_b32_e32 v3, 0
	s_movk_i32 s76, 0x204
	s_movk_i32 s77, 0x7fff
	;; [unrolled: 1-line block ×3, first 2 shown]
	v_mbcnt_hi_u32_b32 v7, -1, v2
	s_barrier
	s_waitcnt lgkmcnt(0)
                                        ; implicit-def: $sgpr2_sgpr3
	s_branch .LBB27_5
.LBB27_3:                               ;   in Loop: Header=BB27_5 Depth=1
	s_or_b64 exec, exec, s[8:9]
	s_waitcnt lgkmcnt(0)
	s_barrier
	ds_read_b32 v10, v6
	s_waitcnt lgkmcnt(0)
	s_barrier
	ds_bpermute_b32 v2, v2, v10
	v_cmp_ne_u32_e32 vcc, 0, v10
	s_waitcnt lgkmcnt(0)
	v_cmp_ne_u32_e64 s[2:3], 0, v2
	s_and_b64 s[2:3], vcc, s[2:3]
	v_cndmask_b32_e64 v2, 0, 1, s[2:3]
	ds_bpermute_b32 v2, v4, v2
	s_waitcnt lgkmcnt(0)
	v_cmp_ne_u32_e32 vcc, 0, v2
	s_and_b64 s[2:3], vcc, s[2:3]
	v_cndmask_b32_e64 v2, 0, 1, s[2:3]
	ds_bpermute_b32 v2, v5, v2
	s_waitcnt lgkmcnt(0)
	v_cmp_ne_u32_e32 vcc, 0, v2
	;; [unrolled: 5-line block ×3, first 2 shown]
	s_and_b64 s[2:3], vcc, s[2:3]
	v_cndmask_b32_e64 v2, 0, 1, s[2:3]
	ds_bpermute_b32 v2, v9, v2
	s_xor_b64 s[2:3], s[2:3], -1
	s_waitcnt lgkmcnt(0)
	v_cmp_eq_u32_e32 vcc, 0, v2
	s_or_b64 s[2:3], vcc, s[2:3]
.LBB27_4:                               ;   in Loop: Header=BB27_5 Depth=1
	s_and_b64 s[8:9], exec, s[2:3]
	s_or_b64 s[4:5], s[8:9], s[4:5]
	v_mov_b32_e32 v2, s12
	s_mov_b32 s12, s79
	s_andn2_b64 exec, exec, s[4:5]
	s_cbranch_execz .LBB27_68
.LBB27_5:                               ; =>This Inner Loop Header: Depth=1
	s_add_i32 s79, s12, 0xffffff00
	s_or_b64 s[2:3], s[2:3], exec
	s_cmp_lt_i32 s79, 0
	s_cbranch_scc1 .LBB27_4
; %bb.6:                                ;   in Loop: Header=BB27_5 Depth=1
	s_lshr_b32 s2, s79, 1
	v_add_u32_e32 v2, s2, v0
	v_lshlrev_b64 v[4:5], 2, v[2:3]
	v_mov_b32_e32 v8, s75
	v_add_co_u32_e32 v4, vcc, s74, v4
	v_addc_co_u32_e32 v5, vcc, v8, v5, vcc
	global_load_dword v4, v[4:5], off
	s_mov_b64 s[8:9], 0
	s_waitcnt vmcnt(0)
	v_cmp_class_f16_e64 s[2:3], v4, s76
	v_and_b32_sdwa v4, s77, v4 dst_sel:DWORD dst_unused:UNUSED_PAD src0_sel:DWORD src1_sel:WORD_1
	v_cmp_eq_f16_e32 vcc, s78, v4
	s_and_b64 s[14:15], s[2:3], vcc
	s_and_saveexec_b64 s[2:3], s[14:15]
	s_cbranch_execz .LBB27_66
; %bb.7:                                ;   in Loop: Header=BB27_5 Depth=1
	v_add_u32_e32 v4, s13, v2
	v_ashrrev_i32_e32 v5, 31, v4
	v_lshlrev_b64 v[8:9], 2, v[4:5]
	v_mov_b32_e32 v2, s75
	v_add_co_u32_e32 v8, vcc, s74, v8
	v_addc_co_u32_e32 v9, vcc, v2, v9, vcc
	global_load_dword v2, v[8:9], off
	s_mov_b64 s[14:15], 0
	s_waitcnt vmcnt(0)
	v_cmp_class_f16_e64 s[16:17], v2, s76
	s_and_saveexec_b64 s[8:9], s[16:17]
	s_cbranch_execz .LBB27_65
; %bb.8:                                ;   in Loop: Header=BB27_5 Depth=1
	v_cmp_class_f16_sdwa s[18:19], v2, s76 src0_sel:WORD_1 src1_sel:DWORD
	s_mov_b64 s[16:17], 0
	s_and_saveexec_b64 s[14:15], s[18:19]
	s_cbranch_execz .LBB27_64
; %bb.9:                                ;   in Loop: Header=BB27_5 Depth=1
	v_add_u32_e32 v4, s13, v4
	v_ashrrev_i32_e32 v5, 31, v4
	v_lshlrev_b64 v[8:9], 2, v[4:5]
	v_mov_b32_e32 v2, s75
	v_add_co_u32_e32 v8, vcc, s74, v8
	v_addc_co_u32_e32 v9, vcc, v2, v9, vcc
	global_load_dword v2, v[8:9], off
	s_mov_b64 s[18:19], 0
	s_waitcnt vmcnt(0)
	v_cmp_class_f16_e64 s[20:21], v2, s76
	s_and_saveexec_b64 s[16:17], s[20:21]
	s_cbranch_execz .LBB27_63
; %bb.10:                               ;   in Loop: Header=BB27_5 Depth=1
	v_cmp_class_f16_sdwa s[22:23], v2, s76 src0_sel:WORD_1 src1_sel:DWORD
	s_mov_b64 s[20:21], 0
	s_and_saveexec_b64 s[18:19], s[22:23]
	s_cbranch_execz .LBB27_62
; %bb.11:                               ;   in Loop: Header=BB27_5 Depth=1
	v_add_u32_e32 v4, s13, v4
	v_ashrrev_i32_e32 v5, 31, v4
	v_lshlrev_b64 v[8:9], 2, v[4:5]
	v_mov_b32_e32 v2, s75
	v_add_co_u32_e32 v8, vcc, s74, v8
	v_addc_co_u32_e32 v9, vcc, v2, v9, vcc
	global_load_dword v2, v[8:9], off
	s_mov_b64 s[22:23], 0
	s_waitcnt vmcnt(0)
	v_cmp_class_f16_e64 s[24:25], v2, s76
	s_and_saveexec_b64 s[20:21], s[24:25]
	s_cbranch_execz .LBB27_61
; %bb.12:                               ;   in Loop: Header=BB27_5 Depth=1
	v_cmp_class_f16_sdwa s[26:27], v2, s76 src0_sel:WORD_1 src1_sel:DWORD
	s_mov_b64 s[24:25], 0
	s_and_saveexec_b64 s[22:23], s[26:27]
	s_cbranch_execz .LBB27_60
; %bb.13:                               ;   in Loop: Header=BB27_5 Depth=1
	;; [unrolled: 18-line block ×13, first 2 shown]
	v_add_u32_e32 v4, s13, v4
	v_ashrrev_i32_e32 v5, 31, v4
	v_lshlrev_b64 v[4:5], 2, v[4:5]
	v_mov_b32_e32 v2, s75
	v_add_co_u32_e32 v4, vcc, s74, v4
	v_addc_co_u32_e32 v5, vcc, v2, v5, vcc
	global_load_dword v2, v[4:5], off
	s_waitcnt vmcnt(0)
	v_cmp_class_f16_e64 s[80:81], v2, s76
	s_and_saveexec_b64 s[72:73], s[80:81]
; %bb.36:                               ;   in Loop: Header=BB27_5 Depth=1
	v_cmp_class_f16_sdwa s[70:71], v2, s76 src0_sel:WORD_1 src1_sel:DWORD
	s_and_b64 s[70:71], s[70:71], exec
; %bb.37:                               ;   in Loop: Header=BB27_5 Depth=1
	s_or_b64 exec, exec, s[72:73]
	s_and_b64 s[70:71], s[70:71], exec
.LBB27_38:                              ;   in Loop: Header=BB27_5 Depth=1
	s_or_b64 exec, exec, s[68:69]
	s_and_b64 s[68:69], s[70:71], exec
.LBB27_39:                              ;   in Loop: Header=BB27_5 Depth=1
	s_or_b64 exec, exec, s[66:67]
	s_and_b64 s[66:67], s[68:69], exec
.LBB27_40:                              ;   in Loop: Header=BB27_5 Depth=1
	s_or_b64 exec, exec, s[64:65]
	s_and_b64 s[64:65], s[66:67], exec
.LBB27_41:                              ;   in Loop: Header=BB27_5 Depth=1
	s_or_b64 exec, exec, s[62:63]
	s_and_b64 s[62:63], s[64:65], exec
.LBB27_42:                              ;   in Loop: Header=BB27_5 Depth=1
	s_or_b64 exec, exec, s[60:61]
	s_and_b64 s[60:61], s[62:63], exec
.LBB27_43:                              ;   in Loop: Header=BB27_5 Depth=1
	s_or_b64 exec, exec, s[58:59]
	s_and_b64 s[58:59], s[60:61], exec
.LBB27_44:                              ;   in Loop: Header=BB27_5 Depth=1
	s_or_b64 exec, exec, s[56:57]
	s_and_b64 s[56:57], s[58:59], exec
.LBB27_45:                              ;   in Loop: Header=BB27_5 Depth=1
	s_or_b64 exec, exec, s[54:55]
	s_and_b64 s[54:55], s[56:57], exec
.LBB27_46:                              ;   in Loop: Header=BB27_5 Depth=1
	s_or_b64 exec, exec, s[52:53]
	s_and_b64 s[52:53], s[54:55], exec
.LBB27_47:                              ;   in Loop: Header=BB27_5 Depth=1
	s_or_b64 exec, exec, s[50:51]
	s_and_b64 s[50:51], s[52:53], exec
.LBB27_48:                              ;   in Loop: Header=BB27_5 Depth=1
	s_or_b64 exec, exec, s[48:49]
	s_and_b64 s[48:49], s[50:51], exec
.LBB27_49:                              ;   in Loop: Header=BB27_5 Depth=1
	s_or_b64 exec, exec, s[46:47]
	s_and_b64 s[46:47], s[48:49], exec
.LBB27_50:                              ;   in Loop: Header=BB27_5 Depth=1
	s_or_b64 exec, exec, s[44:45]
	s_and_b64 s[44:45], s[46:47], exec
.LBB27_51:                              ;   in Loop: Header=BB27_5 Depth=1
	s_or_b64 exec, exec, s[42:43]
	s_and_b64 s[42:43], s[44:45], exec
.LBB27_52:                              ;   in Loop: Header=BB27_5 Depth=1
	s_or_b64 exec, exec, s[40:41]
	s_and_b64 s[40:41], s[42:43], exec
.LBB27_53:                              ;   in Loop: Header=BB27_5 Depth=1
	s_or_b64 exec, exec, s[38:39]
	s_and_b64 s[38:39], s[40:41], exec
.LBB27_54:                              ;   in Loop: Header=BB27_5 Depth=1
	s_or_b64 exec, exec, s[36:37]
	s_and_b64 s[36:37], s[38:39], exec
.LBB27_55:                              ;   in Loop: Header=BB27_5 Depth=1
	s_or_b64 exec, exec, s[34:35]
	s_and_b64 s[34:35], s[36:37], exec
.LBB27_56:                              ;   in Loop: Header=BB27_5 Depth=1
	s_or_b64 exec, exec, s[30:31]
	s_and_b64 s[30:31], s[34:35], exec
.LBB27_57:                              ;   in Loop: Header=BB27_5 Depth=1
	s_or_b64 exec, exec, s[28:29]
	s_and_b64 s[28:29], s[30:31], exec
.LBB27_58:                              ;   in Loop: Header=BB27_5 Depth=1
	s_or_b64 exec, exec, s[26:27]
	s_and_b64 s[26:27], s[28:29], exec
.LBB27_59:                              ;   in Loop: Header=BB27_5 Depth=1
	s_or_b64 exec, exec, s[24:25]
	s_and_b64 s[24:25], s[26:27], exec
.LBB27_60:                              ;   in Loop: Header=BB27_5 Depth=1
	s_or_b64 exec, exec, s[22:23]
	s_and_b64 s[22:23], s[24:25], exec
.LBB27_61:                              ;   in Loop: Header=BB27_5 Depth=1
	s_or_b64 exec, exec, s[20:21]
	s_and_b64 s[20:21], s[22:23], exec
.LBB27_62:                              ;   in Loop: Header=BB27_5 Depth=1
	s_or_b64 exec, exec, s[18:19]
	s_and_b64 s[18:19], s[20:21], exec
.LBB27_63:                              ;   in Loop: Header=BB27_5 Depth=1
	s_or_b64 exec, exec, s[16:17]
	s_and_b64 s[16:17], s[18:19], exec
.LBB27_64:                              ;   in Loop: Header=BB27_5 Depth=1
	s_or_b64 exec, exec, s[14:15]
	s_and_b64 s[14:15], s[16:17], exec
.LBB27_65:                              ;   in Loop: Header=BB27_5 Depth=1
	s_or_b64 exec, exec, s[8:9]
	s_and_b64 s[8:9], s[14:15], exec
.LBB27_66:                              ;   in Loop: Header=BB27_5 Depth=1
	s_or_b64 exec, exec, s[2:3]
	v_and_b32_e32 v2, 0x60, v7
	v_add_u32_e32 v9, 32, v2
	v_xor_b32_e32 v2, 16, v7
	v_cmp_lt_i32_e32 vcc, v2, v9
	v_cndmask_b32_e32 v2, v7, v2, vcc
	v_cndmask_b32_e64 v4, 0, 1, s[8:9]
	v_lshlrev_b32_e32 v2, 2, v2
	ds_bpermute_b32 v4, v2, v4
	v_xor_b32_e32 v11, 1, v7
	s_waitcnt lgkmcnt(0)
	v_cmp_ne_u32_e32 vcc, 0, v4
	v_xor_b32_e32 v4, 8, v7
	s_and_b64 s[2:3], s[8:9], vcc
	v_cmp_lt_i32_e32 vcc, v4, v9
	v_cndmask_b32_e32 v4, v7, v4, vcc
	v_cndmask_b32_e64 v5, 0, 1, s[2:3]
	v_lshlrev_b32_e32 v4, 2, v4
	ds_bpermute_b32 v5, v4, v5
	s_waitcnt lgkmcnt(0)
	v_cmp_ne_u32_e32 vcc, 0, v5
	v_xor_b32_e32 v5, 4, v7
	s_and_b64 s[2:3], vcc, s[2:3]
	v_cmp_lt_i32_e32 vcc, v5, v9
	v_cndmask_b32_e32 v5, v7, v5, vcc
	v_cndmask_b32_e64 v8, 0, 1, s[2:3]
	v_lshlrev_b32_e32 v5, 2, v5
	ds_bpermute_b32 v8, v5, v8
	s_waitcnt lgkmcnt(0)
	v_cmp_ne_u32_e32 vcc, 0, v8
	v_xor_b32_e32 v8, 2, v7
	s_and_b64 s[2:3], vcc, s[2:3]
	v_cmp_lt_i32_e32 vcc, v8, v9
	v_cndmask_b32_e32 v8, v7, v8, vcc
	v_cndmask_b32_e64 v10, 0, 1, s[2:3]
	v_lshlrev_b32_e32 v8, 2, v8
	ds_bpermute_b32 v10, v8, v10
	s_waitcnt lgkmcnt(0)
	v_cmp_ne_u32_e32 vcc, 0, v10
	s_and_b64 s[2:3], vcc, s[2:3]
	v_cmp_lt_i32_e32 vcc, v11, v9
	v_cndmask_b32_e32 v9, v7, v11, vcc
	v_cndmask_b32_e64 v10, 0, 1, s[2:3]
	v_lshlrev_b32_e32 v9, 2, v9
	ds_bpermute_b32 v10, v9, v10
	s_and_saveexec_b64 s[8:9], s[0:1]
	s_cbranch_execz .LBB27_3
; %bb.67:                               ;   in Loop: Header=BB27_5 Depth=1
	s_waitcnt lgkmcnt(0)
	v_cmp_ne_u32_e32 vcc, 0, v10
	s_and_b64 s[2:3], vcc, s[2:3]
	v_cndmask_b32_e64 v10, 0, 1, s[2:3]
	ds_write_b32 v1, v10
	s_branch .LBB27_3
.LBB27_68:
	s_or_b64 exec, exec, s[4:5]
	v_cmp_eq_u32_e32 vcc, 0, v0
	s_and_saveexec_b64 s[0:1], vcc
	s_cbranch_execz .LBB27_70
; %bb.69:
	s_mul_i32 s0, s33, s7
	s_add_i32 s0, s0, s6
	s_ashr_i32 s1, s0, 31
	s_lshl_b64 s[0:1], s[0:1], 2
	s_add_u32 s0, s10, s0
	s_addc_u32 s1, s11, s1
	v_mov_b32_e32 v0, 0
	global_store_dword v0, v2, s[0:1]
.LBB27_70:
	s_endpgm
	.section	.rodata,"a",@progbits
	.p2align	6, 0x0
	.amdhsa_kernel _ZL25flash_attn_mask_to_KV_maxILi16EEvPK7__half2Piiii
		.amdhsa_group_segment_fixed_size 128
		.amdhsa_private_segment_fixed_size 0
		.amdhsa_kernarg_size 288
		.amdhsa_user_sgpr_count 6
		.amdhsa_user_sgpr_private_segment_buffer 1
		.amdhsa_user_sgpr_dispatch_ptr 0
		.amdhsa_user_sgpr_queue_ptr 0
		.amdhsa_user_sgpr_kernarg_segment_ptr 1
		.amdhsa_user_sgpr_dispatch_id 0
		.amdhsa_user_sgpr_flat_scratch_init 0
		.amdhsa_user_sgpr_kernarg_preload_length 0
		.amdhsa_user_sgpr_kernarg_preload_offset 0
		.amdhsa_user_sgpr_private_segment_size 0
		.amdhsa_uses_dynamic_stack 0
		.amdhsa_system_sgpr_private_segment_wavefront_offset 0
		.amdhsa_system_sgpr_workgroup_id_x 1
		.amdhsa_system_sgpr_workgroup_id_y 1
		.amdhsa_system_sgpr_workgroup_id_z 0
		.amdhsa_system_sgpr_workgroup_info 0
		.amdhsa_system_vgpr_workitem_id 0
		.amdhsa_next_free_vgpr 12
		.amdhsa_next_free_sgpr 82
		.amdhsa_accum_offset 12
		.amdhsa_reserve_vcc 1
		.amdhsa_reserve_flat_scratch 0
		.amdhsa_float_round_mode_32 0
		.amdhsa_float_round_mode_16_64 0
		.amdhsa_float_denorm_mode_32 3
		.amdhsa_float_denorm_mode_16_64 3
		.amdhsa_dx10_clamp 1
		.amdhsa_ieee_mode 1
		.amdhsa_fp16_overflow 0
		.amdhsa_tg_split 0
		.amdhsa_exception_fp_ieee_invalid_op 0
		.amdhsa_exception_fp_denorm_src 0
		.amdhsa_exception_fp_ieee_div_zero 0
		.amdhsa_exception_fp_ieee_overflow 0
		.amdhsa_exception_fp_ieee_underflow 0
		.amdhsa_exception_fp_ieee_inexact 0
		.amdhsa_exception_int_div_zero 0
	.end_amdhsa_kernel
	.section	.text._ZL25flash_attn_mask_to_KV_maxILi16EEvPK7__half2Piiii,"axG",@progbits,_ZL25flash_attn_mask_to_KV_maxILi16EEvPK7__half2Piiii,comdat
.Lfunc_end27:
	.size	_ZL25flash_attn_mask_to_KV_maxILi16EEvPK7__half2Piiii, .Lfunc_end27-_ZL25flash_attn_mask_to_KV_maxILi16EEvPK7__half2Piiii
                                        ; -- End function
	.section	.AMDGPU.csdata,"",@progbits
; Kernel info:
; codeLenInByte = 2192
; NumSgprs: 86
; NumVgprs: 12
; NumAgprs: 0
; TotalNumVgprs: 12
; ScratchSize: 0
; MemoryBound: 0
; FloatMode: 240
; IeeeMode: 1
; LDSByteSize: 128 bytes/workgroup (compile time only)
; SGPRBlocks: 10
; VGPRBlocks: 1
; NumSGPRsForWavesPerEU: 86
; NumVGPRsForWavesPerEU: 12
; AccumOffset: 12
; Occupancy: 8
; WaveLimiterHint : 0
; COMPUTE_PGM_RSRC2:SCRATCH_EN: 0
; COMPUTE_PGM_RSRC2:USER_SGPR: 6
; COMPUTE_PGM_RSRC2:TRAP_HANDLER: 0
; COMPUTE_PGM_RSRC2:TGID_X_EN: 1
; COMPUTE_PGM_RSRC2:TGID_Y_EN: 1
; COMPUTE_PGM_RSRC2:TGID_Z_EN: 0
; COMPUTE_PGM_RSRC2:TIDIG_COMP_CNT: 0
; COMPUTE_PGM_RSRC3_GFX90A:ACCUM_OFFSET: 2
; COMPUTE_PGM_RSRC3_GFX90A:TG_SPLIT: 0
	.section	.text._ZL33flash_attn_stream_k_fixup_uniformILi256ELi16ELi2EEvPfPK15HIP_vector_typeIfLj2EEiiiiiiS1_IjLj3EES5_S5_,"axG",@progbits,_ZL33flash_attn_stream_k_fixup_uniformILi256ELi16ELi2EEvPfPK15HIP_vector_typeIfLj2EEiiiiiiS1_IjLj3EES5_S5_,comdat
	.globl	_ZL33flash_attn_stream_k_fixup_uniformILi256ELi16ELi2EEvPfPK15HIP_vector_typeIfLj2EEiiiiiiS1_IjLj3EES5_S5_ ; -- Begin function _ZL33flash_attn_stream_k_fixup_uniformILi256ELi16ELi2EEvPfPK15HIP_vector_typeIfLj2EEiiiiiiS1_IjLj3EES5_S5_
	.p2align	8
	.type	_ZL33flash_attn_stream_k_fixup_uniformILi256ELi16ELi2EEvPfPK15HIP_vector_typeIfLj2EEiiiiiiS1_IjLj3EES5_S5_,@function
_ZL33flash_attn_stream_k_fixup_uniformILi256ELi16ELi2EEvPfPK15HIP_vector_typeIfLj2EEiiiiiiS1_IjLj3EES5_S5_: ; @_ZL33flash_attn_stream_k_fixup_uniformILi256ELi16ELi2EEvPfPK15HIP_vector_typeIfLj2EEiiiiiiS1_IjLj3EES5_S5_
; %bb.0:
	s_load_dwordx8 s[12:19], s[4:5], 0x1c
	s_load_dwordx2 s[10:11], s[4:5], 0x10
	s_load_dwordx4 s[0:3], s[4:5], 0x3c
	s_waitcnt lgkmcnt(0)
	s_mul_hi_u32 s9, s15, s6
	s_add_i32 s9, s6, s9
	s_lshr_b32 s9, s9, s16
	s_mul_i32 s15, s9, s17
	s_sub_i32 s15, s6, s15
	s_mul_hi_u32 s16, s15, s18
	s_add_i32 s16, s15, s16
	s_lshr_b32 s16, s16, s19
	s_mul_i32 s0, s16, s0
	s_sub_i32 s0, s15, s0
	;; [unrolled: 5-line block ×3, first 2 shown]
	s_lshl_b32 s0, s17, 4
	s_lshl_b32 s15, s1, 1
	s_add_i32 s0, s0, s7
	s_cmp_lt_i32 s0, s10
	s_cselect_b64 s[0:1], -1, 0
	s_add_i32 s2, s15, s8
	s_cmp_lt_i32 s2, s13
	s_cselect_b64 s[2:3], -1, 0
	s_and_b64 s[0:1], s[0:1], s[2:3]
	s_andn2_b64 vcc, exec, s[0:1]
	s_cbranch_vccnz .LBB28_6
; %bb.1:
	s_load_dwordx4 s[0:3], s[4:5], 0x0
	s_mul_i32 s4, s9, s10
	s_add_i32 s4, s4, s7
	s_mul_i32 s4, s4, s11
	s_mul_i32 s16, s16, s13
	s_add_i32 s4, s4, s8
	s_add_i32 s4, s4, s16
	s_mul_i32 s5, s11, s17
	s_add_i32 s4, s4, s15
	s_lshl_b32 s5, s5, 12
	s_lshl_b32 s4, s4, 8
	s_add_i32 s5, s5, s4
	v_or_b32_e32 v2, s5, v0
	v_ashrrev_i32_e32 v3, 31, v2
	v_lshlrev_b64 v[2:3], 2, v[2:3]
	s_waitcnt lgkmcnt(0)
	v_mov_b32_e32 v1, s1
	v_add_co_u32_e32 v2, vcc, s0, v2
	v_addc_co_u32_e32 v3, vcc, v1, v3, vcc
	global_load_dword v8, v[2:3], off
	s_mul_i32 s9, s6, s14
	s_lshl_b32 s4, s7, 1
	s_add_i32 s11, s9, s14
	s_add_i32 s0, s4, s8
	s_lshl_b32 s1, s11, 5
	s_add_i32 s0, s0, s1
	s_sub_i32 s0, s0, 32
	s_ashr_i32 s1, s0, 31
	s_lshl_b64 s[0:1], s[0:1], 3
	s_add_u32 s0, s2, s0
	s_addc_u32 s1, s3, s1
	s_load_dword s5, s[0:1], 0x4
	s_add_i32 s10, s11, -2
	s_cmp_lt_i32 s10, s9
	s_cbranch_scc1 .LBB28_4
; %bb.2:
	s_lshl_b32 s16, s12, 7
	s_ashr_i32 s17, s16, 31
	s_lshl_b64 s[16:17], s[16:17], 2
	s_add_u32 s10, s2, s16
	s_addc_u32 s13, s3, s17
	s_add_i32 s6, s6, 1
	s_load_dword s0, s[0:1], 0x0
	s_mul_i32 s1, s14, s6
	s_lshl_b32 s7, s7, 9
	s_lshl_b32 s14, s8, 8
	;; [unrolled: 1-line block ×3, first 2 shown]
	s_add_i32 s7, s14, s7
	s_lshl_b32 s1, s1, 5
	s_add_i32 s7, s7, s6
	s_add_i32 s1, s8, s1
	s_lshl_b32 s6, s12, 5
	s_add_i32 s1, s1, s6
	v_or_b32_e32 v0, s7, v0
	s_add_i32 s1, s1, s4
	s_add_i32 s11, s11, -1
	v_add_u32_e32 v0, 0xffffc000, v0
	s_sub_i32 s4, s1, 64
	s_waitcnt lgkmcnt(0)
	v_mov_b32_e32 v7, s5
	v_mov_b32_e32 v6, s0
	;; [unrolled: 1-line block ×3, first 2 shown]
	s_mov_b32 s6, 0x3fb8aa3b
	s_mov_b32 s7, 0xc2ce8ed0
	;; [unrolled: 1-line block ×3, first 2 shown]
	v_mov_b32_e32 v5, 0x7f800000
	s_mov_b32 s12, 0xc1a00000
.LBB28_3:                               ; =>This Inner Loop Header: Depth=1
	v_ashrrev_i32_e32 v1, 31, v0
	v_lshlrev_b64 v[10:11], 2, v[0:1]
	v_add_co_u32_e32 v10, vcc, s10, v10
	v_addc_co_u32_e32 v11, vcc, v4, v11, vcc
	global_load_dword v1, v[10:11], off
	s_ashr_i32 s5, s4, 31
	s_lshl_b64 s[0:1], s[4:5], 3
	s_add_u32 s0, s2, s0
	s_addc_u32 s1, s3, s1
	s_load_dwordx2 s[14:15], s[0:1], 0x0
	s_waitcnt vmcnt(1)
	v_mov_b32_e32 v9, v8
	v_max_f32_e32 v8, v6, v6
	v_mov_b32_e32 v10, v7
	s_add_i32 s11, s11, -1
	s_waitcnt lgkmcnt(0)
	v_max_f32_e64 v7, s14, s14
	v_max_f32_e32 v7, v8, v7
	v_sub_f32_e32 v11, s14, v7
	v_sub_f32_e32 v8, v6, v7
	v_mul_f32_e32 v12, 0x3fb8aa3b, v11
	v_mov_b32_e32 v6, v7
	v_mul_f32_e32 v7, 0x3fb8aa3b, v8
	v_fma_f32 v15, v11, s6, -v12
	v_rndne_f32_e32 v16, v12
	v_fma_f32 v13, v8, s6, -v7
	v_rndne_f32_e32 v14, v7
	v_fmac_f32_e32 v15, 0x32a5705f, v11
	v_sub_f32_e32 v12, v12, v16
	v_fmac_f32_e32 v13, 0x32a5705f, v8
	v_sub_f32_e32 v7, v7, v14
	v_add_f32_e32 v12, v12, v15
	v_cvt_i32_f32_e32 v16, v16
	v_add_f32_e32 v7, v7, v13
	v_exp_f32_e32 v12, v12
	v_cvt_i32_f32_e32 v14, v14
	v_exp_f32_e32 v7, v7
	v_cmp_ngt_f32_e32 vcc, s7, v11
	v_ldexp_f32 v12, v12, v16
	v_cmp_ngt_f32_e64 s[0:1], s7, v8
	v_ldexp_f32 v7, v7, v14
	v_cndmask_b32_e32 v12, 0, v12, vcc
	v_cmp_nlt_f32_e32 vcc, s8, v11
	v_cndmask_b32_e64 v7, 0, v7, s[0:1]
	v_cmp_nlt_f32_e64 s[0:1], s8, v8
	v_cndmask_b32_e32 v12, v5, v12, vcc
	v_cmp_le_f32_e32 vcc, s12, v11
	v_cndmask_b32_e64 v7, v5, v7, s[0:1]
	v_cmp_le_f32_e64 s[0:1], s12, v8
	v_cndmask_b32_e32 v8, 0, v12, vcc
	s_sub_i32 s4, s4, 32
	v_cndmask_b32_e64 v11, 0, v7, s[0:1]
	v_mul_f32_e32 v7, s15, v8
	v_add_u32_e32 v0, 0xffffe000, v0
	s_cmp_le_i32 s11, s9
	v_fmac_f32_e32 v7, v10, v11
	s_waitcnt vmcnt(0)
	v_mul_f32_e32 v8, v1, v8
	v_fmac_f32_e32 v8, v9, v11
	s_cbranch_scc0 .LBB28_3
	s_branch .LBB28_5
.LBB28_4:
	s_waitcnt lgkmcnt(0)
	v_mov_b32_e32 v7, s5
.LBB28_5:
	s_waitcnt vmcnt(0)
	v_div_scale_f32 v0, s[0:1], v7, v7, v8
	v_rcp_f32_e32 v1, v0
	v_div_scale_f32 v4, vcc, v8, v7, v8
	v_fma_f32 v5, -v0, v1, 1.0
	v_fmac_f32_e32 v1, v5, v1
	v_mul_f32_e32 v5, v4, v1
	v_fma_f32 v6, -v0, v5, v4
	v_fmac_f32_e32 v5, v6, v1
	v_fma_f32 v0, -v0, v5, v4
	v_div_fmas_f32 v0, v0, v1, v5
	v_div_fixup_f32 v0, v0, v7, v8
	global_store_dword v[2:3], v0, off
.LBB28_6:
	s_endpgm
	.section	.rodata,"a",@progbits
	.p2align	6, 0x0
	.amdhsa_kernel _ZL33flash_attn_stream_k_fixup_uniformILi256ELi16ELi2EEvPfPK15HIP_vector_typeIfLj2EEiiiiiiS1_IjLj3EES5_S5_
		.amdhsa_group_segment_fixed_size 0
		.amdhsa_private_segment_fixed_size 0
		.amdhsa_kernarg_size 76
		.amdhsa_user_sgpr_count 6
		.amdhsa_user_sgpr_private_segment_buffer 1
		.amdhsa_user_sgpr_dispatch_ptr 0
		.amdhsa_user_sgpr_queue_ptr 0
		.amdhsa_user_sgpr_kernarg_segment_ptr 1
		.amdhsa_user_sgpr_dispatch_id 0
		.amdhsa_user_sgpr_flat_scratch_init 0
		.amdhsa_user_sgpr_kernarg_preload_length 0
		.amdhsa_user_sgpr_kernarg_preload_offset 0
		.amdhsa_user_sgpr_private_segment_size 0
		.amdhsa_uses_dynamic_stack 0
		.amdhsa_system_sgpr_private_segment_wavefront_offset 0
		.amdhsa_system_sgpr_workgroup_id_x 1
		.amdhsa_system_sgpr_workgroup_id_y 1
		.amdhsa_system_sgpr_workgroup_id_z 1
		.amdhsa_system_sgpr_workgroup_info 0
		.amdhsa_system_vgpr_workitem_id 0
		.amdhsa_next_free_vgpr 17
		.amdhsa_next_free_sgpr 20
		.amdhsa_accum_offset 20
		.amdhsa_reserve_vcc 1
		.amdhsa_reserve_flat_scratch 0
		.amdhsa_float_round_mode_32 0
		.amdhsa_float_round_mode_16_64 0
		.amdhsa_float_denorm_mode_32 3
		.amdhsa_float_denorm_mode_16_64 3
		.amdhsa_dx10_clamp 1
		.amdhsa_ieee_mode 1
		.amdhsa_fp16_overflow 0
		.amdhsa_tg_split 0
		.amdhsa_exception_fp_ieee_invalid_op 0
		.amdhsa_exception_fp_denorm_src 0
		.amdhsa_exception_fp_ieee_div_zero 0
		.amdhsa_exception_fp_ieee_overflow 0
		.amdhsa_exception_fp_ieee_underflow 0
		.amdhsa_exception_fp_ieee_inexact 0
		.amdhsa_exception_int_div_zero 0
	.end_amdhsa_kernel
	.section	.text._ZL33flash_attn_stream_k_fixup_uniformILi256ELi16ELi2EEvPfPK15HIP_vector_typeIfLj2EEiiiiiiS1_IjLj3EES5_S5_,"axG",@progbits,_ZL33flash_attn_stream_k_fixup_uniformILi256ELi16ELi2EEvPfPK15HIP_vector_typeIfLj2EEiiiiiiS1_IjLj3EES5_S5_,comdat
.Lfunc_end28:
	.size	_ZL33flash_attn_stream_k_fixup_uniformILi256ELi16ELi2EEvPfPK15HIP_vector_typeIfLj2EEiiiiiiS1_IjLj3EES5_S5_, .Lfunc_end28-_ZL33flash_attn_stream_k_fixup_uniformILi256ELi16ELi2EEvPfPK15HIP_vector_typeIfLj2EEiiiiiiS1_IjLj3EES5_S5_
                                        ; -- End function
	.section	.AMDGPU.csdata,"",@progbits
; Kernel info:
; codeLenInByte = 856
; NumSgprs: 24
; NumVgprs: 17
; NumAgprs: 0
; TotalNumVgprs: 17
; ScratchSize: 0
; MemoryBound: 0
; FloatMode: 240
; IeeeMode: 1
; LDSByteSize: 0 bytes/workgroup (compile time only)
; SGPRBlocks: 2
; VGPRBlocks: 2
; NumSGPRsForWavesPerEU: 24
; NumVGPRsForWavesPerEU: 17
; AccumOffset: 20
; Occupancy: 8
; WaveLimiterHint : 0
; COMPUTE_PGM_RSRC2:SCRATCH_EN: 0
; COMPUTE_PGM_RSRC2:USER_SGPR: 6
; COMPUTE_PGM_RSRC2:TRAP_HANDLER: 0
; COMPUTE_PGM_RSRC2:TGID_X_EN: 1
; COMPUTE_PGM_RSRC2:TGID_Y_EN: 1
; COMPUTE_PGM_RSRC2:TGID_Z_EN: 1
; COMPUTE_PGM_RSRC2:TIDIG_COMP_CNT: 0
; COMPUTE_PGM_RSRC3_GFX90A:ACCUM_OFFSET: 4
; COMPUTE_PGM_RSRC3_GFX90A:TG_SPLIT: 0
	.section	.text._ZL33flash_attn_stream_k_fixup_generalILi256ELi16ELi2EEvPfPK15HIP_vector_typeIfLj2EEiiiiS1_IjLj3EES5_S5_S5_,"axG",@progbits,_ZL33flash_attn_stream_k_fixup_generalILi256ELi16ELi2EEvPfPK15HIP_vector_typeIfLj2EEiiiiS1_IjLj3EES5_S5_S5_,comdat
	.globl	_ZL33flash_attn_stream_k_fixup_generalILi256ELi16ELi2EEvPfPK15HIP_vector_typeIfLj2EEiiiiS1_IjLj3EES5_S5_S5_ ; -- Begin function _ZL33flash_attn_stream_k_fixup_generalILi256ELi16ELi2EEvPfPK15HIP_vector_typeIfLj2EEiiiiS1_IjLj3EES5_S5_S5_
	.p2align	8
	.type	_ZL33flash_attn_stream_k_fixup_generalILi256ELi16ELi2EEvPfPK15HIP_vector_typeIfLj2EEiiiiS1_IjLj3EES5_S5_S5_,@function
_ZL33flash_attn_stream_k_fixup_generalILi256ELi16ELi2EEvPfPK15HIP_vector_typeIfLj2EEiiiiS1_IjLj3EES5_S5_S5_: ; @_ZL33flash_attn_stream_k_fixup_generalILi256ELi16ELi2EEvPfPK15HIP_vector_typeIfLj2EEiiiiS1_IjLj3EES5_S5_S5_
; %bb.0:
	s_load_dwordx4 s[12:15], s[4:5], 0x10
	s_load_dword s9, s[4:5], 0x50
	s_mov_b32 s2, 0
	s_waitcnt lgkmcnt(0)
	s_mul_hi_i32 s3, s15, s6
	s_cmp_lg_u64 s[2:3], 0
	s_mul_i32 s2, s15, s6
	s_cbranch_scc0 .LBB29_21
; %bb.1:
	v_cvt_f32_u32_e32 v1, s9
	v_cvt_f32_ubyte0_e32 v2, 0
	s_sub_u32 s10, 0, s9
	s_subb_u32 s11, 0, 0
	v_madmk_f32 v1, v2, 0x4f800000, v1
	v_rcp_f32_e32 v1, v1
	v_mul_f32_e32 v1, 0x5f7ffffc, v1
	v_mul_f32_e32 v2, 0x2f800000, v1
	v_trunc_f32_e32 v2, v2
	v_madmk_f32 v1, v2, 0xcf800000, v1
	v_cvt_u32_f32_e32 v2, v2
	v_cvt_u32_f32_e32 v1, v1
	v_readfirstlane_b32 s16, v2
	v_readfirstlane_b32 s17, v1
	s_mul_i32 s18, s10, s16
	s_mul_hi_u32 s20, s10, s17
	s_mul_i32 s19, s11, s17
	s_add_i32 s18, s20, s18
	s_add_i32 s18, s18, s19
	s_mul_i32 s21, s10, s17
	s_mul_hi_u32 s19, s17, s18
	s_mul_i32 s20, s17, s18
	s_mul_hi_u32 s17, s17, s21
	s_add_u32 s17, s17, s20
	s_addc_u32 s19, 0, s19
	s_mul_hi_u32 s22, s16, s21
	s_mul_i32 s21, s16, s21
	s_add_u32 s17, s17, s21
	s_mul_hi_u32 s20, s16, s18
	s_addc_u32 s17, s19, s22
	s_addc_u32 s19, s20, 0
	s_mul_i32 s18, s16, s18
	s_add_u32 s17, s17, s18
	s_addc_u32 s18, 0, s19
	v_add_co_u32_e32 v1, vcc, s17, v1
	s_cmp_lg_u64 vcc, 0
	s_addc_u32 s16, s16, s18
	v_readfirstlane_b32 s18, v1
	s_mul_i32 s17, s10, s16
	s_mul_hi_u32 s19, s10, s18
	s_add_i32 s17, s19, s17
	s_mul_i32 s11, s11, s18
	s_add_i32 s17, s17, s11
	s_mul_i32 s10, s10, s18
	s_mul_hi_u32 s19, s16, s10
	s_mul_i32 s20, s16, s10
	s_mul_i32 s22, s18, s17
	s_mul_hi_u32 s10, s18, s10
	s_mul_hi_u32 s21, s18, s17
	s_add_u32 s10, s10, s22
	s_addc_u32 s18, 0, s21
	s_add_u32 s10, s10, s20
	s_mul_hi_u32 s11, s16, s17
	s_addc_u32 s10, s18, s19
	s_addc_u32 s11, s11, 0
	s_mul_i32 s17, s16, s17
	s_add_u32 s10, s10, s17
	s_addc_u32 s11, 0, s11
	v_add_co_u32_e32 v1, vcc, s10, v1
	s_cmp_lg_u64 vcc, 0
	s_addc_u32 s18, s16, s11
	s_ashr_i32 s10, s3, 31
	s_add_u32 s16, s2, s10
	s_mov_b32 s11, s10
	s_addc_u32 s17, s3, s10
	s_xor_b64 s[16:17], s[16:17], s[10:11]
	v_readfirstlane_b32 s20, v1
	s_mul_i32 s19, s16, s18
	s_mul_hi_u32 s21, s16, s20
	s_mul_hi_u32 s3, s16, s18
	s_add_u32 s19, s21, s19
	s_addc_u32 s3, 0, s3
	s_mul_hi_u32 s22, s17, s20
	s_mul_i32 s20, s17, s20
	s_add_u32 s19, s19, s20
	s_mul_hi_u32 s21, s17, s18
	s_addc_u32 s3, s3, s22
	s_addc_u32 s19, s21, 0
	s_mul_i32 s18, s17, s18
	s_add_u32 s3, s3, s18
	s_addc_u32 s18, 0, s19
	s_add_u32 s19, s3, 1
	s_addc_u32 s20, s18, 0
	s_add_u32 s21, s3, 2
	s_mul_i32 s23, s9, s18
	s_mul_hi_u32 s24, s9, s3
	s_addc_u32 s22, s18, 0
	s_add_i32 s24, s24, s23
	s_mul_i32 s23, s9, s3
	v_mov_b32_e32 v1, s23
	v_sub_co_u32_e32 v1, vcc, s16, v1
	s_cmp_lg_u64 vcc, 0
	s_subb_u32 s16, s17, s24
	v_subrev_co_u32_e32 v2, vcc, s9, v1
	s_cmp_lg_u64 vcc, 0
	s_subb_u32 s17, s16, 0
	v_readfirstlane_b32 s23, v2
	s_cmp_ge_u32 s23, s9
	s_cselect_b32 s23, -1, 0
	s_cmp_eq_u32 s17, 0
	s_cselect_b32 s17, s23, -1
	s_cmp_lg_u32 s17, 0
	s_cselect_b32 s17, s22, s20
	v_readfirstlane_b32 s20, v1
	s_cselect_b32 s19, s21, s19
	s_cmp_ge_u32 s20, s9
	s_cselect_b32 s20, -1, 0
	s_cmp_eq_u32 s16, 0
	s_cselect_b32 s16, s20, -1
	s_cmp_lg_u32 s16, 0
	s_cselect_b32 s17, s17, s18
	s_cselect_b32 s16, s19, s3
	s_xor_b64 s[16:17], s[16:17], s[10:11]
	s_sub_u32 s20, s16, s10
	s_load_dwordx4 s[16:19], s[4:5], 0x44
	s_cbranch_execnz .LBB29_3
.LBB29_2:
	v_cvt_f32_u32_e32 v1, s9
	s_sub_i32 s0, 0, s9
	v_rcp_iflag_f32_e32 v1, v1
	v_mul_f32_e32 v1, 0x4f7ffffe, v1
	v_cvt_u32_f32_e32 v1, v1
	v_readfirstlane_b32 s1, v1
	s_mul_i32 s0, s0, s1
	s_mul_hi_u32 s0, s1, s0
	s_add_i32 s1, s1, s0
	s_mul_hi_u32 s0, s2, s1
	s_mul_i32 s3, s0, s9
	s_sub_i32 s2, s2, s3
	s_add_i32 s1, s0, 1
	s_sub_i32 s3, s2, s9
	s_cmp_ge_u32 s2, s9
	s_cselect_b32 s0, s1, s0
	s_cselect_b32 s2, s3, s2
	s_add_i32 s1, s0, 1
	s_cmp_ge_u32 s2, s9
	s_cselect_b32 s20, s1, s0
.LBB29_3:
	s_add_i32 s0, s6, 1
	s_mul_hi_i32 s3, s15, s0
	s_mov_b32 s2, 0
	s_cmp_lg_u64 s[2:3], 0
	s_mul_i32 s2, s15, s0
	s_cbranch_scc0 .LBB29_22
; %bb.4:
	v_cvt_f32_u32_e32 v1, s9
	v_cvt_f32_ubyte0_e32 v2, 0
	s_sub_u32 s10, 0, s9
	s_subb_u32 s11, 0, 0
	v_madmk_f32 v1, v2, 0x4f800000, v1
	v_rcp_f32_e32 v1, v1
	v_mul_f32_e32 v1, 0x5f7ffffc, v1
	v_mul_f32_e32 v2, 0x2f800000, v1
	v_trunc_f32_e32 v2, v2
	v_madmk_f32 v1, v2, 0xcf800000, v1
	v_cvt_u32_f32_e32 v2, v2
	v_cvt_u32_f32_e32 v1, v1
	s_waitcnt lgkmcnt(0)
	v_readfirstlane_b32 s19, v2
	v_readfirstlane_b32 s21, v1
	s_mul_i32 s22, s10, s19
	s_mul_hi_u32 s24, s10, s21
	s_mul_i32 s23, s11, s21
	s_add_i32 s22, s24, s22
	s_add_i32 s22, s22, s23
	s_mul_i32 s25, s10, s21
	s_mul_hi_u32 s23, s21, s22
	s_mul_i32 s24, s21, s22
	s_mul_hi_u32 s21, s21, s25
	s_add_u32 s21, s21, s24
	s_addc_u32 s23, 0, s23
	s_mul_hi_u32 s26, s19, s25
	s_mul_i32 s25, s19, s25
	s_add_u32 s21, s21, s25
	s_mul_hi_u32 s24, s19, s22
	s_addc_u32 s21, s23, s26
	s_addc_u32 s23, s24, 0
	s_mul_i32 s22, s19, s22
	s_add_u32 s21, s21, s22
	s_addc_u32 s22, 0, s23
	v_add_co_u32_e32 v1, vcc, s21, v1
	s_cmp_lg_u64 vcc, 0
	s_addc_u32 s19, s19, s22
	v_readfirstlane_b32 s22, v1
	s_mul_i32 s21, s10, s19
	s_mul_hi_u32 s23, s10, s22
	s_add_i32 s21, s23, s21
	s_mul_i32 s11, s11, s22
	s_add_i32 s21, s21, s11
	s_mul_i32 s10, s10, s22
	s_mul_hi_u32 s23, s19, s10
	s_mul_i32 s24, s19, s10
	s_mul_i32 s26, s22, s21
	s_mul_hi_u32 s10, s22, s10
	s_mul_hi_u32 s25, s22, s21
	s_add_u32 s10, s10, s26
	s_addc_u32 s22, 0, s25
	s_add_u32 s10, s10, s24
	s_mul_hi_u32 s11, s19, s21
	s_addc_u32 s10, s22, s23
	s_addc_u32 s11, s11, 0
	s_mul_i32 s21, s19, s21
	s_add_u32 s10, s10, s21
	s_addc_u32 s11, 0, s11
	v_add_co_u32_e32 v1, vcc, s10, v1
	s_cmp_lg_u64 vcc, 0
	s_addc_u32 s19, s19, s11
	s_ashr_i32 s10, s3, 31
	s_add_u32 s22, s2, s10
	s_mov_b32 s11, s10
	s_addc_u32 s23, s3, s10
	s_xor_b64 s[22:23], s[22:23], s[10:11]
	v_readfirstlane_b32 s21, v1
	s_mul_i32 s11, s22, s19
	s_mul_hi_u32 s24, s22, s21
	s_mul_hi_u32 s3, s22, s19
	s_add_u32 s11, s24, s11
	s_addc_u32 s3, 0, s3
	s_mul_hi_u32 s25, s23, s21
	s_mul_i32 s21, s23, s21
	s_add_u32 s11, s11, s21
	s_mul_hi_u32 s24, s23, s19
	s_addc_u32 s3, s3, s25
	s_addc_u32 s11, s24, 0
	s_mul_i32 s19, s23, s19
	s_add_u32 s3, s3, s19
	s_addc_u32 s11, 0, s11
	s_mul_i32 s11, s9, s11
	s_mul_hi_u32 s24, s9, s3
	s_add_i32 s24, s24, s11
	s_mul_i32 s11, s9, s3
	v_mov_b32_e32 v1, s11
	s_add_u32 s19, s3, 1
	s_add_u32 s21, s3, 2
	v_sub_co_u32_e32 v1, vcc, s22, v1
	s_cmp_lg_u64 vcc, 0
	s_subb_u32 s11, s23, s24
	v_subrev_co_u32_e32 v2, vcc, s9, v1
	s_cmp_lg_u64 vcc, 0
	s_subb_u32 s22, s11, 0
	v_cmp_le_u32_e32 vcc, s9, v2
	s_cmp_eq_u32 s22, 0
	v_cndmask_b32_e64 v2, 0, -1, vcc
	s_cselect_b64 vcc, -1, 0
	v_cndmask_b32_e32 v2, -1, v2, vcc
	v_mov_b32_e32 v3, s19
	v_mov_b32_e32 v4, s21
	v_cmp_ne_u32_e32 vcc, 0, v2
	v_cndmask_b32_e32 v2, v3, v4, vcc
	v_cmp_le_u32_e32 vcc, s9, v1
	s_cmp_eq_u32 s11, 0
	v_cndmask_b32_e64 v1, 0, -1, vcc
	s_cselect_b64 vcc, -1, 0
	v_cndmask_b32_e32 v1, -1, v1, vcc
	v_mov_b32_e32 v3, s3
	v_cmp_ne_u32_e32 vcc, 0, v1
	v_cndmask_b32_e32 v1, v3, v2, vcc
	v_xor_b32_e32 v1, s10, v1
	v_subrev_co_u32_e32 v2, vcc, s10, v1
	s_cbranch_execnz .LBB29_6
.LBB29_5:
	v_cvt_f32_u32_e32 v1, s9
	s_sub_i32 s0, 0, s9
	s_mov_b32 s1, 0
	v_rcp_iflag_f32_e32 v1, v1
	v_mul_f32_e32 v1, 0x4f7ffffe, v1
	v_cvt_u32_f32_e32 v1, v1
	v_readfirstlane_b32 s3, v1
	s_mul_i32 s0, s0, s3
	s_mul_hi_u32 s0, s3, s0
	s_add_i32 s3, s3, s0
	s_mul_hi_u32 s0, s2, s3
	s_mul_i32 s10, s0, s9
	s_sub_i32 s2, s2, s10
	s_add_i32 s3, s0, 1
	s_sub_i32 s10, s2, s9
	s_cmp_ge_u32 s2, s9
	s_cselect_b32 s0, s3, s0
	s_cselect_b32 s2, s10, s2
	s_add_i32 s3, s0, 1
	s_cmp_ge_u32 s2, s9
	s_cselect_b32 s0, s3, s0
	v_pk_mov_b32 v[2:3], s[0:1], s[0:1] op_sel:[0,1]
.LBB29_6:
	s_waitcnt lgkmcnt(0)
	s_mul_hi_u32 s0, s20, s16
	s_add_i32 s0, s0, s20
	v_mul_hi_u32 v1, v2, s16
	s_lshr_b32 s19, s0, s17
	v_add_u32_e32 v1, v1, v2
	s_mul_i32 s0, s19, s18
	v_lshrrev_b32_e32 v1, s17, v1
	s_cmp_eq_u32 s0, s20
	v_cmp_eq_u32_e64 s[0:1], s19, v1
	v_mul_lo_u32 v1, v1, s18
	v_cmp_eq_u32_e32 vcc, s20, v2
	s_cselect_b64 s[10:11], -1, 0
	v_cmp_ne_u32_e64 s[2:3], v1, v2
	s_and_b64 s[0:1], s[0:1], s[2:3]
	s_or_b64 s[2:3], vcc, s[10:11]
	s_or_b64 s[0:1], s[2:3], s[0:1]
	s_and_b64 vcc, exec, s[0:1]
	s_cbranch_vccnz .LBB29_24
; %bb.7:
	s_load_dwordx8 s[24:31], s[4:5], 0x20
	s_load_dword s0, s[4:5], 0x40
	s_mov_b32 s10, 0
	s_waitcnt lgkmcnt(0)
	s_mul_hi_u32 s1, s20, s24
	s_add_i32 s1, s1, s20
	s_lshr_b32 s11, s1, s25
	s_mul_i32 s1, s11, s26
	s_sub_i32 s1, s20, s1
	s_mul_hi_u32 s2, s1, s27
	s_add_i32 s2, s1, s2
	s_lshr_b32 s24, s2, s28
	s_mul_i32 s2, s24, s29
	s_sub_i32 s1, s1, s2
	;; [unrolled: 5-line block ×3, first 2 shown]
	s_mul_hi_u32 s1, s0, s16
	s_add_i32 s0, s0, s1
	s_lshr_b32 s26, s0, s17
	s_lshl_b32 s0, s26, 4
	s_lshl_b32 s25, s2, 1
	s_add_i32 s0, s0, s7
	s_cmp_lt_i32 s0, s12
	s_cselect_b64 s[0:1], -1, 0
	s_add_i32 s2, s25, s8
	s_cmp_lt_i32 s2, s14
	s_cselect_b64 s[2:3], -1, 0
	s_and_b64 s[0:1], s[0:1], s[2:3]
	s_andn2_b64 vcc, exec, s[0:1]
	s_cbranch_vccnz .LBB29_24
; %bb.8:
	s_load_dwordx4 s[0:3], s[4:5], 0x0
	s_lshl_b32 s21, s7, 1
	s_lshl_b32 s4, s9, 7
	s_mov_b32 s5, s10
	s_add_i32 s21, s21, s8
	s_lshl_b64 s[4:5], s[4:5], 2
	s_waitcnt lgkmcnt(0)
	s_add_u32 s22, s2, s4
	s_mul_i32 s4, s11, s12
	s_addc_u32 s23, s3, s5
	s_add_i32 s4, s4, s7
	s_mul_i32 s4, s4, s13
	s_mul_i32 s24, s24, s14
	s_add_i32 s4, s4, s8
	s_add_i32 s4, s4, s24
	s_mul_i32 s5, s13, s26
	s_add_i32 s4, s4, s25
	s_lshl_b32 s5, s5, 12
	s_lshl_b32 s4, s4, 8
	s_add_i32 s5, s5, s4
	v_or_b32_e32 v2, s5, v0
	v_ashrrev_i32_e32 v3, 31, v2
	v_lshlrev_b64 v[2:3], 2, v[2:3]
	v_mov_b32_e32 v1, s1
	v_add_co_u32_e32 v2, vcc, s0, v2
	v_addc_co_u32_e32 v3, vcc, v1, v3, vcc
	global_load_dword v5, v[2:3], off
	v_lshl_or_b32 v4, s21, 8, v0
	v_cvt_f32_u32_e32 v0, s9
	v_cvt_f32_ubyte0_e32 v1, 0
	s_lshl_b32 s0, s6, 5
	s_add_i32 s0, s21, s0
	v_mac_f32_e32 v0, 0x4f800000, v1
	v_rcp_f32_e32 v0, v0
	v_cvt_f32_u32_e32 v1, s9
	s_ashr_i32 s1, s0, 31
	s_lshl_b64 s[0:1], s[0:1], 3
	v_mul_f32_e32 v0, 0x5f7ffffc, v0
	v_rcp_iflag_f32_e32 v1, v1
	s_add_u32 s0, s2, s0
	v_mul_f32_e32 v9, 0x2f800000, v0
	s_addc_u32 s1, s3, s1
	v_trunc_f32_e32 v10, v9
	s_load_dwordx2 s[0:1], s[0:1], 0x0
	v_mac_f32_e32 v0, 0xcf800000, v10
	v_cvt_u32_f32_e32 v9, v0
	v_mul_f32_e32 v0, 0x4f7ffffe, v1
	v_cvt_u32_f32_e32 v10, v10
	v_cvt_u32_f32_e32 v11, v0
	s_add_i32 s8, s6, -1
	s_waitcnt lgkmcnt(0)
	v_mov_b32_e32 v6, s1
	v_mov_b32_e32 v7, s0
	;; [unrolled: 1-line block ×3, first 2 shown]
	s_mov_b32 s6, 0x3fb8aa3b
	s_mov_b32 s7, 0xc2ce8ed0
	;; [unrolled: 1-line block ×4, first 2 shown]
	v_mov_b32_e32 v12, 0x7f800000
	s_mul_hi_i32 s11, s8, s15
	s_cmp_lg_u64 s[10:11], 0
	s_mul_i32 s4, s8, s15
	s_cbranch_scc0 .LBB29_15
.LBB29_9:
	s_sub_u32 s0, 0, s9
	v_readfirstlane_b32 s5, v9
	v_readfirstlane_b32 s24, v10
	s_subb_u32 s1, 0, 0
	s_mul_hi_u32 s20, s0, s5
	s_mul_i32 s25, s0, s24
	s_mul_i32 s14, s1, s5
	s_add_i32 s20, s20, s25
	s_add_i32 s20, s20, s14
	s_mul_i32 s26, s0, s5
	s_mul_hi_u32 s14, s5, s20
	s_mul_i32 s25, s5, s20
	s_mul_hi_u32 s5, s5, s26
	s_add_u32 s5, s5, s25
	s_addc_u32 s14, 0, s14
	s_mul_hi_u32 s27, s24, s26
	s_mul_i32 s26, s24, s26
	s_add_u32 s5, s5, s26
	s_mul_hi_u32 s25, s24, s20
	s_addc_u32 s5, s14, s27
	s_addc_u32 s14, s25, 0
	s_mul_i32 s20, s24, s20
	s_add_u32 s5, s5, s20
	s_addc_u32 s14, 0, s14
	v_add_co_u32_e32 v0, vcc, s5, v9
	s_cmp_lg_u64 vcc, 0
	s_addc_u32 s5, s24, s14
	v_readfirstlane_b32 s20, v0
	s_mul_i32 s14, s0, s5
	s_mul_hi_u32 s24, s0, s20
	s_add_i32 s14, s24, s14
	s_mul_i32 s1, s1, s20
	s_add_i32 s14, s14, s1
	s_mul_i32 s0, s0, s20
	s_mul_hi_u32 s24, s5, s0
	s_mul_i32 s25, s5, s0
	s_mul_i32 s27, s20, s14
	s_mul_hi_u32 s0, s20, s0
	s_mul_hi_u32 s26, s20, s14
	s_add_u32 s0, s0, s27
	s_addc_u32 s20, 0, s26
	s_add_u32 s0, s0, s25
	s_mul_hi_u32 s1, s5, s14
	s_addc_u32 s0, s20, s24
	s_addc_u32 s1, s1, 0
	s_mul_i32 s14, s5, s14
	s_add_u32 s0, s0, s14
	s_addc_u32 s1, 0, s1
	v_add_co_u32_e32 v0, vcc, s0, v0
	s_cmp_lg_u64 vcc, 0
	s_addc_u32 s5, s5, s1
	s_ashr_i32 s0, s11, 31
	s_add_u32 s24, s4, s0
	s_mov_b32 s1, s0
	s_addc_u32 s25, s11, s0
	s_xor_b64 s[24:25], s[24:25], s[0:1]
	v_readfirstlane_b32 s14, v0
	s_mul_i32 s11, s24, s5
	s_mul_hi_u32 s20, s24, s14
	s_mul_hi_u32 s1, s24, s5
	s_add_u32 s11, s20, s11
	s_addc_u32 s1, 0, s1
	s_mul_hi_u32 s26, s25, s14
	s_mul_i32 s14, s25, s14
	s_add_u32 s11, s11, s14
	s_mul_hi_u32 s20, s25, s5
	s_addc_u32 s1, s1, s26
	s_addc_u32 s11, s20, 0
	s_mul_i32 s5, s25, s5
	s_add_u32 s1, s1, s5
	s_addc_u32 s5, 0, s11
	s_mul_i32 s5, s9, s5
	s_mul_hi_u32 s20, s9, s1
	s_add_i32 s20, s20, s5
	s_mul_i32 s5, s9, s1
	v_mov_b32_e32 v0, s5
	s_add_u32 s11, s1, 1
	s_add_u32 s14, s1, 2
	v_sub_co_u32_e32 v0, vcc, s24, v0
	s_cmp_lg_u64 vcc, 0
	s_subb_u32 s5, s25, s20
	v_subrev_co_u32_e32 v1, vcc, s9, v0
	s_cmp_lg_u64 vcc, 0
	s_subb_u32 s20, s5, 0
	v_cmp_le_u32_e32 vcc, s9, v1
	s_cmp_eq_u32 s20, 0
	v_cndmask_b32_e64 v1, 0, -1, vcc
	s_cselect_b64 vcc, -1, 0
	v_cndmask_b32_e32 v1, -1, v1, vcc
	v_mov_b32_e32 v13, s11
	v_mov_b32_e32 v14, s14
	v_cmp_ne_u32_e32 vcc, 0, v1
	v_cndmask_b32_e32 v1, v13, v14, vcc
	v_cmp_le_u32_e32 vcc, s9, v0
	s_cmp_eq_u32 s5, 0
	v_cndmask_b32_e64 v0, 0, -1, vcc
	s_cselect_b64 vcc, -1, 0
	v_cndmask_b32_e32 v0, -1, v0, vcc
	v_mov_b32_e32 v13, s1
	v_cmp_ne_u32_e32 vcc, 0, v0
	v_cndmask_b32_e32 v0, v13, v1, vcc
	v_xor_b32_e32 v0, s0, v0
	v_subrev_co_u32_e32 v0, vcc, s0, v0
	s_cbranch_execnz .LBB29_11
.LBB29_10:
	s_sub_i32 s0, 0, s9
	v_mul_lo_u32 v0, s0, v11
	v_mul_hi_u32 v0, v11, v0
	v_add_u32_e32 v0, v11, v0
	v_mul_hi_u32 v0, s4, v0
	v_mul_lo_u32 v13, v0, s9
	v_sub_u32_e32 v13, s4, v13
	v_add_u32_e32 v1, 1, v0
	v_subrev_u32_e32 v14, s9, v13
	v_cmp_le_u32_e32 vcc, s9, v13
	v_cndmask_b32_e32 v13, v13, v14, vcc
	v_cndmask_b32_e32 v0, v0, v1, vcc
	v_add_u32_e32 v1, 1, v0
	v_cmp_le_u32_e32 vcc, s9, v13
	v_cndmask_b32_e32 v0, v0, v1, vcc
.LBB29_11:
	v_cmp_ne_u32_e32 vcc, v8, v0
	s_cbranch_vccz .LBB29_14
; %bb.12:
	s_add_i32 s0, s8, s9
	s_lshl_b32 s0, s0, 5
	v_mul_hi_u32 v1, v0, s16
	s_add_i32 s0, s0, s21
	s_mov_b32 s1, s10
	v_add_u32_e32 v1, v1, v0
	s_lshl_b64 s[0:1], s[0:1], 3
	v_lshrrev_b32_e32 v1, s17, v1
	s_add_u32 s4, s2, s0
	v_mul_lo_u32 v13, v1, s18
	s_addc_u32 s5, s3, s1
	v_cmp_eq_u32_e32 vcc, v13, v0
	v_cmp_gt_u32_e64 s[0:1], s19, v1
	s_or_b64 s[0:1], s[0:1], vcc
	s_and_b64 vcc, exec, s[0:1]
	s_cbranch_vccnz .LBB29_16
; %bb.13:
	s_add_i32 s11, s8, -1
	s_mov_b64 s[0:1], 0
	s_branch .LBB29_17
.LBB29_14:
                                        ; implicit-def: $sgpr0_sgpr1
                                        ; implicit-def: $vgpr14
                                        ; implicit-def: $vgpr1
                                        ; implicit-def: $vgpr13
                                        ; implicit-def: $sgpr11
                                        ; implicit-def: $vgpr0
	s_branch .LBB29_18
.LBB29_15:
                                        ; implicit-def: $vgpr0_vgpr1
	s_branch .LBB29_10
.LBB29_16:
	s_mov_b64 s[0:1], -1
	s_mov_b32 s11, s8
	v_mov_b32_e32 v0, v8
.LBB29_17:
	v_lshl_add_u32 v14, s8, 13, v4
	v_ashrrev_i32_e32 v15, 31, v14
	v_lshlrev_b64 v[14:15], 2, v[14:15]
	v_mov_b32_e32 v1, s23
	v_add_co_u32_e32 v14, vcc, s22, v14
	v_addc_co_u32_e32 v15, vcc, v1, v15, vcc
	global_load_dword v14, v[14:15], off
	s_load_dwordx2 s[4:5], s[4:5], 0x0
	v_max_f32_e32 v1, v7, v7
	s_waitcnt lgkmcnt(0)
	v_max_f32_e64 v13, s4, s4
	v_max_f32_e32 v1, v1, v13
	v_sub_f32_e32 v13, v7, v1
	v_sub_f32_e32 v15, s4, v1
	v_mul_f32_e32 v16, 0x3fb8aa3b, v13
	v_mul_f32_e32 v17, 0x3fb8aa3b, v15
	v_fma_f32 v18, v13, s6, -v16
	v_rndne_f32_e32 v19, v16
	v_fma_f32 v20, v15, s6, -v17
	v_rndne_f32_e32 v21, v17
	v_fmac_f32_e32 v18, 0x32a5705f, v13
	v_sub_f32_e32 v16, v16, v19
	v_fmac_f32_e32 v20, 0x32a5705f, v15
	v_sub_f32_e32 v17, v17, v21
	v_add_f32_e32 v16, v16, v18
	v_cvt_i32_f32_e32 v19, v19
	v_add_f32_e32 v17, v17, v20
	v_exp_f32_e32 v16, v16
	v_cvt_i32_f32_e32 v21, v21
	v_exp_f32_e32 v17, v17
	v_cmp_ngt_f32_e32 vcc, s7, v13
	v_ldexp_f32 v16, v16, v19
	v_cndmask_b32_e32 v16, 0, v16, vcc
	v_ldexp_f32 v17, v17, v21
	v_cmp_ngt_f32_e32 vcc, s7, v15
	v_cndmask_b32_e32 v17, 0, v17, vcc
	v_cmp_nlt_f32_e32 vcc, s12, v13
	v_cndmask_b32_e32 v16, v12, v16, vcc
	v_cmp_nlt_f32_e32 vcc, s12, v15
	v_cndmask_b32_e32 v17, v12, v17, vcc
	v_cmp_le_f32_e32 vcc, s13, v13
	v_cndmask_b32_e32 v16, 0, v16, vcc
	v_cmp_le_f32_e32 vcc, s13, v15
	v_cndmask_b32_e32 v15, 0, v17, vcc
	v_mul_f32_e32 v13, s5, v15
	v_fmac_f32_e32 v13, v6, v16
	s_waitcnt vmcnt(0)
	v_mul_f32_e32 v14, v14, v15
	v_fmac_f32_e32 v14, v5, v16
	s_cbranch_execnz .LBB29_19
.LBB29_18:
	s_add_i32 s11, s8, -1
	s_mov_b64 s[0:1], 0
	v_mov_b32_e32 v0, v8
	v_mov_b32_e32 v13, v6
	;; [unrolled: 1-line block ×3, first 2 shown]
	s_waitcnt vmcnt(0)
	v_mov_b32_e32 v14, v5
.LBB29_19:
	s_andn2_b64 vcc, exec, s[0:1]
	s_cbranch_vccz .LBB29_23
; %bb.20:
	v_mov_b32_e32 v8, v0
	s_mov_b32 s8, s11
	v_mov_b32_e32 v6, v13
	v_mov_b32_e32 v7, v1
	s_waitcnt vmcnt(0)
	v_mov_b32_e32 v5, v14
	s_mul_hi_i32 s11, s8, s15
	s_cmp_lg_u64 s[10:11], 0
	s_mul_i32 s4, s8, s15
	s_cbranch_scc1 .LBB29_9
	s_branch .LBB29_15
.LBB29_21:
                                        ; implicit-def: $sgpr20_sgpr21
	s_load_dwordx4 s[16:19], s[4:5], 0x44
	s_branch .LBB29_2
.LBB29_22:
                                        ; implicit-def: $vgpr2_vgpr3
	s_branch .LBB29_5
.LBB29_23:
	v_div_scale_f32 v0, s[0:1], v13, v13, v14
	v_rcp_f32_e32 v1, v0
	v_div_scale_f32 v4, vcc, v14, v13, v14
	s_waitcnt vmcnt(0)
	v_fma_f32 v5, -v0, v1, 1.0
	v_fmac_f32_e32 v1, v5, v1
	v_mul_f32_e32 v5, v4, v1
	v_fma_f32 v6, -v0, v5, v4
	v_fmac_f32_e32 v5, v6, v1
	v_fma_f32 v0, -v0, v5, v4
	v_div_fmas_f32 v0, v0, v1, v5
	v_div_fixup_f32 v0, v0, v13, v14
	global_store_dword v[2:3], v0, off
.LBB29_24:
	s_endpgm
	.section	.rodata,"a",@progbits
	.p2align	6, 0x0
	.amdhsa_kernel _ZL33flash_attn_stream_k_fixup_generalILi256ELi16ELi2EEvPfPK15HIP_vector_typeIfLj2EEiiiiS1_IjLj3EES5_S5_S5_
		.amdhsa_group_segment_fixed_size 0
		.amdhsa_private_segment_fixed_size 0
		.amdhsa_kernarg_size 336
		.amdhsa_user_sgpr_count 6
		.amdhsa_user_sgpr_private_segment_buffer 1
		.amdhsa_user_sgpr_dispatch_ptr 0
		.amdhsa_user_sgpr_queue_ptr 0
		.amdhsa_user_sgpr_kernarg_segment_ptr 1
		.amdhsa_user_sgpr_dispatch_id 0
		.amdhsa_user_sgpr_flat_scratch_init 0
		.amdhsa_user_sgpr_kernarg_preload_length 0
		.amdhsa_user_sgpr_kernarg_preload_offset 0
		.amdhsa_user_sgpr_private_segment_size 0
		.amdhsa_uses_dynamic_stack 0
		.amdhsa_system_sgpr_private_segment_wavefront_offset 0
		.amdhsa_system_sgpr_workgroup_id_x 1
		.amdhsa_system_sgpr_workgroup_id_y 1
		.amdhsa_system_sgpr_workgroup_id_z 1
		.amdhsa_system_sgpr_workgroup_info 0
		.amdhsa_system_vgpr_workitem_id 0
		.amdhsa_next_free_vgpr 22
		.amdhsa_next_free_sgpr 32
		.amdhsa_accum_offset 24
		.amdhsa_reserve_vcc 1
		.amdhsa_reserve_flat_scratch 0
		.amdhsa_float_round_mode_32 0
		.amdhsa_float_round_mode_16_64 0
		.amdhsa_float_denorm_mode_32 3
		.amdhsa_float_denorm_mode_16_64 3
		.amdhsa_dx10_clamp 1
		.amdhsa_ieee_mode 1
		.amdhsa_fp16_overflow 0
		.amdhsa_tg_split 0
		.amdhsa_exception_fp_ieee_invalid_op 0
		.amdhsa_exception_fp_denorm_src 0
		.amdhsa_exception_fp_ieee_div_zero 0
		.amdhsa_exception_fp_ieee_overflow 0
		.amdhsa_exception_fp_ieee_underflow 0
		.amdhsa_exception_fp_ieee_inexact 0
		.amdhsa_exception_int_div_zero 0
	.end_amdhsa_kernel
	.section	.text._ZL33flash_attn_stream_k_fixup_generalILi256ELi16ELi2EEvPfPK15HIP_vector_typeIfLj2EEiiiiS1_IjLj3EES5_S5_S5_,"axG",@progbits,_ZL33flash_attn_stream_k_fixup_generalILi256ELi16ELi2EEvPfPK15HIP_vector_typeIfLj2EEiiiiS1_IjLj3EES5_S5_S5_,comdat
.Lfunc_end29:
	.size	_ZL33flash_attn_stream_k_fixup_generalILi256ELi16ELi2EEvPfPK15HIP_vector_typeIfLj2EEiiiiS1_IjLj3EES5_S5_S5_, .Lfunc_end29-_ZL33flash_attn_stream_k_fixup_generalILi256ELi16ELi2EEvPfPK15HIP_vector_typeIfLj2EEiiiiS1_IjLj3EES5_S5_S5_
                                        ; -- End function
	.section	.AMDGPU.csdata,"",@progbits
; Kernel info:
; codeLenInByte = 2824
; NumSgprs: 36
; NumVgprs: 22
; NumAgprs: 0
; TotalNumVgprs: 22
; ScratchSize: 0
; MemoryBound: 0
; FloatMode: 240
; IeeeMode: 1
; LDSByteSize: 0 bytes/workgroup (compile time only)
; SGPRBlocks: 4
; VGPRBlocks: 2
; NumSGPRsForWavesPerEU: 36
; NumVGPRsForWavesPerEU: 22
; AccumOffset: 24
; Occupancy: 8
; WaveLimiterHint : 0
; COMPUTE_PGM_RSRC2:SCRATCH_EN: 0
; COMPUTE_PGM_RSRC2:USER_SGPR: 6
; COMPUTE_PGM_RSRC2:TRAP_HANDLER: 0
; COMPUTE_PGM_RSRC2:TGID_X_EN: 1
; COMPUTE_PGM_RSRC2:TGID_Y_EN: 1
; COMPUTE_PGM_RSRC2:TGID_Z_EN: 1
; COMPUTE_PGM_RSRC2:TIDIG_COMP_CNT: 0
; COMPUTE_PGM_RSRC3_GFX90A:ACCUM_OFFSET: 5
; COMPUTE_PGM_RSRC3_GFX90A:TG_SPLIT: 0
	.section	.text._ZL15flash_attn_tileILi256ELi256ELi8ELi2ELb0EEvPKcS1_S1_S1_S1_PKiPfP15HIP_vector_typeIfLj2EEffffjfiS5_IjLj3EEiiiiiiiiiiiliiliiiiil,"axG",@progbits,_ZL15flash_attn_tileILi256ELi256ELi8ELi2ELb0EEvPKcS1_S1_S1_S1_PKiPfP15HIP_vector_typeIfLj2EEffffjfiS5_IjLj3EEiiiiiiiiiiiliiliiiiil,comdat
	.globl	_ZL15flash_attn_tileILi256ELi256ELi8ELi2ELb0EEvPKcS1_S1_S1_S1_PKiPfP15HIP_vector_typeIfLj2EEffffjfiS5_IjLj3EEiiiiiiiiiiiliiliiiiil ; -- Begin function _ZL15flash_attn_tileILi256ELi256ELi8ELi2ELb0EEvPKcS1_S1_S1_S1_PKiPfP15HIP_vector_typeIfLj2EEffffjfiS5_IjLj3EEiiiiiiiiiiiliiliiiiil
	.p2align	8
	.type	_ZL15flash_attn_tileILi256ELi256ELi8ELi2ELb0EEvPKcS1_S1_S1_S1_PKiPfP15HIP_vector_typeIfLj2EEffffjfiS5_IjLj3EEiiiiiiiiiiiliiliiiiil,@function
_ZL15flash_attn_tileILi256ELi256ELi8ELi2ELb0EEvPKcS1_S1_S1_S1_PKiPfP15HIP_vector_typeIfLj2EEffffjfiS5_IjLj3EEiiiiiiiiiiiliiliiiiil: ; @_ZL15flash_attn_tileILi256ELi256ELi8ELi2ELb0EEvPKcS1_S1_S1_S1_PKiPfP15HIP_vector_typeIfLj2EEffffjfiS5_IjLj3EEiiiiiiiiiiiliiliiiiil
; %bb.0:
	s_load_dwordx4 s[24:27], s[4:5], 0x5c
	s_load_dwordx2 s[30:31], s[4:5], 0x80
	s_load_dwordx2 s[36:37], s[4:5], 0xb8
	s_mov_b64 s[34:35], 0
	s_waitcnt lgkmcnt(0)
	s_lshr_b32 s0, s27, 31
	s_add_i32 s0, s27, s0
	s_ashr_i32 s0, s0, 1
	v_cvt_f32_u32_e32 v1, s0
	s_sub_i32 s1, 0, s0
	v_rcp_iflag_f32_e32 v1, v1
	v_mul_f32_e32 v1, 0x4f7ffffe, v1
	v_cvt_u32_f32_e32 v1, v1
	v_readfirstlane_b32 s2, v1
	s_mul_i32 s1, s1, s2
	s_mul_hi_u32 s1, s2, s1
	s_add_i32 s2, s2, s1
	s_mul_hi_u32 s1, s8, s2
	s_mul_i32 s2, s1, s0
	s_sub_i32 s2, s8, s2
	s_add_i32 s3, s1, 1
	s_sub_i32 s9, s2, s0
	s_cmp_ge_u32 s2, s0
	s_cselect_b32 s1, s3, s1
	s_cselect_b32 s2, s9, s2
	s_add_i32 s3, s1, 1
	s_cmp_ge_u32 s2, s0
	s_cselect_b32 s33, s3, s1
	s_abs_i32 s0, s31
	v_cvt_f32_u32_e32 v1, s0
	s_lshl_b32 s1, s8, 1
	s_mul_i32 s8, s33, s27
	s_sub_i32 s9, 0, s0
	v_rcp_iflag_f32_e32 v1, v1
	s_sub_i32 s28, s1, s8
	s_abs_i32 s3, s27
	s_xor_b32 s2, s27, s31
	v_mul_f32_e32 v1, 0x4f7ffffe, v1
	v_cvt_u32_f32_e32 v1, v1
	s_ashr_i32 s2, s2, 31
	v_readfirstlane_b32 s1, v1
	s_mul_i32 s9, s9, s1
	s_mul_hi_u32 s8, s1, s9
	s_add_i32 s1, s1, s8
	s_mul_hi_u32 s1, s3, s1
	s_mul_i32 s8, s1, s0
	s_sub_i32 s3, s3, s8
	s_add_i32 s9, s1, 1
	s_sub_i32 s8, s3, s0
	s_cmp_ge_u32 s3, s0
	s_cselect_b32 s1, s9, s1
	s_cselect_b32 s3, s8, s3
	s_add_i32 s8, s1, 1
	s_cmp_ge_u32 s3, s0
	s_cselect_b32 s0, s8, s1
	s_xor_b32 s0, s0, s2
	s_sub_i32 s31, s0, s2
	s_abs_i32 s29, s31
	v_cvt_f32_u32_e32 v1, s29
	s_load_dwordx16 s[8:23], s[4:5], 0x0
	v_rcp_iflag_f32_e32 v1, v1
	s_waitcnt lgkmcnt(0)
	s_cmp_eq_u64 s[14:15], 0
	v_mul_f32_e32 v1, 0x4f7ffffe, v1
	v_cvt_u32_f32_e32 v1, v1
	v_readfirstlane_b32 s38, v1
	s_cbranch_scc1 .LBB30_2
; %bb.1:
	s_abs_i32 s2, s36
	v_cvt_f32_u32_e32 v1, s2
	s_sub_i32 s35, 0, s2
	s_abs_i32 s34, s33
	s_ashr_i32 s3, s33, 31
	v_rcp_iflag_f32_e32 v1, v1
	s_load_dwordx2 s[0:1], s[4:5], 0xc8
	v_mul_f32_e32 v1, 0x4f7ffffe, v1
	v_cvt_u32_f32_e32 v1, v1
	v_readfirstlane_b32 s36, v1
	s_mul_i32 s35, s35, s36
	s_mul_hi_u32 s35, s36, s35
	s_add_i32 s36, s36, s35
	s_mul_hi_u32 s35, s34, s36
	s_mul_i32 s35, s35, s2
	s_sub_i32 s34, s34, s35
	s_sub_i32 s35, s34, s2
	s_cmp_ge_u32 s34, s2
	s_cselect_b32 s34, s35, s34
	s_sub_i32 s35, s34, s2
	s_cmp_ge_u32 s34, s2
	s_cselect_b32 s2, s35, s34
	s_xor_b32 s2, s2, s3
	s_sub_i32 s2, s2, s3
	s_ashr_i32 s3, s2, 31
	s_waitcnt lgkmcnt(0)
	s_mul_i32 s1, s2, s1
	s_mul_hi_u32 s34, s2, s0
	s_add_i32 s1, s34, s1
	s_mul_i32 s3, s3, s0
	s_add_i32 s1, s1, s3
	s_mul_i32 s2, s2, s0
	s_add_u32 s34, s14, s2
	s_addc_u32 s35, s15, s1
.LBB30_2:
	s_load_dwordx4 s[0:3], s[4:5], 0x70
	v_bfe_u32 v1, v0, 10, 10
	v_lshl_add_u32 v9, s6, 3, v1
	v_mul_hi_u32 v2, s24, v9
	v_add_u32_e32 v2, v9, v2
	s_waitcnt lgkmcnt(0)
	s_mul_i32 s2, s33, s2
	s_ashr_i32 s14, s2, 31
	s_mul_i32 s3, s28, s1
	s_add_u32 s2, s8, s2
	s_addc_u32 s8, s9, s14
	s_ashr_i32 s9, s3, 31
	s_add_u32 s14, s2, s3
	v_lshrrev_b32_e32 v2, s25, v2
	s_addc_u32 s8, s8, s9
	v_mul_lo_u32 v2, v2, s26
	s_ashr_i32 s9, s0, 31
	v_mov_b32_e32 v3, s0
	v_sub_u32_e32 v2, v9, v2
	v_alignbit_b32 v3, s9, v3, 2
	v_mad_u64_u32 v[4:5], s[2:3], v3, v2, 0
	v_mov_b32_e32 v6, v5
	s_lshr_b32 s0, s9, 2
	v_mad_u64_u32 v[6:7], s[2:3], s0, v2, v[6:7]
	v_mov_b32_e32 v5, v6
	v_lshlrev_b64 v[4:5], 2, v[4:5]
	v_and_b32_e32 v8, 0x3ff, v0
	v_mov_b32_e32 v0, s8
	v_add_co_u32_e32 v3, vcc, s14, v4
	v_addc_co_u32_e32 v0, vcc, v0, v5, vcc
	v_lshlrev_b32_e32 v4, 4, v8
	v_add_co_u32_e32 v14, vcc, v3, v4
	v_addc_co_u32_e32 v15, vcc, 0, v0, vcc
	s_ashr_i32 s0, s1, 31
	s_and_b32 s1, s1, -4
	v_mov_b32_e32 v0, s0
	v_add_co_u32_e32 v22, vcc, s1, v14
	global_load_dwordx4 v[4:7], v[14:15], off
	global_load_dwordx4 v[10:13], v[14:15], off offset:512
	v_addc_co_u32_e32 v23, vcc, v15, v0, vcc
	global_load_dwordx4 v[14:17], v[22:23], off
	global_load_dwordx4 v[18:21], v[22:23], off offset:512
	s_load_dword s0, s[4:5], 0x40
	s_mov_b32 s1, 0
	v_lshlrev_b32_e32 v3, 8, v1
	v_lshlrev_b32_e32 v0, 1, v8
	v_add_lshl_u32 v3, v0, v3, 2
	v_add_u32_e32 v3, 0x2000, v3
	s_cmp_eq_u64 s[18:19], 0
	s_waitcnt vmcnt(3) lgkmcnt(0)
	v_pk_mul_f32 v[4:5], v[4:5], s[0:1] op_sel_hi:[1,0]
	v_pk_mul_f32 v[6:7], v[6:7], s[0:1] op_sel_hi:[1,0]
	s_waitcnt vmcnt(2)
	v_pk_mul_f32 v[10:11], v[10:11], s[0:1] op_sel_hi:[1,0]
	v_pk_mul_f32 v[12:13], v[12:13], s[0:1] op_sel_hi:[1,0]
	v_cvt_f16_f32_e32 v22, v5
	v_cvt_f16_f32_e32 v23, v4
	;; [unrolled: 1-line block ×8, first 2 shown]
	s_waitcnt vmcnt(1)
	v_pk_mul_f32 v[4:5], v[14:15], s[0:1] op_sel_hi:[1,0]
	v_pk_mul_f32 v[6:7], v[16:17], s[0:1] op_sel_hi:[1,0]
	s_waitcnt vmcnt(0)
	v_pk_mul_f32 v[10:11], v[18:19], s[0:1] op_sel_hi:[1,0]
	v_pk_mul_f32 v[12:13], v[20:21], s[0:1] op_sel_hi:[1,0]
	v_cvt_f16_f32_e32 v14, v5
	v_cvt_f16_f32_e32 v15, v4
	;; [unrolled: 1-line block ×8, first 2 shown]
	v_pack_b32_f16 v5, v25, v24
	v_pack_b32_f16 v4, v23, v22
	;; [unrolled: 1-line block ×4, first 2 shown]
	ds_write2_b64 v3, v[4:5], v[6:7] offset0:64 offset1:96
	v_pack_b32_f16 v5, v17, v16
	v_pack_b32_f16 v4, v15, v14
	;; [unrolled: 1-line block ×4, first 2 shown]
	ds_write2_b64 v3, v[4:5], v[6:7] offset0:128 offset1:160
	s_waitcnt lgkmcnt(0)
	s_barrier
	s_cbranch_scc1 .LBB30_4
; %bb.3:
	s_load_dword s0, s[4:5], 0xd0
	s_waitcnt lgkmcnt(0)
	s_mul_i32 s0, s0, s33
	s_add_i32 s0, s0, s6
	s_lshl_b64 s[0:1], s[0:1], 2
	s_add_u32 s0, s18, s0
	s_addc_u32 s1, s19, s1
	s_load_dword s30, s[0:1], 0x0
.LBB30_4:
	s_lshl_b32 s14, s7, 5
	v_lshlrev_b32_e32 v11, 2, v8
	s_waitcnt lgkmcnt(0)
	s_cmp_lt_i32 s14, s30
	v_mbcnt_lo_u32_b32 v3, -1, 0
	s_cbranch_scc1 .LBB30_6
; %bb.5:
	v_mbcnt_hi_u32_b32 v40, -1, v3
	v_and_b32_e32 v4, 0x60, v40
	s_mov_b32 s0, 0xfeffffff
	s_mov_b32 s6, 0
	v_add_u32_e32 v41, 32, v4
	v_xor_b32_e32 v46, 16, v40
	v_xor_b32_e32 v45, 8, v40
	;; [unrolled: 1-line block ×5, first 2 shown]
	s_mov_b32 s1, s0
	s_mov_b64 s[2:3], 0
	s_branch .LBB30_7
.LBB30_6:
	s_mov_b64 s[2:3], -1
                                        ; implicit-def: $sgpr6
                                        ; implicit-def: $sgpr0_sgpr1
                                        ; implicit-def: $vgpr40
                                        ; implicit-def: $vgpr41
                                        ; implicit-def: $vgpr46
                                        ; implicit-def: $vgpr45
                                        ; implicit-def: $vgpr44
                                        ; implicit-def: $vgpr43
                                        ; implicit-def: $vgpr42
.LBB30_7:
	s_andn2_b64 vcc, exec, s[2:3]
	v_mov_b32_e32 v17, s6
	v_mov_b32_e32 v48, s6
	v_pk_mov_b32 v[30:31], s[0:1], s[0:1] op_sel:[0,1]
	v_mov_b32_e32 v47, s6
	v_mov_b32_e32 v16, s6
	;; [unrolled: 1-line block ×8, first 2 shown]
	s_cbranch_vccnz .LBB30_10
; %bb.8:
	s_sub_i32 s0, 0, s29
	s_mul_i32 s0, s0, s38
	s_mul_hi_u32 s0, s38, s0
	s_add_i32 s38, s38, s0
	s_load_dwordx2 s[8:9], s[4:5], 0x8c
	s_load_dwordx4 s[0:3], s[4:5], 0x98
	s_ashr_i32 s25, s31, 31
	s_abs_i32 s6, s28
	s_ashr_i32 s24, s28, 31
	s_waitcnt lgkmcnt(0)
	s_ashr_i32 s18, s8, 2
	s_ashr_i32 s8, s33, 31
	s_mul_i32 s1, s33, s1
	s_mul_hi_u32 s31, s33, s0
	s_add_i32 s1, s31, s1
	s_mul_i32 s31, s8, s0
	s_ashr_i32 s15, s2, 2
	s_ashr_i32 s2, s37, 1
	s_add_i32 s1, s1, s31
	s_mul_i32 s0, s33, s0
	s_mul_hi_u32 s19, s6, s38
	s_add_u32 s0, s10, s0
	s_addc_u32 s1, s11, s1
	s_mul_i32 s11, s19, s29
	s_sub_i32 s6, s6, s11
	s_xor_b32 s10, s24, s25
	s_add_i32 s11, s19, 1
	s_sub_i32 s24, s6, s29
	s_cmp_ge_u32 s6, s29
	s_cselect_b32 s11, s11, s19
	s_cselect_b32 s6, s24, s6
	s_add_i32 s19, s11, 1
	s_cmp_ge_u32 s6, s29
	s_cselect_b32 s6, s19, s11
	s_load_dwordx2 s[38:39], s[4:5], 0xa8
	s_xor_b32 s6, s6, s10
	s_sub_i32 s6, s6, s10
	s_mul_i32 s9, s6, s9
	s_ashr_i32 s10, s9, 31
	s_add_u32 s19, s0, s9
	s_addc_u32 s24, s1, s10
	s_waitcnt lgkmcnt(0)
	s_mul_i32 s0, s33, s39
	s_mul_hi_u32 s1, s33, s38
	s_add_i32 s0, s1, s0
	s_mul_i32 s8, s8, s38
	s_add_i32 s0, s0, s8
	s_mul_i32 s1, s33, s38
	s_add_u32 s1, s12, s1
	s_mul_i32 s6, s6, s3
	s_addc_u32 s0, s13, s0
	s_ashr_i32 s3, s6, 31
	v_lshrrev_b32_e32 v4, 4, v8
	s_add_u32 s12, s1, s6
	v_lshl_add_u32 v5, v1, 1, v4
	v_and_b32_e32 v4, 60, v11
	s_addc_u32 s13, s0, s3
	v_lshlrev_b32_e32 v6, 2, v4
	s_movk_i32 s0, 0x110
	v_mad_u32_u24 v49, v5, s0, v6
	v_mul_lo_u32 v6, s18, v5
	v_mad_u64_u32 v[18:19], s[0:1], v2, s2, v[8:9]
	v_mov_b32_e32 v2, 0x4200
	v_mul_lo_u32 v16, s15, v1
	v_lshl_add_u32 v14, s18, 4, v6
	v_lshl_add_u32 v53, v1, 7, v2
	v_lshlrev_b32_e32 v55, 2, v11
	v_lshl_add_u32 v26, s15, 3, v16
	v_mbcnt_hi_u32_b32 v40, -1, v3
	v_mov_b32_e32 v13, 0
	v_ashrrev_i32_e32 v7, 31, v6
	v_ashrrev_i32_e32 v15, 31, v14
	v_mov_b32_e32 v5, 0x2200
	v_lshl_add_u32 v54, v0, 1, v53
	v_lshl_add_u32 v56, v1, 9, v55
	v_ashrrev_i32_e32 v17, 31, v16
	v_ashrrev_i32_e32 v27, 31, v26
	v_lshlrev_b32_e32 v58, 2, v0
	s_add_u32 s10, s4, 0xd0
	v_mov_b32_e32 v28, 0xfeffffff
	v_and_b32_e32 v0, 0x60, v40
	v_add_u32_e32 v50, 0x1100, v49
	v_mul_u32_u24_e32 v51, 0x110, v8
	v_lshl_add_u32 v52, v1, 10, v5
	v_add_u32_e32 v57, 0x1000, v56
	s_addc_u32 s11, s5, 0
	v_lshlrev_b64 v[20:21], 2, v[6:7]
	v_lshlrev_b32_e32 v59, 2, v4
	v_lshlrev_b64 v[22:23], 2, v[14:15]
	v_mov_b32_e32 v60, s35
	v_add_u32_e32 v41, 32, v0
	v_xor_b32_e32 v46, 16, v40
	v_xor_b32_e32 v45, 8, v40
	;; [unrolled: 1-line block ×5, first 2 shown]
	s_mov_b32 s6, 0x40051340
	s_mov_b32 s25, 0x3fb8aa3b
	;; [unrolled: 1-line block ×4, first 2 shown]
	v_mov_b32_e32 v61, 0x7f800000
	v_lshlrev_b64 v[24:25], 2, v[16:17]
	v_lshlrev_b64 v[26:27], 2, v[26:27]
	v_add_u32_e32 v62, 0x800, v58
	v_add_u32_e32 v63, 0x1000, v58
	;; [unrolled: 1-line block ×3, first 2 shown]
	v_mov_b32_e32 v47, 0
	v_mov_b32_e32 v10, 0
	;; [unrolled: 1-line block ×10, first 2 shown]
.LBB30_9:                               ; =>This Inner Loop Header: Depth=1
	v_cmp_lt_i32_e32 vcc, v46, v41
	v_cndmask_b32_e32 v2, v40, v46, vcc
	v_cmp_lt_i32_e32 vcc, v45, v41
	v_add_u32_e32 v0, s14, v18
	v_cndmask_b32_e32 v3, v40, v45, vcc
	v_cmp_lt_i32_e32 vcc, v44, v41
	s_mul_hi_i32 s1, s14, s18
	s_mul_i32 s0, s14, s18
	v_cndmask_b32_e32 v4, v40, v44, vcc
	v_cmp_lt_i32_e32 vcc, v43, v41
	v_ashrrev_i32_e32 v1, 31, v0
	v_cndmask_b32_e32 v5, v40, v43, vcc
	v_cmp_lt_i32_e32 vcc, v42, v41
	s_lshl_b64 s[0:1], s[0:1], 2
	v_lshlrev_b64 v[0:1], 1, v[0:1]
	v_cndmask_b32_e32 v6, v40, v42, vcc
	s_add_u32 s0, s19, s0
	v_add_co_u32_e32 v0, vcc, s34, v0
	s_addc_u32 s1, s24, s1
	v_addc_co_u32_e32 v1, vcc, v60, v1, vcc
	v_lshlrev_b32_e32 v71, 2, v2
	v_lshlrev_b32_e32 v70, 2, v3
	v_lshlrev_b32_e32 v69, 2, v4
	v_lshlrev_b32_e32 v68, 2, v5
	v_mov_b32_e32 v2, s1
	v_mov_b32_e32 v3, s1
	v_add_co_u32_e32 v4, vcc, s0, v22
	v_add_co_u32_e64 v5, s[0:1], s0, v20
	v_lshlrev_b32_e32 v67, 2, v6
	v_addc_co_u32_e64 v6, s[0:1], v2, v21, s[0:1]
	v_addc_co_u32_e32 v3, vcc, v3, v23, vcc
	v_add_co_u32_e64 v80, s[0:1], v5, v59
	v_add_co_u32_e32 v2, vcc, v4, v59
	v_addc_co_u32_e64 v81, s[0:1], 0, v6, s[0:1]
	v_addc_co_u32_e32 v3, vcc, 0, v3, vcc
	global_load_dwordx4 v[4:7], v[80:81], off
	global_load_dwordx4 v[72:75], v[2:3], off
	s_mul_hi_i32 s3, s14, s15
	s_mul_i32 s2, s14, s15
	s_lshl_b64 s[2:3], s[2:3], 2
	s_add_u32 s2, s12, s2
	s_addc_u32 s3, s13, s3
	s_or_b32 s8, s14, 16
	v_mov_b32_e32 v32, s3
	v_add_co_u32_e32 v33, vcc, s2, v24
	v_mov_b32_e32 v34, s3
	v_add_co_u32_e64 v35, s[0:1], s2, v26
	s_mul_hi_i32 s3, s8, s15
	s_mul_i32 s2, s8, s15
	v_addc_co_u32_e32 v32, vcc, v32, v25, vcc
	v_addc_co_u32_e64 v34, vcc, v34, v27, s[0:1]
	v_add_co_u32_e64 v38, s[0:1], v33, v55
	s_lshl_b64 s[2:3], s[2:3], 2
	v_addc_co_u32_e64 v39, s[0:1], 0, v32, s[0:1]
	v_add_co_u32_e32 v36, vcc, v35, v55
	s_add_u32 s0, s12, s2
	v_addc_co_u32_e32 v37, vcc, 0, v34, vcc
	s_addc_u32 s1, s13, s3
	v_mov_b32_e32 v32, s1
	v_mov_b32_e32 v33, s1
	v_add_co_u32_e32 v34, vcc, s0, v26
	v_add_co_u32_e64 v35, s[0:1], s0, v24
	v_addc_co_u32_e64 v76, s[0:1], v32, v25, s[0:1]
	v_addc_co_u32_e32 v33, vcc, v33, v27, vcc
	v_add_co_u32_e32 v32, vcc, v34, v55
	v_add_co_u32_e64 v34, s[0:1], v35, v55
	v_addc_co_u32_e64 v35, s[0:1], 0, v76, s[0:1]
	s_waitcnt vmcnt(1)
	ds_write_b128 v49, v[4:7]
	s_waitcnt vmcnt(0)
	ds_write_b128 v50, v[72:75]
	s_waitcnt lgkmcnt(0)
	s_barrier
	ds_read_b128 v[4:7], v51
	ds_read_b128 v[72:75], v52
	ds_read_b128 v[76:79], v52 offset:512
	v_mov_b32_e32 v30, 0
	s_waitcnt lgkmcnt(1)
	;;#ASMSTART
	v_dot2_f32_f16 v30, v4, v72, v30
	;;#ASMEND
	;;#ASMSTART
	v_dot2_f32_f16 v30, v5, v73, v30
	;;#ASMEND
	v_mov_b32_e32 v31, 0
	;;#ASMSTART
	v_dot2_f32_f16 v30, v6, v74, v30
	;;#ASMEND
	;;#ASMSTART
	v_dot2_f32_f16 v30, v7, v75, v30
	;;#ASMEND
	s_waitcnt lgkmcnt(0)
	;;#ASMSTART
	v_dot2_f32_f16 v31, v4, v76, v31
	;;#ASMEND
	;;#ASMSTART
	v_dot2_f32_f16 v31, v5, v77, v31
	;;#ASMEND
	;;#ASMSTART
	v_dot2_f32_f16 v31, v6, v78, v31
	;;#ASMEND
	;;#ASMSTART
	v_dot2_f32_f16 v31, v7, v79, v31
	;;#ASMEND
	ds_read_b128 v[4:7], v51 offset:16
	ds_read_b128 v[72:75], v52 offset:16
	ds_read_b128 v[76:79], v52 offset:528
	s_waitcnt lgkmcnt(1)
	;;#ASMSTART
	v_dot2_f32_f16 v30, v4, v72, v30
	;;#ASMEND
	;;#ASMSTART
	v_dot2_f32_f16 v30, v5, v73, v30
	;;#ASMEND
	;;#ASMSTART
	v_dot2_f32_f16 v30, v6, v74, v30
	;;#ASMEND
	;;#ASMSTART
	v_dot2_f32_f16 v30, v7, v75, v30
	;;#ASMEND
	s_waitcnt lgkmcnt(0)
	;;#ASMSTART
	v_dot2_f32_f16 v31, v4, v76, v31
	;;#ASMEND
	;;#ASMSTART
	v_dot2_f32_f16 v31, v5, v77, v31
	;;#ASMEND
	;;#ASMSTART
	v_dot2_f32_f16 v31, v6, v78, v31
	;;#ASMEND
	;;#ASMSTART
	v_dot2_f32_f16 v31, v7, v79, v31
	;;#ASMEND
	ds_read_b128 v[4:7], v51 offset:32
	ds_read_b128 v[72:75], v52 offset:32
	ds_read_b128 v[76:79], v52 offset:544
	s_waitcnt lgkmcnt(1)
	;;#ASMSTART
	v_dot2_f32_f16 v30, v4, v72, v30
	;;#ASMEND
	;;#ASMSTART
	v_dot2_f32_f16 v30, v5, v73, v30
	;;#ASMEND
	;; [unrolled: 29-line block ×15, first 2 shown]
	;;#ASMSTART
	v_dot2_f32_f16 v30, v6, v74, v30
	;;#ASMEND
	;;#ASMSTART
	v_dot2_f32_f16 v30, v7, v75, v30
	;;#ASMEND
	s_waitcnt lgkmcnt(0)
	;;#ASMSTART
	v_dot2_f32_f16 v31, v4, v76, v31
	;;#ASMEND
	;;#ASMSTART
	v_dot2_f32_f16 v31, v5, v77, v31
	;;#ASMEND
	;; [unrolled: 3-line block ×4, first 2 shown]
	s_barrier
	global_load_dwordx4 v[4:7], v[80:81], off offset:256
	global_load_dwordx4 v[72:75], v[2:3], off offset:256
	v_max_f32_e32 v65, v29, v29
	v_max_f32_e32 v66, v28, v28
	v_addc_co_u32_e32 v33, vcc, 0, v33, vcc
	s_waitcnt vmcnt(1)
	ds_write_b128 v49, v[4:7]
	s_waitcnt vmcnt(0)
	ds_write_b128 v50, v[72:75]
	s_waitcnt lgkmcnt(0)
	s_barrier
	ds_read_b128 v[2:5], v51
	ds_read_b128 v[72:75], v52 offset:256
	ds_read_b128 v[76:79], v52 offset:768
	s_waitcnt lgkmcnt(1)
	;;#ASMSTART
	v_dot2_f32_f16 v30, v2, v72, v30
	;;#ASMEND
	;;#ASMSTART
	v_dot2_f32_f16 v30, v3, v73, v30
	;;#ASMEND
	;;#ASMSTART
	v_dot2_f32_f16 v30, v4, v74, v30
	;;#ASMEND
	;;#ASMSTART
	v_dot2_f32_f16 v30, v5, v75, v30
	;;#ASMEND
	s_waitcnt lgkmcnt(0)
	;;#ASMSTART
	v_dot2_f32_f16 v31, v2, v76, v31
	;;#ASMEND
	;;#ASMSTART
	v_dot2_f32_f16 v31, v3, v77, v31
	;;#ASMEND
	;;#ASMSTART
	v_dot2_f32_f16 v31, v4, v78, v31
	;;#ASMEND
	;;#ASMSTART
	v_dot2_f32_f16 v31, v5, v79, v31
	;;#ASMEND
	ds_read_b128 v[2:5], v51 offset:16
	ds_read_b128 v[72:75], v52 offset:272
	ds_read_b128 v[76:79], v52 offset:784
	s_waitcnt lgkmcnt(1)
	;;#ASMSTART
	v_dot2_f32_f16 v30, v2, v72, v30
	;;#ASMEND
	;;#ASMSTART
	v_dot2_f32_f16 v30, v3, v73, v30
	;;#ASMEND
	;;#ASMSTART
	v_dot2_f32_f16 v30, v4, v74, v30
	;;#ASMEND
	;;#ASMSTART
	v_dot2_f32_f16 v30, v5, v75, v30
	;;#ASMEND
	s_waitcnt lgkmcnt(0)
	;;#ASMSTART
	v_dot2_f32_f16 v31, v2, v76, v31
	;;#ASMEND
	;;#ASMSTART
	v_dot2_f32_f16 v31, v3, v77, v31
	;;#ASMEND
	;;#ASMSTART
	v_dot2_f32_f16 v31, v4, v78, v31
	;;#ASMEND
	;;#ASMSTART
	v_dot2_f32_f16 v31, v5, v79, v31
	;;#ASMEND
	ds_read_b128 v[2:5], v51 offset:32
	;; [unrolled: 29-line block ×15, first 2 shown]
	ds_read_b128 v[72:75], v52 offset:496
	ds_read_b128 v[76:79], v52 offset:1008
	s_waitcnt lgkmcnt(1)
	;;#ASMSTART
	v_dot2_f32_f16 v30, v2, v72, v30
	;;#ASMEND
	;;#ASMSTART
	v_dot2_f32_f16 v30, v3, v73, v30
	;;#ASMEND
	;; [unrolled: 3-line block ×4, first 2 shown]
	s_waitcnt lgkmcnt(0)
	;;#ASMSTART
	v_dot2_f32_f16 v31, v2, v76, v31
	;;#ASMEND
	;;#ASMSTART
	v_dot2_f32_f16 v31, v3, v77, v31
	;;#ASMEND
	;;#ASMSTART
	v_dot2_f32_f16 v31, v4, v78, v31
	;;#ASMEND
	;;#ASMSTART
	v_dot2_f32_f16 v31, v5, v79, v31
	;;#ASMEND
	flat_load_ushort v72, v[0:1]
	s_waitcnt lgkmcnt(0)
	s_barrier
	global_load_dwordx4 v[0:3], v[38:39], off
	global_load_dwordx4 v[4:7], v[36:37], off
	s_waitcnt vmcnt(0)
	v_cvt_f32_f16_e32 v36, v72
	v_pk_add_f32 v[36:37], v[30:31], v[36:37] op_sel_hi:[1,0]
	v_pk_add_f32 v[30:31], v[36:37], s[6:7] op_sel_hi:[1,0]
	v_max_f32_e32 v31, v65, v31
	v_max_f32_e32 v30, v66, v30
	ds_bpermute_b32 v38, v71, v31
	ds_bpermute_b32 v39, v71, v30
	s_waitcnt lgkmcnt(1)
	v_max_f32_e32 v38, v38, v38
	s_waitcnt lgkmcnt(0)
	v_max_f32_e32 v39, v39, v39
	v_max_f32_e32 v31, v31, v38
	v_max_f32_e32 v30, v30, v39
	ds_bpermute_b32 v38, v70, v31
	ds_bpermute_b32 v39, v70, v30
	s_waitcnt lgkmcnt(1)
	v_max_f32_e32 v38, v38, v38
	s_waitcnt lgkmcnt(0)
	v_max_f32_e32 v39, v39, v39
	;; [unrolled: 8-line block ×5, first 2 shown]
	v_max_f32_e32 v31, v31, v38
	v_max_f32_e32 v30, v30, v39
	v_pk_add_f32 v[36:37], v[36:37], v[30:31] neg_lo:[0,1] neg_hi:[0,1]
	v_mul_f32_e32 v65, 0x3fb8aa3b, v37
	v_mul_f32_e32 v66, 0x3fb8aa3b, v36
	v_fma_f32 v69, v37, s25, -v65
	v_rndne_f32_e32 v70, v65
	v_fma_f32 v71, v36, s25, -v66
	v_rndne_f32_e32 v72, v66
	v_fmac_f32_e32 v69, 0x32a5705f, v37
	v_sub_f32_e32 v65, v65, v70
	v_fmac_f32_e32 v71, 0x32a5705f, v36
	v_sub_f32_e32 v66, v66, v72
	v_pk_add_f32 v[38:39], v[28:29], v[30:31] neg_lo:[0,1] neg_hi:[0,1]
	v_add_f32_e32 v65, v65, v69
	v_add_f32_e32 v66, v66, v71
	v_mul_f32_e32 v67, 0x3fb8aa3b, v39
	v_mul_f32_e32 v68, 0x3fb8aa3b, v38
	v_cvt_i32_f32_e32 v70, v70
	v_cvt_i32_f32_e32 v72, v72
	v_exp_f32_e32 v65, v65
	v_exp_f32_e32 v66, v66
	v_fma_f32 v73, v39, s25, -v67
	v_rndne_f32_e32 v74, v67
	v_fma_f32 v75, v38, s25, -v68
	v_rndne_f32_e32 v76, v68
	v_fmac_f32_e32 v73, 0x32a5705f, v39
	v_sub_f32_e32 v67, v67, v74
	v_fmac_f32_e32 v75, 0x32a5705f, v38
	v_sub_f32_e32 v68, v68, v76
	v_add_f32_e32 v67, v67, v73
	v_add_f32_e32 v68, v68, v75
	v_cvt_i32_f32_e32 v74, v74
	v_cvt_i32_f32_e32 v76, v76
	v_exp_f32_e32 v67, v67
	v_exp_f32_e32 v68, v68
	v_ldexp_f32 v65, v65, v70
	v_ldexp_f32 v66, v66, v72
	v_cmp_ngt_f32_e32 vcc, s29, v36
	v_cmp_ngt_f32_e64 s[8:9], s29, v37
	v_cndmask_b32_e64 v65, 0, v65, s[8:9]
	v_cndmask_b32_e32 v66, 0, v66, vcc
	v_cmp_nlt_f32_e32 vcc, s31, v36
	v_cmp_nlt_f32_e64 s[8:9], s31, v37
	v_cndmask_b32_e64 v37, v61, v65, s[8:9]
	v_cndmask_b32_e32 v36, v61, v66, vcc
	v_cvt_f16_f32_e32 v65, v37
	v_cvt_f16_f32_e32 v66, v36
	v_ldexp_f32 v67, v67, v74
	v_cmp_ngt_f32_e64 s[0:1], s29, v39
	v_ldexp_f32 v68, v68, v76
	v_cmp_ngt_f32_e64 s[2:3], s29, v38
	v_cndmask_b32_e64 v67, 0, v67, s[0:1]
	v_cmp_nlt_f32_e64 s[0:1], s31, v39
	v_cndmask_b32_e64 v68, 0, v68, s[2:3]
	v_cmp_nlt_f32_e64 s[2:3], s31, v38
	v_cndmask_b32_e64 v39, v61, v67, s[0:1]
	v_cndmask_b32_e64 v38, v61, v68, s[2:3]
	v_pk_fma_f32 v[16:17], v[16:17], v[38:39], v[36:37]
	v_pack_b32_f16 v36, v66, v65
	v_cvt_f16_f32_e32 v138, v38
	v_cvt_f16_f32_e32 v139, v39
	ds_write_b32 v54, v36
	ds_write_b128 v56, v[0:3]
	ds_write_b128 v57, v[4:7]
	s_waitcnt lgkmcnt(0)
	s_barrier
	ds_read2_b64 v[0:3], v58 offset1:32
	ds_read_b128 v[4:7], v53
	ds_read_b128 v[36:39], v53 offset:16
	ds_read_b128 v[66:69], v53 offset:32
	;; [unrolled: 1-line block ×3, first 2 shown]
	ds_read2_b64 v[74:77], v58 offset0:64 offset1:96
	ds_read2_b64 v[78:81], v58 offset0:128 offset1:160
	ds_read2_b64 v[82:85], v58 offset0:192 offset1:224
	ds_read2_b64 v[86:89], v62 offset1:32
	ds_read2_b64 v[90:93], v62 offset0:64 offset1:96
	ds_read2_b64 v[94:97], v62 offset0:128 offset1:160
	ds_read2_b64 v[98:101], v62 offset0:192 offset1:224
	ds_read2_b64 v[102:105], v63 offset1:32
	;; [unrolled: 4-line block ×3, first 2 shown]
	ds_read2_b64 v[122:125], v64 offset0:64 offset1:96
	ds_read2_b64 v[126:129], v64 offset0:128 offset1:160
	;; [unrolled: 1-line block ×3, first 2 shown]
	s_waitcnt lgkmcnt(0)
	s_barrier
	global_load_dwordx4 v[134:137], v[34:35], off
	s_nop 0
	global_load_dwordx4 v[32:35], v[32:33], off
	v_pk_mul_f16 v48, v138, v48 op_sel_hi:[0,1]
	v_pk_mul_f16 v14, v138, v14 op_sel_hi:[0,1]
	;; [unrolled: 1-line block ×6, first 2 shown]
	v_pk_mul_f16 v0, v0, v4 op_sel:[0,1]
	v_pk_mul_f16 v140, v1, v4 op_sel_hi:[1,0]
	v_pk_fma_f16 v1, v1, v4, v10 op_sel:[0,1,0]
	v_pk_fma_f16 v10, v2, v4, v48 op_sel_hi:[1,0,1]
	v_pk_fma_f16 v2, v2, v4, v19 op_sel:[0,1,0]
	v_pk_fma_f16 v14, v3, v4, v14 op_sel_hi:[1,0,1]
	;; [unrolled: 2-line block ×3, first 2 shown]
	v_pk_fma_f16 v0, v139, v15, v0 op_sel_hi:[0,1,1]
	v_pk_fma_f16 v12, v138, v12, v140 op_sel_hi:[0,1,1]
	v_pk_fma_f16 v1, v75, v5, v1 op_sel:[0,1,0]
	v_pk_fma_f16 v10, v76, v5, v10 op_sel_hi:[1,0,1]
	v_pk_fma_f16 v2, v76, v5, v2 op_sel:[0,1,0]
	;; [unrolled: 2-line block ×60, first 2 shown]
	v_pk_fma_f16 v128, v131, v73, v5 op_sel_hi:[1,0,1]
	s_waitcnt vmcnt(1)
	ds_write_b128 v56, v[134:137]
	s_waitcnt vmcnt(0)
	ds_write_b128 v57, v[32:35]
	s_waitcnt lgkmcnt(0)
	s_barrier
	ds_read2_b64 v[0:3], v58 offset1:32
	ds_read_b128 v[4:7], v53 offset:64
	ds_read_b128 v[12:15], v53 offset:80
	;; [unrolled: 1-line block ×4, first 2 shown]
	ds_read2_b64 v[66:69], v58 offset0:64 offset1:96
	ds_read2_b64 v[70:73], v58 offset0:128 offset1:160
	ds_read2_b64 v[74:77], v58 offset0:192 offset1:224
	ds_read2_b64 v[78:81], v62 offset1:32
	ds_read2_b64 v[82:85], v62 offset0:64 offset1:96
	ds_read2_b64 v[86:89], v62 offset0:128 offset1:160
	ds_read2_b64 v[90:93], v62 offset0:192 offset1:224
	ds_read2_b64 v[94:97], v63 offset1:32
	;; [unrolled: 4-line block ×3, first 2 shown]
	ds_read2_b64 v[114:117], v64 offset0:64 offset1:96
	ds_read2_b64 v[118:121], v64 offset0:128 offset1:160
	;; [unrolled: 1-line block ×3, first 2 shown]
	s_waitcnt lgkmcnt(14)
	v_pk_fma_f16 v126, v0, v4, v126 op_sel_hi:[1,0,1]
	v_pk_fma_f16 v0, v0, v4, v127 op_sel:[0,1,0]
	v_pk_fma_f16 v127, v1, v4, v128 op_sel_hi:[1,0,1]
	v_pk_fma_f16 v1, v1, v4, v10 op_sel:[0,1,0]
	;; [unrolled: 2-line block ×8, first 2 shown]
	s_waitcnt lgkmcnt(13)
	v_pk_fma_f16 v4, v70, v6, v4 op_sel_hi:[1,0,1]
	v_pk_fma_f16 v0, v70, v6, v0 op_sel:[0,1,0]
	v_pk_fma_f16 v5, v71, v6, v47 op_sel_hi:[1,0,1]
	v_pk_fma_f16 v1, v71, v6, v1 op_sel:[0,1,0]
	v_pk_fma_f16 v10, v72, v6, v10 op_sel_hi:[1,0,1]
	v_pk_fma_f16 v2, v72, v6, v2 op_sel:[0,1,0]
	v_pk_fma_f16 v19, v73, v6, v19 op_sel_hi:[1,0,1]
	v_pk_fma_f16 v3, v73, v6, v3 op_sel:[0,1,0]
	s_waitcnt lgkmcnt(12)
	v_pk_fma_f16 v4, v74, v7, v4 op_sel_hi:[1,0,1]
	v_pk_fma_f16 v0, v74, v7, v0 op_sel:[0,1,0]
	v_pk_fma_f16 v5, v75, v7, v5 op_sel_hi:[1,0,1]
	v_pk_fma_f16 v1, v75, v7, v1 op_sel:[0,1,0]
	v_pk_fma_f16 v6, v76, v7, v10 op_sel_hi:[1,0,1]
	v_pk_fma_f16 v2, v76, v7, v2 op_sel:[0,1,0]
	v_pk_fma_f16 v10, v77, v7, v19 op_sel_hi:[1,0,1]
	v_pk_fma_f16 v3, v77, v7, v3 op_sel:[0,1,0]
	s_waitcnt lgkmcnt(11)
	v_pk_fma_f16 v4, v78, v12, v4 op_sel_hi:[1,0,1]
	v_pk_fma_f16 v0, v78, v12, v0 op_sel:[0,1,0]
	v_pk_fma_f16 v5, v79, v12, v5 op_sel_hi:[1,0,1]
	v_pk_fma_f16 v1, v79, v12, v1 op_sel:[0,1,0]
	v_pk_fma_f16 v6, v80, v12, v6 op_sel_hi:[1,0,1]
	v_pk_fma_f16 v2, v80, v12, v2 op_sel:[0,1,0]
	v_pk_fma_f16 v7, v81, v12, v10 op_sel_hi:[1,0,1]
	v_pk_fma_f16 v3, v81, v12, v3 op_sel:[0,1,0]
	s_waitcnt lgkmcnt(10)
	v_pk_fma_f16 v4, v82, v13, v4 op_sel_hi:[1,0,1]
	v_pk_fma_f16 v0, v82, v13, v0 op_sel:[0,1,0]
	v_pk_fma_f16 v5, v83, v13, v5 op_sel_hi:[1,0,1]
	v_pk_fma_f16 v1, v83, v13, v1 op_sel:[0,1,0]
	v_pk_fma_f16 v6, v84, v13, v6 op_sel_hi:[1,0,1]
	v_pk_fma_f16 v2, v84, v13, v2 op_sel:[0,1,0]
	v_pk_fma_f16 v7, v85, v13, v7 op_sel_hi:[1,0,1]
	v_pk_fma_f16 v3, v85, v13, v3 op_sel:[0,1,0]
	s_waitcnt lgkmcnt(9)
	v_pk_fma_f16 v4, v86, v14, v4 op_sel_hi:[1,0,1]
	v_pk_fma_f16 v0, v86, v14, v0 op_sel:[0,1,0]
	v_pk_fma_f16 v5, v87, v14, v5 op_sel_hi:[1,0,1]
	v_pk_fma_f16 v1, v87, v14, v1 op_sel:[0,1,0]
	v_pk_fma_f16 v6, v88, v14, v6 op_sel_hi:[1,0,1]
	v_pk_fma_f16 v2, v88, v14, v2 op_sel:[0,1,0]
	v_pk_fma_f16 v7, v89, v14, v7 op_sel_hi:[1,0,1]
	v_pk_fma_f16 v3, v89, v14, v3 op_sel:[0,1,0]
	s_waitcnt lgkmcnt(8)
	v_pk_fma_f16 v4, v90, v15, v4 op_sel_hi:[1,0,1]
	v_pk_fma_f16 v0, v90, v15, v0 op_sel:[0,1,0]
	v_pk_fma_f16 v5, v91, v15, v5 op_sel_hi:[1,0,1]
	v_pk_fma_f16 v1, v91, v15, v1 op_sel:[0,1,0]
	v_pk_fma_f16 v6, v92, v15, v6 op_sel_hi:[1,0,1]
	v_pk_fma_f16 v2, v92, v15, v2 op_sel:[0,1,0]
	v_pk_fma_f16 v7, v93, v15, v7 op_sel_hi:[1,0,1]
	v_pk_fma_f16 v3, v93, v15, v3 op_sel:[0,1,0]
	s_waitcnt lgkmcnt(0)
	s_barrier
	s_load_dword s0, s[10:11], 0x4
	v_pk_fma_f16 v4, v94, v32, v4 op_sel_hi:[1,0,1]
	v_pk_fma_f16 v0, v94, v32, v0 op_sel:[0,1,0]
	v_pk_fma_f16 v5, v95, v32, v5 op_sel_hi:[1,0,1]
	v_pk_fma_f16 v1, v95, v32, v1 op_sel:[0,1,0]
	;; [unrolled: 2-line block ×20, first 2 shown]
	s_waitcnt lgkmcnt(0)
	s_lshl_b32 s0, s0, 5
	v_pk_fma_f16 v4, v114, v37, v4 op_sel_hi:[1,0,1]
	v_pk_fma_f16 v0, v114, v37, v0 op_sel:[0,1,0]
	v_pk_fma_f16 v5, v115, v37, v5 op_sel_hi:[1,0,1]
	v_pk_fma_f16 v1, v115, v37, v1 op_sel:[0,1,0]
	;; [unrolled: 2-line block ×4, first 2 shown]
	s_add_i32 s14, s0, s14
	v_pk_fma_f16 v4, v118, v38, v4 op_sel_hi:[1,0,1]
	v_pk_fma_f16 v0, v118, v38, v0 op_sel:[0,1,0]
	v_pk_fma_f16 v5, v119, v38, v5 op_sel_hi:[1,0,1]
	v_pk_fma_f16 v1, v119, v38, v1 op_sel:[0,1,0]
	;; [unrolled: 2-line block ×4, first 2 shown]
	v_mov_b32_e32 v28, v30
	v_mov_b32_e32 v29, v31
	s_cmp_ge_i32 s14, s30
	v_pk_fma_f16 v47, v122, v39, v4 op_sel_hi:[1,0,1]
	v_pk_fma_f16 v15, v122, v39, v0 op_sel:[0,1,0]
	v_pk_fma_f16 v12, v123, v39, v5 op_sel_hi:[1,0,1]
	v_pk_fma_f16 v10, v123, v39, v1 op_sel:[0,1,0]
	;; [unrolled: 2-line block ×4, first 2 shown]
	s_cbranch_scc0 .LBB30_9
.LBB30_10:
	v_cmp_lt_i32_e32 vcc, v46, v41
	v_cndmask_b32_e32 v0, v40, v46, vcc
	v_lshlrev_b32_e32 v1, 2, v0
	ds_bpermute_b32 v0, v1, v16
	ds_bpermute_b32 v1, v1, v17
	v_cmp_lt_i32_e32 vcc, v45, v41
	v_cndmask_b32_e32 v2, v40, v45, vcc
	v_lshlrev_b32_e32 v3, 2, v2
	v_cmp_lt_i32_e32 vcc, v44, v41
	s_waitcnt lgkmcnt(0)
	v_pk_add_f32 v[0:1], v[16:17], v[0:1]
	ds_bpermute_b32 v2, v3, v0
	ds_bpermute_b32 v3, v3, v1
	v_cndmask_b32_e32 v4, v40, v44, vcc
	v_lshlrev_b32_e32 v4, 2, v4
	v_cmp_lt_i32_e32 vcc, v43, v41
	s_cmp_lg_u64 s[16:17], 0
	s_waitcnt lgkmcnt(0)
	v_pk_add_f32 v[0:1], v[0:1], v[2:3]
	ds_bpermute_b32 v2, v4, v0
	ds_bpermute_b32 v3, v4, v1
	v_cndmask_b32_e32 v4, v40, v43, vcc
	v_lshlrev_b32_e32 v4, 2, v4
	v_cmp_lt_i32_e32 vcc, v42, v41
	s_cselect_b64 s[0:1], -1, 0
	s_waitcnt lgkmcnt(0)
	v_pk_add_f32 v[0:1], v[0:1], v[2:3]
	ds_bpermute_b32 v2, v4, v0
	ds_bpermute_b32 v3, v4, v1
	v_cndmask_b32_e32 v4, v40, v42, vcc
	v_lshlrev_b32_e32 v4, 2, v4
	s_cmp_eq_u32 s7, 0
	s_cselect_b64 s[2:3], -1, 0
	s_waitcnt lgkmcnt(0)
	v_pk_add_f32 v[0:1], v[0:1], v[2:3]
	ds_bpermute_b32 v2, v4, v0
	ds_bpermute_b32 v3, v4, v1
	s_and_b64 s[0:1], s[2:3], s[0:1]
	s_and_b64 vcc, exec, s[0:1]
	s_waitcnt lgkmcnt(0)
	v_pk_add_f32 v[0:1], v[0:1], v[2:3]
	s_cbranch_vccz .LBB30_12
; %bb.11:
	s_ashr_i32 s29, s28, 31
	s_lshl_b64 s[0:1], s[28:29], 2
	s_add_u32 s0, s16, s0
	s_addc_u32 s1, s17, s1
	v_mov_b32_e32 v2, 0
	global_load_dwordx2 v[2:3], v2, s[0:1]
	v_max_f32_e32 v4, v31, v31
	v_max_f32_e32 v6, v30, v30
	s_mov_b32 s0, 0x3fb8aa3b
	s_mov_b32 s1, 0xc2ce8ed0
	;; [unrolled: 1-line block ×3, first 2 shown]
	v_mov_b32_e32 v16, 0x7f800000
	s_waitcnt vmcnt(0)
	v_max_f32_e32 v5, v3, v3
	v_max_f32_e32 v7, v2, v2
	;; [unrolled: 1-line block ×4, first 2 shown]
	v_pk_add_f32 v[6:7], v[30:31], v[4:5] neg_lo:[0,1] neg_hi:[0,1]
	v_mul_f32_e32 v17, 0x3fb8aa3b, v7
	v_pk_add_f32 v[2:3], v[2:3], v[4:5] neg_lo:[0,1] neg_hi:[0,1]
	v_mul_f32_e32 v18, 0x3fb8aa3b, v6
	v_fma_f32 v22, v7, s0, -v17
	v_rndne_f32_e32 v23, v17
	v_mul_f32_e32 v20, 0x3fb8aa3b, v3
	v_fma_f32 v24, v6, s0, -v18
	v_rndne_f32_e32 v25, v18
	v_fmac_f32_e32 v22, 0x32a5705f, v7
	v_sub_f32_e32 v17, v17, v23
	v_mul_f32_e32 v21, 0x3fb8aa3b, v2
	v_fma_f32 v26, v3, s0, -v20
	v_rndne_f32_e32 v27, v20
	v_fmac_f32_e32 v24, 0x32a5705f, v6
	v_sub_f32_e32 v18, v18, v25
	v_add_f32_e32 v17, v17, v22
	v_fma_f32 v28, v2, s0, -v21
	v_rndne_f32_e32 v29, v21
	v_cvt_i32_f32_e32 v23, v23
	v_fmac_f32_e32 v26, 0x32a5705f, v3
	v_sub_f32_e32 v20, v20, v27
	v_add_f32_e32 v18, v18, v24
	v_exp_f32_e32 v17, v17
	v_cvt_i32_f32_e32 v25, v25
	v_fmac_f32_e32 v28, 0x32a5705f, v2
	v_sub_f32_e32 v21, v21, v29
	v_add_f32_e32 v20, v20, v26
	v_exp_f32_e32 v18, v18
	v_cvt_i32_f32_e32 v27, v27
	v_add_f32_e32 v21, v21, v28
	v_exp_f32_e32 v20, v20
	v_cvt_i32_f32_e32 v29, v29
	v_exp_f32_e32 v21, v21
	v_ldexp_f32 v17, v17, v23
	v_cmp_ngt_f32_e32 vcc, s1, v7
	v_ldexp_f32 v18, v18, v25
	v_cndmask_b32_e32 v17, 0, v17, vcc
	v_cmp_ngt_f32_e32 vcc, s1, v6
	v_ldexp_f32 v20, v20, v27
	v_cndmask_b32_e32 v18, 0, v18, vcc
	;; [unrolled: 3-line block ×3, first 2 shown]
	v_cmp_ngt_f32_e32 vcc, s1, v2
	v_cndmask_b32_e32 v21, 0, v21, vcc
	v_cmp_nlt_f32_e32 vcc, s2, v7
	v_cndmask_b32_e32 v7, v16, v17, vcc
	v_cmp_nlt_f32_e32 vcc, s2, v6
	;; [unrolled: 2-line block ×4, first 2 shown]
	v_cndmask_b32_e32 v2, v16, v21, vcc
	v_cvt_f16_f32_e32 v17, v6
	v_pk_fma_f32 v[0:1], v[0:1], v[6:7], v[2:3]
	v_cvt_f16_f32_e32 v2, v7
	v_pk_mov_b32 v[30:31], v[4:5], v[4:5] op_sel:[0,1]
	v_pk_mul_f16 v47, v17, v47 op_sel_hi:[0,1]
	v_pk_mul_f16 v12, v17, v12 op_sel_hi:[0,1]
	;; [unrolled: 1-line block ×8, first 2 shown]
.LBB30_12:
	v_cmp_gt_i32_e32 vcc, s26, v9
	s_and_saveexec_b64 s[0:1], vcc
	s_cbranch_execz .LBB30_21
; %bb.13:
	s_load_dword s6, s[4:5], 0xd4
	v_mov_b32_e32 v4, 1.0
	s_waitcnt lgkmcnt(0)
	s_cmp_lg_u32 s6, 1
	s_cselect_b64 s[0:1], -1, 0
	s_cmp_eq_u32 s6, 1
	s_cselect_b64 s[2:3], -1, 0
	s_and_b64 vcc, exec, s[0:1]
	s_cbranch_vccnz .LBB30_15
; %bb.14:
	v_div_scale_f32 v2, s[4:5], v0, v0, 1.0
	v_rcp_f32_e32 v3, v2
	v_div_scale_f32 v4, vcc, 1.0, v0, 1.0
	v_fma_f32 v5, -v2, v3, 1.0
	v_fmac_f32_e32 v3, v5, v3
	v_mul_f32_e32 v5, v4, v3
	v_fma_f32 v6, -v2, v5, v4
	v_fmac_f32_e32 v5, v6, v3
	v_fma_f32 v2, -v2, v5, v4
	v_div_fmas_f32 v2, v2, v3, v5
	v_div_fixup_f32 v4, v2, v0, 1.0
.LBB30_15:
	s_mul_i32 s33, s33, s26
	v_add_u32_e32 v2, s33, v9
	v_mul_lo_u32 v2, v2, s27
	v_add_u32_e32 v2, s28, v2
	v_mul_lo_u32 v2, s6, v2
	v_cmp_eq_u32_e32 vcc, 0, v8
	v_add_u32_e32 v2, s7, v2
	v_cvt_f32_f16_sdwa v9, v47 dst_sel:DWORD dst_unused:UNUSED_PAD src0_sel:WORD_1
	v_cvt_f32_f16_e32 v8, v47
	v_cvt_f32_f16_sdwa v21, v12 dst_sel:DWORD dst_unused:UNUSED_PAD src0_sel:WORD_1
	v_cvt_f32_f16_e32 v20, v12
	v_lshl_add_u32 v16, v2, 8, v11
	v_mov_b32_e32 v17, 0
	v_lshlrev_b64 v[6:7], 2, v[16:17]
	s_and_b64 s[0:1], vcc, s[0:1]
	v_mov_b32_e32 v3, s21
	v_add_co_u32_e32 v22, vcc, s20, v6
	v_addc_co_u32_e32 v23, vcc, v3, v7, vcc
	v_pk_mul_f32 v[6:7], v[4:5], v[8:9] op_sel_hi:[0,1]
	v_pk_mul_f32 v[8:9], v[4:5], v[20:21] op_sel_hi:[0,1]
	v_add_u32_e32 v16, 0x80, v16
	global_store_dwordx4 v[22:23], v[6:9], off
	s_nop 0
	v_lshlrev_b64 v[6:7], 2, v[16:17]
	v_cvt_f32_f16_sdwa v9, v48 dst_sel:DWORD dst_unused:UNUSED_PAD src0_sel:WORD_1
	v_cvt_f32_f16_e32 v8, v48
	v_cvt_f32_f16_sdwa v17, v14 dst_sel:DWORD dst_unused:UNUSED_PAD src0_sel:WORD_1
	v_cvt_f32_f16_e32 v16, v14
	v_add_co_u32_e32 v20, vcc, s20, v6
	v_addc_co_u32_e32 v21, vcc, v3, v7, vcc
	v_pk_mul_f32 v[6:7], v[4:5], v[8:9] op_sel_hi:[0,1]
	v_pk_mul_f32 v[8:9], v[4:5], v[16:17] op_sel_hi:[0,1]
	global_store_dwordx4 v[20:21], v[6:9], off
	s_and_saveexec_b64 s[4:5], s[0:1]
	s_cbranch_execz .LBB30_17
; %bb.16:
	v_ashrrev_i32_e32 v3, 31, v2
	v_lshlrev_b64 v[4:5], 3, v[2:3]
	v_mov_b32_e32 v3, s23
	v_add_co_u32_e32 v4, vcc, s22, v4
	v_addc_co_u32_e32 v5, vcc, v3, v5, vcc
	v_mov_b32_e32 v6, v30
	v_mov_b32_e32 v7, v0
	global_store_dwordx2 v[4:5], v[6:7], off
.LBB30_17:
	s_or_b64 exec, exec, s[4:5]
	s_andn2_b64 vcc, exec, s[2:3]
	v_mov_b32_e32 v0, 1.0
	s_cbranch_vccnz .LBB30_19
; %bb.18:
	v_div_scale_f32 v0, s[2:3], v1, v1, 1.0
	v_rcp_f32_e32 v3, v0
	v_div_scale_f32 v4, vcc, 1.0, v1, 1.0
	v_fma_f32 v5, -v0, v3, 1.0
	v_fmac_f32_e32 v3, v5, v3
	v_mul_f32_e32 v5, v4, v3
	v_fma_f32 v6, -v0, v5, v4
	v_fmac_f32_e32 v5, v6, v3
	v_fma_f32 v0, -v0, v5, v4
	v_div_fmas_f32 v0, v0, v3, v5
	v_div_fixup_f32 v0, v0, v1, 1.0
.LBB30_19:
	v_add_u32_e32 v2, s6, v2
	v_lshl_add_u32 v8, v2, 8, v11
	v_cvt_f32_f16_sdwa v7, v15 dst_sel:DWORD dst_unused:UNUSED_PAD src0_sel:WORD_1
	v_cvt_f32_f16_e32 v6, v15
	v_cvt_f32_f16_sdwa v11, v10 dst_sel:DWORD dst_unused:UNUSED_PAD src0_sel:WORD_1
	v_cvt_f32_f16_e32 v10, v10
	v_mov_b32_e32 v9, 0
	v_lshlrev_b64 v[4:5], 2, v[8:9]
	v_mov_b32_e32 v3, s21
	v_add_co_u32_e32 v14, vcc, s20, v4
	v_addc_co_u32_e32 v15, vcc, v3, v5, vcc
	v_pk_mul_f32 v[4:5], v[0:1], v[6:7] op_sel_hi:[0,1]
	v_pk_mul_f32 v[6:7], v[0:1], v[10:11] op_sel_hi:[0,1]
	v_add_u32_e32 v8, 0x80, v8
	global_store_dwordx4 v[14:15], v[4:7], off
	s_nop 0
	v_lshlrev_b64 v[4:5], 2, v[8:9]
	v_cvt_f32_f16_sdwa v7, v19 dst_sel:DWORD dst_unused:UNUSED_PAD src0_sel:WORD_1
	v_cvt_f32_f16_e32 v6, v19
	v_cvt_f32_f16_sdwa v9, v13 dst_sel:DWORD dst_unused:UNUSED_PAD src0_sel:WORD_1
	v_cvt_f32_f16_e32 v8, v13
	v_add_co_u32_e32 v10, vcc, s20, v4
	v_addc_co_u32_e32 v11, vcc, v3, v5, vcc
	v_pk_mul_f32 v[4:5], v[0:1], v[6:7] op_sel_hi:[0,1]
	v_pk_mul_f32 v[6:7], v[0:1], v[8:9] op_sel_hi:[0,1]
	global_store_dwordx4 v[10:11], v[4:7], off
	s_and_b64 exec, exec, s[0:1]
	s_cbranch_execz .LBB30_21
; %bb.20:
	v_ashrrev_i32_e32 v3, 31, v2
	v_lshlrev_b64 v[2:3], 3, v[2:3]
	v_mov_b32_e32 v0, s23
	v_add_co_u32_e32 v2, vcc, s22, v2
	v_addc_co_u32_e32 v3, vcc, v0, v3, vcc
	v_mov_b32_e32 v0, v31
	global_store_dwordx2 v[2:3], v[0:1], off
.LBB30_21:
	s_endpgm
	.section	.rodata,"a",@progbits
	.p2align	6, 0x0
	.amdhsa_kernel _ZL15flash_attn_tileILi256ELi256ELi8ELi2ELb0EEvPKcS1_S1_S1_S1_PKiPfP15HIP_vector_typeIfLj2EEffffjfiS5_IjLj3EEiiiiiiiiiiiliiliiiiil
		.amdhsa_group_segment_fixed_size 17920
		.amdhsa_private_segment_fixed_size 0
		.amdhsa_kernarg_size 464
		.amdhsa_user_sgpr_count 6
		.amdhsa_user_sgpr_private_segment_buffer 1
		.amdhsa_user_sgpr_dispatch_ptr 0
		.amdhsa_user_sgpr_queue_ptr 0
		.amdhsa_user_sgpr_kernarg_segment_ptr 1
		.amdhsa_user_sgpr_dispatch_id 0
		.amdhsa_user_sgpr_flat_scratch_init 0
		.amdhsa_user_sgpr_kernarg_preload_length 0
		.amdhsa_user_sgpr_kernarg_preload_offset 0
		.amdhsa_user_sgpr_private_segment_size 0
		.amdhsa_uses_dynamic_stack 0
		.amdhsa_system_sgpr_private_segment_wavefront_offset 0
		.amdhsa_system_sgpr_workgroup_id_x 1
		.amdhsa_system_sgpr_workgroup_id_y 1
		.amdhsa_system_sgpr_workgroup_id_z 1
		.amdhsa_system_sgpr_workgroup_info 0
		.amdhsa_system_vgpr_workitem_id 1
		.amdhsa_next_free_vgpr 141
		.amdhsa_next_free_sgpr 40
		.amdhsa_accum_offset 144
		.amdhsa_reserve_vcc 1
		.amdhsa_reserve_flat_scratch 0
		.amdhsa_float_round_mode_32 0
		.amdhsa_float_round_mode_16_64 0
		.amdhsa_float_denorm_mode_32 3
		.amdhsa_float_denorm_mode_16_64 3
		.amdhsa_dx10_clamp 1
		.amdhsa_ieee_mode 1
		.amdhsa_fp16_overflow 0
		.amdhsa_tg_split 0
		.amdhsa_exception_fp_ieee_invalid_op 0
		.amdhsa_exception_fp_denorm_src 0
		.amdhsa_exception_fp_ieee_div_zero 0
		.amdhsa_exception_fp_ieee_overflow 0
		.amdhsa_exception_fp_ieee_underflow 0
		.amdhsa_exception_fp_ieee_inexact 0
		.amdhsa_exception_int_div_zero 0
	.end_amdhsa_kernel
	.section	.text._ZL15flash_attn_tileILi256ELi256ELi8ELi2ELb0EEvPKcS1_S1_S1_S1_PKiPfP15HIP_vector_typeIfLj2EEffffjfiS5_IjLj3EEiiiiiiiiiiiliiliiiiil,"axG",@progbits,_ZL15flash_attn_tileILi256ELi256ELi8ELi2ELb0EEvPKcS1_S1_S1_S1_PKiPfP15HIP_vector_typeIfLj2EEffffjfiS5_IjLj3EEiiiiiiiiiiiliiliiiiil,comdat
.Lfunc_end30:
	.size	_ZL15flash_attn_tileILi256ELi256ELi8ELi2ELb0EEvPKcS1_S1_S1_S1_PKiPfP15HIP_vector_typeIfLj2EEffffjfiS5_IjLj3EEiiiiiiiiiiiliiliiiiil, .Lfunc_end30-_ZL15flash_attn_tileILi256ELi256ELi8ELi2ELb0EEvPKcS1_S1_S1_S1_PKiPfP15HIP_vector_typeIfLj2EEffffjfiS5_IjLj3EEiiiiiiiiiiiliiliiiiil
                                        ; -- End function
	.section	.AMDGPU.csdata,"",@progbits
; Kernel info:
; codeLenInByte = 9824
; NumSgprs: 44
; NumVgprs: 141
; NumAgprs: 0
; TotalNumVgprs: 141
; ScratchSize: 0
; MemoryBound: 0
; FloatMode: 240
; IeeeMode: 1
; LDSByteSize: 17920 bytes/workgroup (compile time only)
; SGPRBlocks: 5
; VGPRBlocks: 17
; NumSGPRsForWavesPerEU: 44
; NumVGPRsForWavesPerEU: 141
; AccumOffset: 144
; Occupancy: 3
; WaveLimiterHint : 1
; COMPUTE_PGM_RSRC2:SCRATCH_EN: 0
; COMPUTE_PGM_RSRC2:USER_SGPR: 6
; COMPUTE_PGM_RSRC2:TRAP_HANDLER: 0
; COMPUTE_PGM_RSRC2:TGID_X_EN: 1
; COMPUTE_PGM_RSRC2:TGID_Y_EN: 1
; COMPUTE_PGM_RSRC2:TGID_Z_EN: 1
; COMPUTE_PGM_RSRC2:TIDIG_COMP_CNT: 1
; COMPUTE_PGM_RSRC3_GFX90A:ACCUM_OFFSET: 35
; COMPUTE_PGM_RSRC3_GFX90A:TG_SPLIT: 0
	.section	.text._ZL33flash_attn_stream_k_fixup_uniformILi256ELi8ELi2EEvPfPK15HIP_vector_typeIfLj2EEiiiiiiS1_IjLj3EES5_S5_,"axG",@progbits,_ZL33flash_attn_stream_k_fixup_uniformILi256ELi8ELi2EEvPfPK15HIP_vector_typeIfLj2EEiiiiiiS1_IjLj3EES5_S5_,comdat
	.globl	_ZL33flash_attn_stream_k_fixup_uniformILi256ELi8ELi2EEvPfPK15HIP_vector_typeIfLj2EEiiiiiiS1_IjLj3EES5_S5_ ; -- Begin function _ZL33flash_attn_stream_k_fixup_uniformILi256ELi8ELi2EEvPfPK15HIP_vector_typeIfLj2EEiiiiiiS1_IjLj3EES5_S5_
	.p2align	8
	.type	_ZL33flash_attn_stream_k_fixup_uniformILi256ELi8ELi2EEvPfPK15HIP_vector_typeIfLj2EEiiiiiiS1_IjLj3EES5_S5_,@function
_ZL33flash_attn_stream_k_fixup_uniformILi256ELi8ELi2EEvPfPK15HIP_vector_typeIfLj2EEiiiiiiS1_IjLj3EES5_S5_: ; @_ZL33flash_attn_stream_k_fixup_uniformILi256ELi8ELi2EEvPfPK15HIP_vector_typeIfLj2EEiiiiiiS1_IjLj3EES5_S5_
; %bb.0:
	s_load_dwordx8 s[12:19], s[4:5], 0x1c
	s_load_dwordx2 s[10:11], s[4:5], 0x10
	s_load_dwordx4 s[0:3], s[4:5], 0x3c
	s_waitcnt lgkmcnt(0)
	s_mul_hi_u32 s9, s15, s6
	s_add_i32 s9, s6, s9
	s_lshr_b32 s9, s9, s16
	s_mul_i32 s15, s9, s17
	s_sub_i32 s15, s6, s15
	s_mul_hi_u32 s16, s15, s18
	s_add_i32 s16, s15, s16
	s_lshr_b32 s16, s16, s19
	s_mul_i32 s0, s16, s0
	s_sub_i32 s0, s15, s0
	;; [unrolled: 5-line block ×3, first 2 shown]
	s_lshl_b32 s0, s17, 3
	s_lshl_b32 s15, s1, 1
	s_add_i32 s0, s0, s7
	s_cmp_lt_i32 s0, s10
	s_cselect_b64 s[0:1], -1, 0
	s_add_i32 s2, s15, s8
	s_cmp_lt_i32 s2, s13
	s_cselect_b64 s[2:3], -1, 0
	s_and_b64 s[0:1], s[0:1], s[2:3]
	s_andn2_b64 vcc, exec, s[0:1]
	s_cbranch_vccnz .LBB31_6
; %bb.1:
	s_load_dwordx4 s[0:3], s[4:5], 0x0
	s_mul_i32 s4, s9, s10
	s_add_i32 s4, s4, s7
	s_mul_i32 s4, s4, s11
	s_mul_i32 s16, s16, s13
	s_add_i32 s4, s4, s8
	s_add_i32 s4, s4, s16
	s_mul_i32 s5, s11, s17
	s_add_i32 s4, s4, s15
	s_lshl_b32 s5, s5, 11
	s_lshl_b32 s4, s4, 8
	s_add_i32 s5, s5, s4
	v_or_b32_e32 v2, s5, v0
	v_ashrrev_i32_e32 v3, 31, v2
	v_lshlrev_b64 v[2:3], 2, v[2:3]
	s_waitcnt lgkmcnt(0)
	v_mov_b32_e32 v1, s1
	v_add_co_u32_e32 v2, vcc, s0, v2
	v_addc_co_u32_e32 v3, vcc, v1, v3, vcc
	global_load_dword v8, v[2:3], off
	s_mul_i32 s9, s6, s14
	s_lshl_b32 s4, s7, 1
	s_add_i32 s11, s9, s14
	s_add_i32 s0, s4, s8
	s_lshl_b32 s1, s11, 4
	s_add_i32 s0, s0, s1
	s_add_i32 s0, s0, -16
	s_ashr_i32 s1, s0, 31
	s_lshl_b64 s[0:1], s[0:1], 3
	s_add_u32 s0, s2, s0
	s_addc_u32 s1, s3, s1
	s_load_dword s5, s[0:1], 0x4
	s_add_i32 s10, s11, -2
	s_cmp_lt_i32 s10, s9
	s_cbranch_scc1 .LBB31_4
; %bb.2:
	s_lshl_b32 s16, s12, 6
	s_ashr_i32 s17, s16, 31
	s_lshl_b64 s[16:17], s[16:17], 2
	s_add_u32 s10, s2, s16
	s_addc_u32 s13, s3, s17
	s_add_i32 s6, s6, 1
	s_load_dword s0, s[0:1], 0x0
	s_mul_i32 s1, s14, s6
	s_lshl_b32 s7, s7, 9
	s_lshl_b32 s14, s8, 8
	;; [unrolled: 1-line block ×3, first 2 shown]
	s_add_i32 s7, s14, s7
	s_lshl_b32 s1, s1, 4
	s_add_i32 s7, s7, s6
	s_add_i32 s1, s8, s1
	s_lshl_b32 s6, s12, 4
	s_add_i32 s1, s1, s6
	v_or_b32_e32 v0, s7, v0
	s_add_i32 s1, s1, s4
	s_add_i32 s11, s11, -1
	v_add_u32_e32 v0, 0xffffe000, v0
	s_sub_i32 s4, s1, 32
	s_waitcnt lgkmcnt(0)
	v_mov_b32_e32 v7, s5
	v_mov_b32_e32 v6, s0
	;; [unrolled: 1-line block ×3, first 2 shown]
	s_mov_b32 s6, 0x3fb8aa3b
	s_mov_b32 s7, 0xc2ce8ed0
	s_mov_b32 s8, 0x42b17218
	v_mov_b32_e32 v5, 0x7f800000
	s_mov_b32 s12, 0xc1a00000
.LBB31_3:                               ; =>This Inner Loop Header: Depth=1
	v_ashrrev_i32_e32 v1, 31, v0
	v_lshlrev_b64 v[10:11], 2, v[0:1]
	v_add_co_u32_e32 v10, vcc, s10, v10
	v_addc_co_u32_e32 v11, vcc, v4, v11, vcc
	global_load_dword v1, v[10:11], off
	s_ashr_i32 s5, s4, 31
	s_lshl_b64 s[0:1], s[4:5], 3
	s_add_u32 s0, s2, s0
	s_addc_u32 s1, s3, s1
	s_load_dwordx2 s[14:15], s[0:1], 0x0
	s_waitcnt vmcnt(1)
	v_mov_b32_e32 v9, v8
	v_max_f32_e32 v8, v6, v6
	v_mov_b32_e32 v10, v7
	s_add_i32 s11, s11, -1
	s_waitcnt lgkmcnt(0)
	v_max_f32_e64 v7, s14, s14
	v_max_f32_e32 v7, v8, v7
	v_sub_f32_e32 v11, s14, v7
	v_sub_f32_e32 v8, v6, v7
	v_mul_f32_e32 v12, 0x3fb8aa3b, v11
	v_mov_b32_e32 v6, v7
	v_mul_f32_e32 v7, 0x3fb8aa3b, v8
	v_fma_f32 v15, v11, s6, -v12
	v_rndne_f32_e32 v16, v12
	v_fma_f32 v13, v8, s6, -v7
	v_rndne_f32_e32 v14, v7
	v_fmac_f32_e32 v15, 0x32a5705f, v11
	v_sub_f32_e32 v12, v12, v16
	v_fmac_f32_e32 v13, 0x32a5705f, v8
	v_sub_f32_e32 v7, v7, v14
	v_add_f32_e32 v12, v12, v15
	v_cvt_i32_f32_e32 v16, v16
	v_add_f32_e32 v7, v7, v13
	v_exp_f32_e32 v12, v12
	v_cvt_i32_f32_e32 v14, v14
	v_exp_f32_e32 v7, v7
	v_cmp_ngt_f32_e32 vcc, s7, v11
	v_ldexp_f32 v12, v12, v16
	v_cmp_ngt_f32_e64 s[0:1], s7, v8
	v_ldexp_f32 v7, v7, v14
	v_cndmask_b32_e32 v12, 0, v12, vcc
	v_cmp_nlt_f32_e32 vcc, s8, v11
	v_cndmask_b32_e64 v7, 0, v7, s[0:1]
	v_cmp_nlt_f32_e64 s[0:1], s8, v8
	v_cndmask_b32_e32 v12, v5, v12, vcc
	v_cmp_le_f32_e32 vcc, s12, v11
	v_cndmask_b32_e64 v7, v5, v7, s[0:1]
	v_cmp_le_f32_e64 s[0:1], s12, v8
	v_cndmask_b32_e32 v8, 0, v12, vcc
	s_add_i32 s4, s4, -16
	v_cndmask_b32_e64 v11, 0, v7, s[0:1]
	v_mul_f32_e32 v7, s15, v8
	v_add_u32_e32 v0, 0xfffff000, v0
	s_cmp_le_i32 s11, s9
	v_fmac_f32_e32 v7, v10, v11
	s_waitcnt vmcnt(0)
	v_mul_f32_e32 v8, v1, v8
	v_fmac_f32_e32 v8, v9, v11
	s_cbranch_scc0 .LBB31_3
	s_branch .LBB31_5
.LBB31_4:
	s_waitcnt lgkmcnt(0)
	v_mov_b32_e32 v7, s5
.LBB31_5:
	s_waitcnt vmcnt(0)
	v_div_scale_f32 v0, s[0:1], v7, v7, v8
	v_rcp_f32_e32 v1, v0
	v_div_scale_f32 v4, vcc, v8, v7, v8
	v_fma_f32 v5, -v0, v1, 1.0
	v_fmac_f32_e32 v1, v5, v1
	v_mul_f32_e32 v5, v4, v1
	v_fma_f32 v6, -v0, v5, v4
	v_fmac_f32_e32 v5, v6, v1
	v_fma_f32 v0, -v0, v5, v4
	v_div_fmas_f32 v0, v0, v1, v5
	v_div_fixup_f32 v0, v0, v7, v8
	global_store_dword v[2:3], v0, off
.LBB31_6:
	s_endpgm
	.section	.rodata,"a",@progbits
	.p2align	6, 0x0
	.amdhsa_kernel _ZL33flash_attn_stream_k_fixup_uniformILi256ELi8ELi2EEvPfPK15HIP_vector_typeIfLj2EEiiiiiiS1_IjLj3EES5_S5_
		.amdhsa_group_segment_fixed_size 0
		.amdhsa_private_segment_fixed_size 0
		.amdhsa_kernarg_size 76
		.amdhsa_user_sgpr_count 6
		.amdhsa_user_sgpr_private_segment_buffer 1
		.amdhsa_user_sgpr_dispatch_ptr 0
		.amdhsa_user_sgpr_queue_ptr 0
		.amdhsa_user_sgpr_kernarg_segment_ptr 1
		.amdhsa_user_sgpr_dispatch_id 0
		.amdhsa_user_sgpr_flat_scratch_init 0
		.amdhsa_user_sgpr_kernarg_preload_length 0
		.amdhsa_user_sgpr_kernarg_preload_offset 0
		.amdhsa_user_sgpr_private_segment_size 0
		.amdhsa_uses_dynamic_stack 0
		.amdhsa_system_sgpr_private_segment_wavefront_offset 0
		.amdhsa_system_sgpr_workgroup_id_x 1
		.amdhsa_system_sgpr_workgroup_id_y 1
		.amdhsa_system_sgpr_workgroup_id_z 1
		.amdhsa_system_sgpr_workgroup_info 0
		.amdhsa_system_vgpr_workitem_id 0
		.amdhsa_next_free_vgpr 17
		.amdhsa_next_free_sgpr 20
		.amdhsa_accum_offset 20
		.amdhsa_reserve_vcc 1
		.amdhsa_reserve_flat_scratch 0
		.amdhsa_float_round_mode_32 0
		.amdhsa_float_round_mode_16_64 0
		.amdhsa_float_denorm_mode_32 3
		.amdhsa_float_denorm_mode_16_64 3
		.amdhsa_dx10_clamp 1
		.amdhsa_ieee_mode 1
		.amdhsa_fp16_overflow 0
		.amdhsa_tg_split 0
		.amdhsa_exception_fp_ieee_invalid_op 0
		.amdhsa_exception_fp_denorm_src 0
		.amdhsa_exception_fp_ieee_div_zero 0
		.amdhsa_exception_fp_ieee_overflow 0
		.amdhsa_exception_fp_ieee_underflow 0
		.amdhsa_exception_fp_ieee_inexact 0
		.amdhsa_exception_int_div_zero 0
	.end_amdhsa_kernel
	.section	.text._ZL33flash_attn_stream_k_fixup_uniformILi256ELi8ELi2EEvPfPK15HIP_vector_typeIfLj2EEiiiiiiS1_IjLj3EES5_S5_,"axG",@progbits,_ZL33flash_attn_stream_k_fixup_uniformILi256ELi8ELi2EEvPfPK15HIP_vector_typeIfLj2EEiiiiiiS1_IjLj3EES5_S5_,comdat
.Lfunc_end31:
	.size	_ZL33flash_attn_stream_k_fixup_uniformILi256ELi8ELi2EEvPfPK15HIP_vector_typeIfLj2EEiiiiiiS1_IjLj3EES5_S5_, .Lfunc_end31-_ZL33flash_attn_stream_k_fixup_uniformILi256ELi8ELi2EEvPfPK15HIP_vector_typeIfLj2EEiiiiiiS1_IjLj3EES5_S5_
                                        ; -- End function
	.section	.AMDGPU.csdata,"",@progbits
; Kernel info:
; codeLenInByte = 856
; NumSgprs: 24
; NumVgprs: 17
; NumAgprs: 0
; TotalNumVgprs: 17
; ScratchSize: 0
; MemoryBound: 0
; FloatMode: 240
; IeeeMode: 1
; LDSByteSize: 0 bytes/workgroup (compile time only)
; SGPRBlocks: 2
; VGPRBlocks: 2
; NumSGPRsForWavesPerEU: 24
; NumVGPRsForWavesPerEU: 17
; AccumOffset: 20
; Occupancy: 8
; WaveLimiterHint : 0
; COMPUTE_PGM_RSRC2:SCRATCH_EN: 0
; COMPUTE_PGM_RSRC2:USER_SGPR: 6
; COMPUTE_PGM_RSRC2:TRAP_HANDLER: 0
; COMPUTE_PGM_RSRC2:TGID_X_EN: 1
; COMPUTE_PGM_RSRC2:TGID_Y_EN: 1
; COMPUTE_PGM_RSRC2:TGID_Z_EN: 1
; COMPUTE_PGM_RSRC2:TIDIG_COMP_CNT: 0
; COMPUTE_PGM_RSRC3_GFX90A:ACCUM_OFFSET: 4
; COMPUTE_PGM_RSRC3_GFX90A:TG_SPLIT: 0
	.section	.text._ZL33flash_attn_stream_k_fixup_generalILi256ELi8ELi2EEvPfPK15HIP_vector_typeIfLj2EEiiiiS1_IjLj3EES5_S5_S5_,"axG",@progbits,_ZL33flash_attn_stream_k_fixup_generalILi256ELi8ELi2EEvPfPK15HIP_vector_typeIfLj2EEiiiiS1_IjLj3EES5_S5_S5_,comdat
	.globl	_ZL33flash_attn_stream_k_fixup_generalILi256ELi8ELi2EEvPfPK15HIP_vector_typeIfLj2EEiiiiS1_IjLj3EES5_S5_S5_ ; -- Begin function _ZL33flash_attn_stream_k_fixup_generalILi256ELi8ELi2EEvPfPK15HIP_vector_typeIfLj2EEiiiiS1_IjLj3EES5_S5_S5_
	.p2align	8
	.type	_ZL33flash_attn_stream_k_fixup_generalILi256ELi8ELi2EEvPfPK15HIP_vector_typeIfLj2EEiiiiS1_IjLj3EES5_S5_S5_,@function
_ZL33flash_attn_stream_k_fixup_generalILi256ELi8ELi2EEvPfPK15HIP_vector_typeIfLj2EEiiiiS1_IjLj3EES5_S5_S5_: ; @_ZL33flash_attn_stream_k_fixup_generalILi256ELi8ELi2EEvPfPK15HIP_vector_typeIfLj2EEiiiiS1_IjLj3EES5_S5_S5_
; %bb.0:
	s_load_dwordx4 s[12:15], s[4:5], 0x10
	s_load_dword s9, s[4:5], 0x50
	s_mov_b32 s2, 0
	s_waitcnt lgkmcnt(0)
	s_mul_hi_i32 s3, s15, s6
	s_cmp_lg_u64 s[2:3], 0
	s_mul_i32 s2, s15, s6
	s_cbranch_scc0 .LBB32_21
; %bb.1:
	v_cvt_f32_u32_e32 v1, s9
	v_cvt_f32_ubyte0_e32 v2, 0
	s_sub_u32 s10, 0, s9
	s_subb_u32 s11, 0, 0
	v_madmk_f32 v1, v2, 0x4f800000, v1
	v_rcp_f32_e32 v1, v1
	v_mul_f32_e32 v1, 0x5f7ffffc, v1
	v_mul_f32_e32 v2, 0x2f800000, v1
	v_trunc_f32_e32 v2, v2
	v_madmk_f32 v1, v2, 0xcf800000, v1
	v_cvt_u32_f32_e32 v2, v2
	v_cvt_u32_f32_e32 v1, v1
	v_readfirstlane_b32 s16, v2
	v_readfirstlane_b32 s17, v1
	s_mul_i32 s18, s10, s16
	s_mul_hi_u32 s20, s10, s17
	s_mul_i32 s19, s11, s17
	s_add_i32 s18, s20, s18
	s_add_i32 s18, s18, s19
	s_mul_i32 s21, s10, s17
	s_mul_hi_u32 s19, s17, s18
	s_mul_i32 s20, s17, s18
	s_mul_hi_u32 s17, s17, s21
	s_add_u32 s17, s17, s20
	s_addc_u32 s19, 0, s19
	s_mul_hi_u32 s22, s16, s21
	s_mul_i32 s21, s16, s21
	s_add_u32 s17, s17, s21
	s_mul_hi_u32 s20, s16, s18
	s_addc_u32 s17, s19, s22
	s_addc_u32 s19, s20, 0
	s_mul_i32 s18, s16, s18
	s_add_u32 s17, s17, s18
	s_addc_u32 s18, 0, s19
	v_add_co_u32_e32 v1, vcc, s17, v1
	s_cmp_lg_u64 vcc, 0
	s_addc_u32 s16, s16, s18
	v_readfirstlane_b32 s18, v1
	s_mul_i32 s17, s10, s16
	s_mul_hi_u32 s19, s10, s18
	s_add_i32 s17, s19, s17
	s_mul_i32 s11, s11, s18
	s_add_i32 s17, s17, s11
	s_mul_i32 s10, s10, s18
	s_mul_hi_u32 s19, s16, s10
	s_mul_i32 s20, s16, s10
	s_mul_i32 s22, s18, s17
	s_mul_hi_u32 s10, s18, s10
	s_mul_hi_u32 s21, s18, s17
	s_add_u32 s10, s10, s22
	s_addc_u32 s18, 0, s21
	s_add_u32 s10, s10, s20
	s_mul_hi_u32 s11, s16, s17
	s_addc_u32 s10, s18, s19
	s_addc_u32 s11, s11, 0
	s_mul_i32 s17, s16, s17
	s_add_u32 s10, s10, s17
	s_addc_u32 s11, 0, s11
	v_add_co_u32_e32 v1, vcc, s10, v1
	s_cmp_lg_u64 vcc, 0
	s_addc_u32 s18, s16, s11
	s_ashr_i32 s10, s3, 31
	s_add_u32 s16, s2, s10
	s_mov_b32 s11, s10
	s_addc_u32 s17, s3, s10
	s_xor_b64 s[16:17], s[16:17], s[10:11]
	v_readfirstlane_b32 s20, v1
	s_mul_i32 s19, s16, s18
	s_mul_hi_u32 s21, s16, s20
	s_mul_hi_u32 s3, s16, s18
	s_add_u32 s19, s21, s19
	s_addc_u32 s3, 0, s3
	s_mul_hi_u32 s22, s17, s20
	s_mul_i32 s20, s17, s20
	s_add_u32 s19, s19, s20
	s_mul_hi_u32 s21, s17, s18
	s_addc_u32 s3, s3, s22
	s_addc_u32 s19, s21, 0
	s_mul_i32 s18, s17, s18
	s_add_u32 s3, s3, s18
	s_addc_u32 s18, 0, s19
	s_add_u32 s19, s3, 1
	s_addc_u32 s20, s18, 0
	s_add_u32 s21, s3, 2
	s_mul_i32 s23, s9, s18
	s_mul_hi_u32 s24, s9, s3
	s_addc_u32 s22, s18, 0
	s_add_i32 s24, s24, s23
	s_mul_i32 s23, s9, s3
	v_mov_b32_e32 v1, s23
	v_sub_co_u32_e32 v1, vcc, s16, v1
	s_cmp_lg_u64 vcc, 0
	s_subb_u32 s16, s17, s24
	v_subrev_co_u32_e32 v2, vcc, s9, v1
	s_cmp_lg_u64 vcc, 0
	s_subb_u32 s17, s16, 0
	v_readfirstlane_b32 s23, v2
	s_cmp_ge_u32 s23, s9
	s_cselect_b32 s23, -1, 0
	s_cmp_eq_u32 s17, 0
	s_cselect_b32 s17, s23, -1
	s_cmp_lg_u32 s17, 0
	s_cselect_b32 s17, s22, s20
	v_readfirstlane_b32 s20, v1
	s_cselect_b32 s19, s21, s19
	s_cmp_ge_u32 s20, s9
	s_cselect_b32 s20, -1, 0
	s_cmp_eq_u32 s16, 0
	s_cselect_b32 s16, s20, -1
	s_cmp_lg_u32 s16, 0
	s_cselect_b32 s17, s17, s18
	s_cselect_b32 s16, s19, s3
	s_xor_b64 s[16:17], s[16:17], s[10:11]
	s_sub_u32 s20, s16, s10
	s_load_dwordx4 s[16:19], s[4:5], 0x44
	s_cbranch_execnz .LBB32_3
.LBB32_2:
	v_cvt_f32_u32_e32 v1, s9
	s_sub_i32 s0, 0, s9
	v_rcp_iflag_f32_e32 v1, v1
	v_mul_f32_e32 v1, 0x4f7ffffe, v1
	v_cvt_u32_f32_e32 v1, v1
	v_readfirstlane_b32 s1, v1
	s_mul_i32 s0, s0, s1
	s_mul_hi_u32 s0, s1, s0
	s_add_i32 s1, s1, s0
	s_mul_hi_u32 s0, s2, s1
	s_mul_i32 s3, s0, s9
	s_sub_i32 s2, s2, s3
	s_add_i32 s1, s0, 1
	s_sub_i32 s3, s2, s9
	s_cmp_ge_u32 s2, s9
	s_cselect_b32 s0, s1, s0
	s_cselect_b32 s2, s3, s2
	s_add_i32 s1, s0, 1
	s_cmp_ge_u32 s2, s9
	s_cselect_b32 s20, s1, s0
.LBB32_3:
	s_add_i32 s0, s6, 1
	s_mul_hi_i32 s3, s15, s0
	s_mov_b32 s2, 0
	s_cmp_lg_u64 s[2:3], 0
	s_mul_i32 s2, s15, s0
	s_cbranch_scc0 .LBB32_22
; %bb.4:
	v_cvt_f32_u32_e32 v1, s9
	v_cvt_f32_ubyte0_e32 v2, 0
	s_sub_u32 s10, 0, s9
	s_subb_u32 s11, 0, 0
	v_madmk_f32 v1, v2, 0x4f800000, v1
	v_rcp_f32_e32 v1, v1
	v_mul_f32_e32 v1, 0x5f7ffffc, v1
	v_mul_f32_e32 v2, 0x2f800000, v1
	v_trunc_f32_e32 v2, v2
	v_madmk_f32 v1, v2, 0xcf800000, v1
	v_cvt_u32_f32_e32 v2, v2
	v_cvt_u32_f32_e32 v1, v1
	s_waitcnt lgkmcnt(0)
	v_readfirstlane_b32 s19, v2
	v_readfirstlane_b32 s21, v1
	s_mul_i32 s22, s10, s19
	s_mul_hi_u32 s24, s10, s21
	s_mul_i32 s23, s11, s21
	s_add_i32 s22, s24, s22
	s_add_i32 s22, s22, s23
	s_mul_i32 s25, s10, s21
	s_mul_hi_u32 s23, s21, s22
	s_mul_i32 s24, s21, s22
	s_mul_hi_u32 s21, s21, s25
	s_add_u32 s21, s21, s24
	s_addc_u32 s23, 0, s23
	s_mul_hi_u32 s26, s19, s25
	s_mul_i32 s25, s19, s25
	s_add_u32 s21, s21, s25
	s_mul_hi_u32 s24, s19, s22
	s_addc_u32 s21, s23, s26
	s_addc_u32 s23, s24, 0
	s_mul_i32 s22, s19, s22
	s_add_u32 s21, s21, s22
	s_addc_u32 s22, 0, s23
	v_add_co_u32_e32 v1, vcc, s21, v1
	s_cmp_lg_u64 vcc, 0
	s_addc_u32 s19, s19, s22
	v_readfirstlane_b32 s22, v1
	s_mul_i32 s21, s10, s19
	s_mul_hi_u32 s23, s10, s22
	s_add_i32 s21, s23, s21
	s_mul_i32 s11, s11, s22
	s_add_i32 s21, s21, s11
	s_mul_i32 s10, s10, s22
	s_mul_hi_u32 s23, s19, s10
	s_mul_i32 s24, s19, s10
	s_mul_i32 s26, s22, s21
	s_mul_hi_u32 s10, s22, s10
	s_mul_hi_u32 s25, s22, s21
	s_add_u32 s10, s10, s26
	s_addc_u32 s22, 0, s25
	s_add_u32 s10, s10, s24
	s_mul_hi_u32 s11, s19, s21
	s_addc_u32 s10, s22, s23
	s_addc_u32 s11, s11, 0
	s_mul_i32 s21, s19, s21
	s_add_u32 s10, s10, s21
	s_addc_u32 s11, 0, s11
	v_add_co_u32_e32 v1, vcc, s10, v1
	s_cmp_lg_u64 vcc, 0
	s_addc_u32 s19, s19, s11
	s_ashr_i32 s10, s3, 31
	s_add_u32 s22, s2, s10
	s_mov_b32 s11, s10
	s_addc_u32 s23, s3, s10
	s_xor_b64 s[22:23], s[22:23], s[10:11]
	v_readfirstlane_b32 s21, v1
	s_mul_i32 s11, s22, s19
	s_mul_hi_u32 s24, s22, s21
	s_mul_hi_u32 s3, s22, s19
	s_add_u32 s11, s24, s11
	s_addc_u32 s3, 0, s3
	s_mul_hi_u32 s25, s23, s21
	s_mul_i32 s21, s23, s21
	s_add_u32 s11, s11, s21
	s_mul_hi_u32 s24, s23, s19
	s_addc_u32 s3, s3, s25
	s_addc_u32 s11, s24, 0
	s_mul_i32 s19, s23, s19
	s_add_u32 s3, s3, s19
	s_addc_u32 s11, 0, s11
	s_mul_i32 s11, s9, s11
	s_mul_hi_u32 s24, s9, s3
	s_add_i32 s24, s24, s11
	s_mul_i32 s11, s9, s3
	v_mov_b32_e32 v1, s11
	s_add_u32 s19, s3, 1
	s_add_u32 s21, s3, 2
	v_sub_co_u32_e32 v1, vcc, s22, v1
	s_cmp_lg_u64 vcc, 0
	s_subb_u32 s11, s23, s24
	v_subrev_co_u32_e32 v2, vcc, s9, v1
	s_cmp_lg_u64 vcc, 0
	s_subb_u32 s22, s11, 0
	v_cmp_le_u32_e32 vcc, s9, v2
	s_cmp_eq_u32 s22, 0
	v_cndmask_b32_e64 v2, 0, -1, vcc
	s_cselect_b64 vcc, -1, 0
	v_cndmask_b32_e32 v2, -1, v2, vcc
	v_mov_b32_e32 v3, s19
	v_mov_b32_e32 v4, s21
	v_cmp_ne_u32_e32 vcc, 0, v2
	v_cndmask_b32_e32 v2, v3, v4, vcc
	v_cmp_le_u32_e32 vcc, s9, v1
	s_cmp_eq_u32 s11, 0
	v_cndmask_b32_e64 v1, 0, -1, vcc
	s_cselect_b64 vcc, -1, 0
	v_cndmask_b32_e32 v1, -1, v1, vcc
	v_mov_b32_e32 v3, s3
	v_cmp_ne_u32_e32 vcc, 0, v1
	v_cndmask_b32_e32 v1, v3, v2, vcc
	v_xor_b32_e32 v1, s10, v1
	v_subrev_co_u32_e32 v2, vcc, s10, v1
	s_cbranch_execnz .LBB32_6
.LBB32_5:
	v_cvt_f32_u32_e32 v1, s9
	s_sub_i32 s0, 0, s9
	s_mov_b32 s1, 0
	v_rcp_iflag_f32_e32 v1, v1
	v_mul_f32_e32 v1, 0x4f7ffffe, v1
	v_cvt_u32_f32_e32 v1, v1
	v_readfirstlane_b32 s3, v1
	s_mul_i32 s0, s0, s3
	s_mul_hi_u32 s0, s3, s0
	s_add_i32 s3, s3, s0
	s_mul_hi_u32 s0, s2, s3
	s_mul_i32 s10, s0, s9
	s_sub_i32 s2, s2, s10
	s_add_i32 s3, s0, 1
	s_sub_i32 s10, s2, s9
	s_cmp_ge_u32 s2, s9
	s_cselect_b32 s0, s3, s0
	s_cselect_b32 s2, s10, s2
	s_add_i32 s3, s0, 1
	s_cmp_ge_u32 s2, s9
	s_cselect_b32 s0, s3, s0
	v_pk_mov_b32 v[2:3], s[0:1], s[0:1] op_sel:[0,1]
.LBB32_6:
	s_waitcnt lgkmcnt(0)
	s_mul_hi_u32 s0, s20, s16
	s_add_i32 s0, s0, s20
	v_mul_hi_u32 v1, v2, s16
	s_lshr_b32 s19, s0, s17
	v_add_u32_e32 v1, v1, v2
	s_mul_i32 s0, s19, s18
	v_lshrrev_b32_e32 v1, s17, v1
	s_cmp_eq_u32 s0, s20
	v_cmp_eq_u32_e64 s[0:1], s19, v1
	v_mul_lo_u32 v1, v1, s18
	v_cmp_eq_u32_e32 vcc, s20, v2
	s_cselect_b64 s[10:11], -1, 0
	v_cmp_ne_u32_e64 s[2:3], v1, v2
	s_and_b64 s[0:1], s[0:1], s[2:3]
	s_or_b64 s[2:3], vcc, s[10:11]
	s_or_b64 s[0:1], s[2:3], s[0:1]
	s_and_b64 vcc, exec, s[0:1]
	s_cbranch_vccnz .LBB32_24
; %bb.7:
	s_load_dwordx8 s[24:31], s[4:5], 0x20
	s_load_dword s0, s[4:5], 0x40
	s_mov_b32 s10, 0
	s_waitcnt lgkmcnt(0)
	s_mul_hi_u32 s1, s20, s24
	s_add_i32 s1, s1, s20
	s_lshr_b32 s11, s1, s25
	s_mul_i32 s1, s11, s26
	s_sub_i32 s1, s20, s1
	s_mul_hi_u32 s2, s1, s27
	s_add_i32 s2, s1, s2
	s_lshr_b32 s24, s2, s28
	s_mul_i32 s2, s24, s29
	s_sub_i32 s1, s1, s2
	;; [unrolled: 5-line block ×3, first 2 shown]
	s_mul_hi_u32 s1, s0, s16
	s_add_i32 s0, s0, s1
	s_lshr_b32 s26, s0, s17
	s_lshl_b32 s0, s26, 3
	s_lshl_b32 s25, s2, 1
	s_add_i32 s0, s0, s7
	s_cmp_lt_i32 s0, s12
	s_cselect_b64 s[0:1], -1, 0
	s_add_i32 s2, s25, s8
	s_cmp_lt_i32 s2, s14
	s_cselect_b64 s[2:3], -1, 0
	s_and_b64 s[0:1], s[0:1], s[2:3]
	s_andn2_b64 vcc, exec, s[0:1]
	s_cbranch_vccnz .LBB32_24
; %bb.8:
	s_load_dwordx4 s[0:3], s[4:5], 0x0
	s_lshl_b32 s21, s7, 1
	s_lshl_b32 s4, s9, 6
	s_mov_b32 s5, s10
	s_add_i32 s21, s21, s8
	s_lshl_b64 s[4:5], s[4:5], 2
	s_waitcnt lgkmcnt(0)
	s_add_u32 s22, s2, s4
	s_mul_i32 s4, s11, s12
	s_addc_u32 s23, s3, s5
	s_add_i32 s4, s4, s7
	s_mul_i32 s4, s4, s13
	s_mul_i32 s24, s24, s14
	s_add_i32 s4, s4, s8
	s_add_i32 s4, s4, s24
	s_mul_i32 s5, s13, s26
	s_add_i32 s4, s4, s25
	s_lshl_b32 s5, s5, 11
	s_lshl_b32 s4, s4, 8
	s_add_i32 s5, s5, s4
	v_or_b32_e32 v2, s5, v0
	v_ashrrev_i32_e32 v3, 31, v2
	v_lshlrev_b64 v[2:3], 2, v[2:3]
	v_mov_b32_e32 v1, s1
	v_add_co_u32_e32 v2, vcc, s0, v2
	v_addc_co_u32_e32 v3, vcc, v1, v3, vcc
	global_load_dword v5, v[2:3], off
	v_lshl_or_b32 v4, s21, 8, v0
	v_cvt_f32_u32_e32 v0, s9
	v_cvt_f32_ubyte0_e32 v1, 0
	s_lshl_b32 s0, s6, 4
	s_add_i32 s0, s21, s0
	v_mac_f32_e32 v0, 0x4f800000, v1
	v_rcp_f32_e32 v0, v0
	v_cvt_f32_u32_e32 v1, s9
	s_ashr_i32 s1, s0, 31
	s_lshl_b64 s[0:1], s[0:1], 3
	v_mul_f32_e32 v0, 0x5f7ffffc, v0
	v_rcp_iflag_f32_e32 v1, v1
	s_add_u32 s0, s2, s0
	v_mul_f32_e32 v9, 0x2f800000, v0
	s_addc_u32 s1, s3, s1
	v_trunc_f32_e32 v10, v9
	s_load_dwordx2 s[0:1], s[0:1], 0x0
	v_mac_f32_e32 v0, 0xcf800000, v10
	v_cvt_u32_f32_e32 v9, v0
	v_mul_f32_e32 v0, 0x4f7ffffe, v1
	v_cvt_u32_f32_e32 v10, v10
	v_cvt_u32_f32_e32 v11, v0
	s_add_i32 s8, s6, -1
	s_waitcnt lgkmcnt(0)
	v_mov_b32_e32 v6, s1
	v_mov_b32_e32 v7, s0
	;; [unrolled: 1-line block ×3, first 2 shown]
	s_mov_b32 s6, 0x3fb8aa3b
	s_mov_b32 s7, 0xc2ce8ed0
	;; [unrolled: 1-line block ×4, first 2 shown]
	v_mov_b32_e32 v12, 0x7f800000
	s_mul_hi_i32 s11, s8, s15
	s_cmp_lg_u64 s[10:11], 0
	s_mul_i32 s4, s8, s15
	s_cbranch_scc0 .LBB32_15
.LBB32_9:
	s_sub_u32 s0, 0, s9
	v_readfirstlane_b32 s5, v9
	v_readfirstlane_b32 s24, v10
	s_subb_u32 s1, 0, 0
	s_mul_hi_u32 s20, s0, s5
	s_mul_i32 s25, s0, s24
	s_mul_i32 s14, s1, s5
	s_add_i32 s20, s20, s25
	s_add_i32 s20, s20, s14
	s_mul_i32 s26, s0, s5
	s_mul_hi_u32 s14, s5, s20
	s_mul_i32 s25, s5, s20
	s_mul_hi_u32 s5, s5, s26
	s_add_u32 s5, s5, s25
	s_addc_u32 s14, 0, s14
	s_mul_hi_u32 s27, s24, s26
	s_mul_i32 s26, s24, s26
	s_add_u32 s5, s5, s26
	s_mul_hi_u32 s25, s24, s20
	s_addc_u32 s5, s14, s27
	s_addc_u32 s14, s25, 0
	s_mul_i32 s20, s24, s20
	s_add_u32 s5, s5, s20
	s_addc_u32 s14, 0, s14
	v_add_co_u32_e32 v0, vcc, s5, v9
	s_cmp_lg_u64 vcc, 0
	s_addc_u32 s5, s24, s14
	v_readfirstlane_b32 s20, v0
	s_mul_i32 s14, s0, s5
	s_mul_hi_u32 s24, s0, s20
	s_add_i32 s14, s24, s14
	s_mul_i32 s1, s1, s20
	s_add_i32 s14, s14, s1
	s_mul_i32 s0, s0, s20
	s_mul_hi_u32 s24, s5, s0
	s_mul_i32 s25, s5, s0
	s_mul_i32 s27, s20, s14
	s_mul_hi_u32 s0, s20, s0
	s_mul_hi_u32 s26, s20, s14
	s_add_u32 s0, s0, s27
	s_addc_u32 s20, 0, s26
	s_add_u32 s0, s0, s25
	s_mul_hi_u32 s1, s5, s14
	s_addc_u32 s0, s20, s24
	s_addc_u32 s1, s1, 0
	s_mul_i32 s14, s5, s14
	s_add_u32 s0, s0, s14
	s_addc_u32 s1, 0, s1
	v_add_co_u32_e32 v0, vcc, s0, v0
	s_cmp_lg_u64 vcc, 0
	s_addc_u32 s5, s5, s1
	s_ashr_i32 s0, s11, 31
	s_add_u32 s24, s4, s0
	s_mov_b32 s1, s0
	s_addc_u32 s25, s11, s0
	s_xor_b64 s[24:25], s[24:25], s[0:1]
	v_readfirstlane_b32 s14, v0
	s_mul_i32 s11, s24, s5
	s_mul_hi_u32 s20, s24, s14
	s_mul_hi_u32 s1, s24, s5
	s_add_u32 s11, s20, s11
	s_addc_u32 s1, 0, s1
	s_mul_hi_u32 s26, s25, s14
	s_mul_i32 s14, s25, s14
	s_add_u32 s11, s11, s14
	s_mul_hi_u32 s20, s25, s5
	s_addc_u32 s1, s1, s26
	s_addc_u32 s11, s20, 0
	s_mul_i32 s5, s25, s5
	s_add_u32 s1, s1, s5
	s_addc_u32 s5, 0, s11
	s_mul_i32 s5, s9, s5
	s_mul_hi_u32 s20, s9, s1
	s_add_i32 s20, s20, s5
	s_mul_i32 s5, s9, s1
	v_mov_b32_e32 v0, s5
	s_add_u32 s11, s1, 1
	s_add_u32 s14, s1, 2
	v_sub_co_u32_e32 v0, vcc, s24, v0
	s_cmp_lg_u64 vcc, 0
	s_subb_u32 s5, s25, s20
	v_subrev_co_u32_e32 v1, vcc, s9, v0
	s_cmp_lg_u64 vcc, 0
	s_subb_u32 s20, s5, 0
	v_cmp_le_u32_e32 vcc, s9, v1
	s_cmp_eq_u32 s20, 0
	v_cndmask_b32_e64 v1, 0, -1, vcc
	s_cselect_b64 vcc, -1, 0
	v_cndmask_b32_e32 v1, -1, v1, vcc
	v_mov_b32_e32 v13, s11
	v_mov_b32_e32 v14, s14
	v_cmp_ne_u32_e32 vcc, 0, v1
	v_cndmask_b32_e32 v1, v13, v14, vcc
	v_cmp_le_u32_e32 vcc, s9, v0
	s_cmp_eq_u32 s5, 0
	v_cndmask_b32_e64 v0, 0, -1, vcc
	s_cselect_b64 vcc, -1, 0
	v_cndmask_b32_e32 v0, -1, v0, vcc
	v_mov_b32_e32 v13, s1
	v_cmp_ne_u32_e32 vcc, 0, v0
	v_cndmask_b32_e32 v0, v13, v1, vcc
	v_xor_b32_e32 v0, s0, v0
	v_subrev_co_u32_e32 v0, vcc, s0, v0
	s_cbranch_execnz .LBB32_11
.LBB32_10:
	s_sub_i32 s0, 0, s9
	v_mul_lo_u32 v0, s0, v11
	v_mul_hi_u32 v0, v11, v0
	v_add_u32_e32 v0, v11, v0
	v_mul_hi_u32 v0, s4, v0
	v_mul_lo_u32 v13, v0, s9
	v_sub_u32_e32 v13, s4, v13
	v_add_u32_e32 v1, 1, v0
	v_subrev_u32_e32 v14, s9, v13
	v_cmp_le_u32_e32 vcc, s9, v13
	v_cndmask_b32_e32 v13, v13, v14, vcc
	v_cndmask_b32_e32 v0, v0, v1, vcc
	v_add_u32_e32 v1, 1, v0
	v_cmp_le_u32_e32 vcc, s9, v13
	v_cndmask_b32_e32 v0, v0, v1, vcc
.LBB32_11:
	v_cmp_ne_u32_e32 vcc, v8, v0
	s_cbranch_vccz .LBB32_14
; %bb.12:
	s_add_i32 s0, s8, s9
	s_lshl_b32 s0, s0, 4
	v_mul_hi_u32 v1, v0, s16
	s_add_i32 s0, s0, s21
	s_mov_b32 s1, s10
	v_add_u32_e32 v1, v1, v0
	s_lshl_b64 s[0:1], s[0:1], 3
	v_lshrrev_b32_e32 v1, s17, v1
	s_add_u32 s4, s2, s0
	v_mul_lo_u32 v13, v1, s18
	s_addc_u32 s5, s3, s1
	v_cmp_eq_u32_e32 vcc, v13, v0
	v_cmp_gt_u32_e64 s[0:1], s19, v1
	s_or_b64 s[0:1], s[0:1], vcc
	s_and_b64 vcc, exec, s[0:1]
	s_cbranch_vccnz .LBB32_16
; %bb.13:
	s_add_i32 s11, s8, -1
	s_mov_b64 s[0:1], 0
	s_branch .LBB32_17
.LBB32_14:
                                        ; implicit-def: $sgpr0_sgpr1
                                        ; implicit-def: $vgpr14
                                        ; implicit-def: $vgpr1
                                        ; implicit-def: $vgpr13
                                        ; implicit-def: $sgpr11
                                        ; implicit-def: $vgpr0
	s_branch .LBB32_18
.LBB32_15:
                                        ; implicit-def: $vgpr0_vgpr1
	s_branch .LBB32_10
.LBB32_16:
	s_mov_b64 s[0:1], -1
	s_mov_b32 s11, s8
	v_mov_b32_e32 v0, v8
.LBB32_17:
	v_lshl_add_u32 v14, s8, 12, v4
	v_ashrrev_i32_e32 v15, 31, v14
	v_lshlrev_b64 v[14:15], 2, v[14:15]
	v_mov_b32_e32 v1, s23
	v_add_co_u32_e32 v14, vcc, s22, v14
	v_addc_co_u32_e32 v15, vcc, v1, v15, vcc
	global_load_dword v14, v[14:15], off
	s_load_dwordx2 s[4:5], s[4:5], 0x0
	v_max_f32_e32 v1, v7, v7
	s_waitcnt lgkmcnt(0)
	v_max_f32_e64 v13, s4, s4
	v_max_f32_e32 v1, v1, v13
	v_sub_f32_e32 v13, v7, v1
	v_sub_f32_e32 v15, s4, v1
	v_mul_f32_e32 v16, 0x3fb8aa3b, v13
	v_mul_f32_e32 v17, 0x3fb8aa3b, v15
	v_fma_f32 v18, v13, s6, -v16
	v_rndne_f32_e32 v19, v16
	v_fma_f32 v20, v15, s6, -v17
	v_rndne_f32_e32 v21, v17
	v_fmac_f32_e32 v18, 0x32a5705f, v13
	v_sub_f32_e32 v16, v16, v19
	v_fmac_f32_e32 v20, 0x32a5705f, v15
	v_sub_f32_e32 v17, v17, v21
	v_add_f32_e32 v16, v16, v18
	v_cvt_i32_f32_e32 v19, v19
	v_add_f32_e32 v17, v17, v20
	v_exp_f32_e32 v16, v16
	v_cvt_i32_f32_e32 v21, v21
	v_exp_f32_e32 v17, v17
	v_cmp_ngt_f32_e32 vcc, s7, v13
	v_ldexp_f32 v16, v16, v19
	v_cndmask_b32_e32 v16, 0, v16, vcc
	v_ldexp_f32 v17, v17, v21
	v_cmp_ngt_f32_e32 vcc, s7, v15
	v_cndmask_b32_e32 v17, 0, v17, vcc
	v_cmp_nlt_f32_e32 vcc, s12, v13
	v_cndmask_b32_e32 v16, v12, v16, vcc
	v_cmp_nlt_f32_e32 vcc, s12, v15
	v_cndmask_b32_e32 v17, v12, v17, vcc
	v_cmp_le_f32_e32 vcc, s13, v13
	v_cndmask_b32_e32 v16, 0, v16, vcc
	v_cmp_le_f32_e32 vcc, s13, v15
	v_cndmask_b32_e32 v15, 0, v17, vcc
	v_mul_f32_e32 v13, s5, v15
	v_fmac_f32_e32 v13, v6, v16
	s_waitcnt vmcnt(0)
	v_mul_f32_e32 v14, v14, v15
	v_fmac_f32_e32 v14, v5, v16
	s_cbranch_execnz .LBB32_19
.LBB32_18:
	s_add_i32 s11, s8, -1
	s_mov_b64 s[0:1], 0
	v_mov_b32_e32 v0, v8
	v_mov_b32_e32 v13, v6
	;; [unrolled: 1-line block ×3, first 2 shown]
	s_waitcnt vmcnt(0)
	v_mov_b32_e32 v14, v5
.LBB32_19:
	s_andn2_b64 vcc, exec, s[0:1]
	s_cbranch_vccz .LBB32_23
; %bb.20:
	v_mov_b32_e32 v8, v0
	s_mov_b32 s8, s11
	v_mov_b32_e32 v6, v13
	v_mov_b32_e32 v7, v1
	s_waitcnt vmcnt(0)
	v_mov_b32_e32 v5, v14
	s_mul_hi_i32 s11, s8, s15
	s_cmp_lg_u64 s[10:11], 0
	s_mul_i32 s4, s8, s15
	s_cbranch_scc1 .LBB32_9
	s_branch .LBB32_15
.LBB32_21:
                                        ; implicit-def: $sgpr20_sgpr21
	s_load_dwordx4 s[16:19], s[4:5], 0x44
	s_branch .LBB32_2
.LBB32_22:
                                        ; implicit-def: $vgpr2_vgpr3
	s_branch .LBB32_5
.LBB32_23:
	v_div_scale_f32 v0, s[0:1], v13, v13, v14
	v_rcp_f32_e32 v1, v0
	v_div_scale_f32 v4, vcc, v14, v13, v14
	s_waitcnt vmcnt(0)
	v_fma_f32 v5, -v0, v1, 1.0
	v_fmac_f32_e32 v1, v5, v1
	v_mul_f32_e32 v5, v4, v1
	v_fma_f32 v6, -v0, v5, v4
	v_fmac_f32_e32 v5, v6, v1
	v_fma_f32 v0, -v0, v5, v4
	v_div_fmas_f32 v0, v0, v1, v5
	v_div_fixup_f32 v0, v0, v13, v14
	global_store_dword v[2:3], v0, off
.LBB32_24:
	s_endpgm
	.section	.rodata,"a",@progbits
	.p2align	6, 0x0
	.amdhsa_kernel _ZL33flash_attn_stream_k_fixup_generalILi256ELi8ELi2EEvPfPK15HIP_vector_typeIfLj2EEiiiiS1_IjLj3EES5_S5_S5_
		.amdhsa_group_segment_fixed_size 0
		.amdhsa_private_segment_fixed_size 0
		.amdhsa_kernarg_size 336
		.amdhsa_user_sgpr_count 6
		.amdhsa_user_sgpr_private_segment_buffer 1
		.amdhsa_user_sgpr_dispatch_ptr 0
		.amdhsa_user_sgpr_queue_ptr 0
		.amdhsa_user_sgpr_kernarg_segment_ptr 1
		.amdhsa_user_sgpr_dispatch_id 0
		.amdhsa_user_sgpr_flat_scratch_init 0
		.amdhsa_user_sgpr_kernarg_preload_length 0
		.amdhsa_user_sgpr_kernarg_preload_offset 0
		.amdhsa_user_sgpr_private_segment_size 0
		.amdhsa_uses_dynamic_stack 0
		.amdhsa_system_sgpr_private_segment_wavefront_offset 0
		.amdhsa_system_sgpr_workgroup_id_x 1
		.amdhsa_system_sgpr_workgroup_id_y 1
		.amdhsa_system_sgpr_workgroup_id_z 1
		.amdhsa_system_sgpr_workgroup_info 0
		.amdhsa_system_vgpr_workitem_id 0
		.amdhsa_next_free_vgpr 22
		.amdhsa_next_free_sgpr 32
		.amdhsa_accum_offset 24
		.amdhsa_reserve_vcc 1
		.amdhsa_reserve_flat_scratch 0
		.amdhsa_float_round_mode_32 0
		.amdhsa_float_round_mode_16_64 0
		.amdhsa_float_denorm_mode_32 3
		.amdhsa_float_denorm_mode_16_64 3
		.amdhsa_dx10_clamp 1
		.amdhsa_ieee_mode 1
		.amdhsa_fp16_overflow 0
		.amdhsa_tg_split 0
		.amdhsa_exception_fp_ieee_invalid_op 0
		.amdhsa_exception_fp_denorm_src 0
		.amdhsa_exception_fp_ieee_div_zero 0
		.amdhsa_exception_fp_ieee_overflow 0
		.amdhsa_exception_fp_ieee_underflow 0
		.amdhsa_exception_fp_ieee_inexact 0
		.amdhsa_exception_int_div_zero 0
	.end_amdhsa_kernel
	.section	.text._ZL33flash_attn_stream_k_fixup_generalILi256ELi8ELi2EEvPfPK15HIP_vector_typeIfLj2EEiiiiS1_IjLj3EES5_S5_S5_,"axG",@progbits,_ZL33flash_attn_stream_k_fixup_generalILi256ELi8ELi2EEvPfPK15HIP_vector_typeIfLj2EEiiiiS1_IjLj3EES5_S5_S5_,comdat
.Lfunc_end32:
	.size	_ZL33flash_attn_stream_k_fixup_generalILi256ELi8ELi2EEvPfPK15HIP_vector_typeIfLj2EEiiiiS1_IjLj3EES5_S5_S5_, .Lfunc_end32-_ZL33flash_attn_stream_k_fixup_generalILi256ELi8ELi2EEvPfPK15HIP_vector_typeIfLj2EEiiiiS1_IjLj3EES5_S5_S5_
                                        ; -- End function
	.section	.AMDGPU.csdata,"",@progbits
; Kernel info:
; codeLenInByte = 2824
; NumSgprs: 36
; NumVgprs: 22
; NumAgprs: 0
; TotalNumVgprs: 22
; ScratchSize: 0
; MemoryBound: 0
; FloatMode: 240
; IeeeMode: 1
; LDSByteSize: 0 bytes/workgroup (compile time only)
; SGPRBlocks: 4
; VGPRBlocks: 2
; NumSGPRsForWavesPerEU: 36
; NumVGPRsForWavesPerEU: 22
; AccumOffset: 24
; Occupancy: 8
; WaveLimiterHint : 0
; COMPUTE_PGM_RSRC2:SCRATCH_EN: 0
; COMPUTE_PGM_RSRC2:USER_SGPR: 6
; COMPUTE_PGM_RSRC2:TRAP_HANDLER: 0
; COMPUTE_PGM_RSRC2:TGID_X_EN: 1
; COMPUTE_PGM_RSRC2:TGID_Y_EN: 1
; COMPUTE_PGM_RSRC2:TGID_Z_EN: 1
; COMPUTE_PGM_RSRC2:TIDIG_COMP_CNT: 0
; COMPUTE_PGM_RSRC3_GFX90A:ACCUM_OFFSET: 5
; COMPUTE_PGM_RSRC3_GFX90A:TG_SPLIT: 0
	.section	.text._ZL15flash_attn_tileILi256ELi256ELi4ELi2ELb0EEvPKcS1_S1_S1_S1_PKiPfP15HIP_vector_typeIfLj2EEffffjfiS5_IjLj3EEiiiiiiiiiiiliiliiiiil,"axG",@progbits,_ZL15flash_attn_tileILi256ELi256ELi4ELi2ELb0EEvPKcS1_S1_S1_S1_PKiPfP15HIP_vector_typeIfLj2EEffffjfiS5_IjLj3EEiiiiiiiiiiiliiliiiiil,comdat
	.globl	_ZL15flash_attn_tileILi256ELi256ELi4ELi2ELb0EEvPKcS1_S1_S1_S1_PKiPfP15HIP_vector_typeIfLj2EEffffjfiS5_IjLj3EEiiiiiiiiiiiliiliiiiil ; -- Begin function _ZL15flash_attn_tileILi256ELi256ELi4ELi2ELb0EEvPKcS1_S1_S1_S1_PKiPfP15HIP_vector_typeIfLj2EEffffjfiS5_IjLj3EEiiiiiiiiiiiliiliiiiil
	.p2align	8
	.type	_ZL15flash_attn_tileILi256ELi256ELi4ELi2ELb0EEvPKcS1_S1_S1_S1_PKiPfP15HIP_vector_typeIfLj2EEffffjfiS5_IjLj3EEiiiiiiiiiiiliiliiiiil,@function
_ZL15flash_attn_tileILi256ELi256ELi4ELi2ELb0EEvPKcS1_S1_S1_S1_PKiPfP15HIP_vector_typeIfLj2EEffffjfiS5_IjLj3EEiiiiiiiiiiiliiliiiiil: ; @_ZL15flash_attn_tileILi256ELi256ELi4ELi2ELb0EEvPKcS1_S1_S1_S1_PKiPfP15HIP_vector_typeIfLj2EEffffjfiS5_IjLj3EEiiiiiiiiiiiliiliiiiil
; %bb.0:
	s_load_dwordx4 s[24:27], s[4:5], 0x5c
	s_load_dwordx2 s[28:29], s[4:5], 0x80
	s_mov_b64 s[30:31], 0
	s_waitcnt lgkmcnt(0)
	s_lshr_b32 s0, s27, 31
	s_add_i32 s0, s27, s0
	s_ashr_i32 s0, s0, 1
	v_cvt_f32_u32_e32 v1, s0
	s_sub_i32 s1, 0, s0
	v_rcp_iflag_f32_e32 v1, v1
	v_mul_f32_e32 v1, 0x4f7ffffe, v1
	v_cvt_u32_f32_e32 v1, v1
	v_readfirstlane_b32 s2, v1
	s_mul_i32 s1, s1, s2
	s_mul_hi_u32 s1, s2, s1
	s_add_i32 s2, s2, s1
	s_mul_hi_u32 s1, s8, s2
	s_mul_i32 s2, s1, s0
	s_sub_i32 s2, s8, s2
	s_add_i32 s3, s1, 1
	s_sub_i32 s9, s2, s0
	s_cmp_ge_u32 s2, s0
	s_cselect_b32 s1, s3, s1
	s_cselect_b32 s2, s9, s2
	s_add_i32 s3, s1, 1
	s_cmp_ge_u32 s2, s0
	s_cselect_b32 s33, s3, s1
	s_abs_i32 s0, s29
	v_cvt_f32_u32_e32 v1, s0
	s_lshl_b32 s1, s8, 1
	s_mul_i32 s8, s33, s27
	s_xor_b32 s2, s27, s29
	v_rcp_iflag_f32_e32 v1, v1
	s_sub_i32 s9, 0, s0
	s_sub_i32 s29, s1, s8
	s_abs_i32 s3, s27
	v_mul_f32_e32 v1, 0x4f7ffffe, v1
	v_cvt_u32_f32_e32 v1, v1
	s_ashr_i32 s2, s2, 31
	v_readfirstlane_b32 s1, v1
	s_mul_i32 s9, s9, s1
	s_mul_hi_u32 s8, s1, s9
	s_add_i32 s1, s1, s8
	s_mul_hi_u32 s1, s3, s1
	s_mul_i32 s8, s1, s0
	s_sub_i32 s3, s3, s8
	s_add_i32 s9, s1, 1
	s_sub_i32 s8, s3, s0
	s_cmp_ge_u32 s3, s0
	s_cselect_b32 s1, s9, s1
	s_cselect_b32 s3, s8, s3
	s_add_i32 s8, s1, 1
	s_cmp_ge_u32 s3, s0
	s_cselect_b32 s0, s8, s1
	s_xor_b32 s0, s0, s2
	s_sub_i32 s35, s0, s2
	s_abs_i32 s34, s35
	v_cvt_f32_u32_e32 v1, s34
	s_load_dwordx16 s[8:23], s[4:5], 0x0
	s_load_dwordx2 s[0:1], s[4:5], 0xb8
	v_rcp_iflag_f32_e32 v1, v1
	s_waitcnt lgkmcnt(0)
	s_cmp_eq_u64 s[14:15], 0
	v_mul_f32_e32 v1, 0x4f7ffffe, v1
	v_cvt_u32_f32_e32 v1, v1
	v_readfirstlane_b32 s36, v1
	s_cbranch_scc1 .LBB33_2
; %bb.1:
	s_abs_i32 s0, s0
	v_cvt_f32_u32_e32 v1, s0
	s_sub_i32 s37, 0, s0
	s_abs_i32 s31, s33
	s_ashr_i32 s30, s33, 31
	v_rcp_iflag_f32_e32 v1, v1
	s_load_dwordx2 s[2:3], s[4:5], 0xc8
	v_mul_f32_e32 v1, 0x4f7ffffe, v1
	v_cvt_u32_f32_e32 v1, v1
	v_readfirstlane_b32 s38, v1
	s_mul_i32 s37, s37, s38
	s_mul_hi_u32 s37, s38, s37
	s_add_i32 s38, s38, s37
	s_mul_hi_u32 s37, s31, s38
	s_mul_i32 s37, s37, s0
	s_sub_i32 s31, s31, s37
	s_sub_i32 s37, s31, s0
	s_cmp_ge_u32 s31, s0
	s_cselect_b32 s31, s37, s31
	s_sub_i32 s37, s31, s0
	s_cmp_ge_u32 s31, s0
	s_cselect_b32 s0, s37, s31
	s_xor_b32 s0, s0, s30
	s_sub_i32 s0, s0, s30
	s_ashr_i32 s30, s0, 31
	s_waitcnt lgkmcnt(0)
	s_mul_i32 s3, s0, s3
	s_mul_hi_u32 s31, s0, s2
	s_add_i32 s3, s31, s3
	s_mul_i32 s30, s30, s2
	s_add_i32 s3, s3, s30
	s_mul_i32 s0, s0, s2
	s_add_u32 s30, s14, s0
	s_addc_u32 s31, s15, s3
.LBB33_2:
	s_load_dwordx4 s[40:43], s[4:5], 0x70
	v_bfe_u32 v1, v0, 10, 10
	v_lshrrev_b32_e32 v2, 1, v1
	v_lshl_add_u32 v48, s6, 2, v2
	v_mul_hi_u32 v2, s24, v48
	s_waitcnt lgkmcnt(0)
	s_mul_i32 s0, s33, s42
	s_ashr_i32 s3, s0, 31
	s_mul_i32 s2, s29, s41
	s_add_u32 s0, s8, s0
	s_addc_u32 s3, s9, s3
	s_ashr_i32 s8, s2, 31
	s_add_u32 s0, s0, s2
	s_addc_u32 s8, s3, s8
	s_ashr_i32 s2, s41, 31
	v_mov_b32_e32 v3, s41
	v_add_u32_e32 v2, v48, v2
	v_and_b32_e32 v17, 1, v1
	v_alignbit_b32 v3, s2, v3, 2
	v_lshrrev_b32_e32 v2, s25, v2
	v_mul_lo_u32 v4, v3, v17
	v_mul_lo_u32 v2, v2, s26
	s_ashr_i32 s9, s40, 31
	v_mov_b32_e32 v3, s40
	s_lshr_b32 s3, s2, 2
	v_sub_u32_e32 v2, v48, v2
	v_alignbit_b32 v3, s9, v3, 2
	v_mul_lo_u32 v5, s3, v17
	v_mad_u64_u32 v[6:7], s[2:3], v3, v2, 0
	v_mov_b32_e32 v8, v7
	s_lshr_b32 s2, s9, 2
	v_mad_u64_u32 v[8:9], s[2:3], s2, v2, v[8:9]
	v_lshlrev_b64 v[4:5], 2, v[4:5]
	v_mov_b32_e32 v7, v8
	v_and_b32_e32 v16, 0x3ff, v0
	v_mov_b32_e32 v0, s8
	v_add_co_u32_e32 v3, vcc, s0, v4
	v_addc_co_u32_e32 v0, vcc, v0, v5, vcc
	v_lshlrev_b64 v[4:5], 2, v[6:7]
	v_add_co_u32_e32 v3, vcc, v3, v4
	v_addc_co_u32_e32 v0, vcc, v0, v5, vcc
	v_lshlrev_b32_e32 v4, 4, v16
	v_add_co_u32_e32 v12, vcc, v3, v4
	v_addc_co_u32_e32 v13, vcc, 0, v0, vcc
	global_load_dwordx4 v[4:7], v[12:13], off
	global_load_dwordx4 v[8:11], v[12:13], off offset:512
	s_load_dword s0, s[4:5], 0x40
	v_lshlrev_b32_e32 v0, 7, v1
	v_lshlrev_b32_e32 v3, 1, v16
	v_add_lshl_u32 v3, v3, v0, 2
	s_mov_b32 s3, 0
	v_add_u32_e32 v3, 0x4000, v3
	s_cmp_eq_u64 s[18:19], 0
	s_waitcnt vmcnt(1) lgkmcnt(0)
	v_pk_mul_f32 v[4:5], v[4:5], s[0:1] op_sel_hi:[1,0]
	v_pk_mul_f32 v[6:7], v[6:7], s[0:1] op_sel_hi:[1,0]
	s_waitcnt vmcnt(0)
	v_pk_mul_f32 v[8:9], v[8:9], s[0:1] op_sel_hi:[1,0]
	v_pk_mul_f32 v[10:11], v[10:11], s[0:1] op_sel_hi:[1,0]
	v_cvt_f16_f32_e32 v12, v5
	v_cvt_f16_f32_e32 v4, v4
	;; [unrolled: 1-line block ×8, first 2 shown]
	v_pack_b32_f16 v5, v6, v5
	v_pack_b32_f16 v4, v4, v12
	v_pack_b32_f16 v7, v10, v7
	v_pack_b32_f16 v6, v8, v9
	ds_write2_b64 v3, v[4:5], v[6:7] offset0:128 offset1:160
	s_waitcnt lgkmcnt(0)
	s_barrier
	s_cbranch_scc1 .LBB33_4
; %bb.3:
	s_load_dword s0, s[4:5], 0xd0
	s_waitcnt lgkmcnt(0)
	s_mul_i32 s0, s0, s33
	s_add_i32 s2, s0, s6
	s_lshl_b64 s[2:3], s[2:3], 2
	s_add_u32 s2, s18, s2
	s_addc_u32 s3, s19, s3
	s_load_dword s28, s[2:3], 0x0
.LBB33_4:
	s_lshl_b32 s6, s7, 6
	v_lshlrev_b32_e32 v49, 2, v16
	s_waitcnt lgkmcnt(0)
	s_cmp_lt_i32 s6, s28
	v_mbcnt_lo_u32_b32 v3, -1, 0
	s_cbranch_scc1 .LBB33_6
; %bb.5:
	v_mbcnt_hi_u32_b32 v19, -1, v3
	v_and_b32_e32 v4, 0x60, v19
	s_mov_b32 s0, 0
	v_add_u32_e32 v50, 32, v4
	v_xor_b32_e32 v55, 16, v19
	v_xor_b32_e32 v54, 8, v19
	;; [unrolled: 1-line block ×5, first 2 shown]
	s_mov_b64 s[2:3], 0
	s_mov_b32 s8, 0xfeffffff
	s_branch .LBB33_7
.LBB33_6:
	s_mov_b64 s[2:3], -1
                                        ; implicit-def: $sgpr8
                                        ; implicit-def: $sgpr0
                                        ; implicit-def: $vgpr19
                                        ; implicit-def: $vgpr50
                                        ; implicit-def: $vgpr55
                                        ; implicit-def: $vgpr54
                                        ; implicit-def: $vgpr53
                                        ; implicit-def: $vgpr52
                                        ; implicit-def: $vgpr51
.LBB33_7:
	s_andn2_b64 vcc, exec, s[2:3]
	v_mov_b32_e32 v36, s8
	v_mov_b32_e32 v37, s0
	v_mov_b32_e32 v82, s0
	v_mov_b32_e32 v81, s0
	v_mov_b32_e32 v83, s0
	v_mov_b32_e32 v80, s0
	s_cbranch_vccnz .LBB33_10
; %bb.8:
	s_sub_i32 s0, 0, s34
	s_mul_i32 s0, s0, s36
	s_mul_hi_u32 s0, s36, s0
	s_add_i32 s0, s36, s0
	s_load_dwordx2 s[2:3], s[4:5], 0x8c
	s_load_dwordx4 s[36:39], s[4:5], 0x98
	s_ashr_i32 s24, s35, 31
	s_abs_i32 s18, s29
	s_ashr_i32 s19, s29, 31
	s_waitcnt lgkmcnt(0)
	s_ashr_i32 s15, s2, 2
	s_ashr_i32 s2, s33, 31
	s_mul_i32 s25, s33, s37
	s_mul_hi_u32 s35, s33, s36
	s_add_i32 s25, s35, s25
	s_mul_i32 s35, s2, s36
	s_ashr_i32 s14, s38, 2
	s_ashr_i32 s1, s1, 1
	s_add_i32 s25, s25, s35
	s_mul_i32 s35, s33, s36
	s_mul_hi_u32 s0, s18, s0
	s_add_u32 s10, s10, s35
	s_addc_u32 s11, s11, s25
	s_xor_b32 s19, s19, s24
	s_mul_i32 s24, s0, s34
	s_sub_i32 s18, s18, s24
	s_add_i32 s24, s0, 1
	s_sub_i32 s25, s18, s34
	s_cmp_ge_u32 s18, s34
	s_cselect_b32 s0, s24, s0
	s_cselect_b32 s18, s25, s18
	s_add_i32 s24, s0, 1
	s_cmp_ge_u32 s18, s34
	s_load_dwordx2 s[8:9], s[4:5], 0xa8
	s_cselect_b32 s0, s24, s0
	s_xor_b32 s0, s0, s19
	s_sub_i32 s0, s0, s19
	s_mul_i32 s3, s0, s3
	s_ashr_i32 s19, s3, 31
	s_add_u32 s18, s10, s3
	s_waitcnt lgkmcnt(0)
	s_mul_i32 s3, s33, s9
	s_mul_hi_u32 s9, s33, s8
	s_addc_u32 s19, s11, s19
	s_add_i32 s3, s9, s3
	s_mul_i32 s2, s2, s8
	s_add_i32 s3, s3, s2
	s_mul_i32 s2, s33, s8
	s_add_u32 s2, s12, s2
	s_mul_i32 s0, s0, s39
	v_lshrrev_b32_e32 v4, 4, v16
	s_addc_u32 s3, s13, s3
	s_ashr_i32 s8, s0, 31
	v_lshl_add_u32 v5, v1, 1, v4
	v_and_b32_e32 v4, 60, v49
	s_add_u32 s12, s2, s0
	v_lshlrev_b32_e32 v6, 2, v4
	s_movk_i32 s0, 0x110
	s_addc_u32 s13, s3, s8
	v_mad_u32_u24 v56, v5, s0, v6
	v_mul_lo_u32 v6, s15, v5
	s_lshl_b32 s0, s15, 4
	v_add_u32_e32 v8, s0, v6
	v_add_u32_e32 v10, s0, v8
	v_add_u32_e32 v12, s0, v10
	v_mad_u64_u32 v[18:19], s[0:1], v2, s1, v[16:17]
	v_add_u32_e32 v62, 0x5400, v0
	v_mul_lo_u32 v0, s14, v1
	s_lshl_b32 s0, s14, 3
	v_add_u32_e32 v14, s0, v0
	v_add_u32_e32 v32, s0, v14
	v_lshlrev_b32_e32 v5, 9, v1
	v_add_u32_e32 v34, s0, v32
	v_mbcnt_hi_u32_b32 v19, -1, v3
	v_ashrrev_i32_e32 v7, 31, v6
	v_ashrrev_i32_e32 v9, 31, v8
	;; [unrolled: 1-line block ×4, first 2 shown]
	v_lshl_add_u32 v64, v49, 2, v5
	v_ashrrev_i32_e32 v1, 31, v0
	v_ashrrev_i32_e32 v15, 31, v14
	;; [unrolled: 1-line block ×4, first 2 shown]
	v_lshlrev_b32_e32 v68, 3, v16
	s_add_u32 s10, s4, 0xd0
	v_and_b32_e32 v2, 0x60, v19
	v_mov_b32_e32 v80, 0
	v_add_u32_e32 v57, 0x1100, v56
	v_add_u32_e32 v58, 0x2200, v56
	;; [unrolled: 1-line block ×4, first 2 shown]
	v_mul_u32_u24_e32 v61, 0x110, v16
	v_lshl_add_u32 v63, v16, 1, v62
	v_add_u32_e32 v65, 0x1000, v64
	v_add_u32_e32 v66, 0x2000, v64
	;; [unrolled: 1-line block ×3, first 2 shown]
	s_addc_u32 s11, s5, 0
	v_mov_b32_e32 v36, 0xfeffffff
	v_lshlrev_b64 v[20:21], 2, v[6:7]
	v_lshlrev_b32_e32 v69, 2, v4
	v_lshlrev_b64 v[22:23], 2, v[8:9]
	v_lshlrev_b64 v[24:25], 2, v[10:11]
	;; [unrolled: 1-line block ×3, first 2 shown]
	v_mov_b32_e32 v70, s31
	v_add_u32_e32 v50, 32, v2
	v_xor_b32_e32 v55, 16, v19
	v_xor_b32_e32 v54, 8, v19
	;; [unrolled: 1-line block ×5, first 2 shown]
	s_mov_b32 s24, 0x3fb8aa3b
	s_mov_b32 s25, 0xc2ce8ed0
	;; [unrolled: 1-line block ×3, first 2 shown]
	v_mov_b32_e32 v71, 0x7f800000
	v_lshlrev_b64 v[28:29], 2, v[0:1]
	v_lshlrev_b32_e32 v72, 2, v49
	v_lshlrev_b64 v[30:31], 2, v[14:15]
	v_lshlrev_b64 v[32:33], 2, v[32:33]
	;; [unrolled: 1-line block ×3, first 2 shown]
	v_add_u32_e32 v73, 0x800, v68
	v_add_u32_e32 v74, 0x1000, v68
	;; [unrolled: 1-line block ×7, first 2 shown]
	v_mov_b32_e32 v83, 0
	v_mov_b32_e32 v81, 0
	;; [unrolled: 1-line block ×4, first 2 shown]
.LBB33_9:                               ; =>This Inner Loop Header: Depth=1
	v_cmp_lt_i32_e32 vcc, v55, v50
	v_cndmask_b32_e32 v4, v19, v55, vcc
	v_cmp_lt_i32_e32 vcc, v54, v50
	v_add_u32_e32 v2, s6, v18
	v_cndmask_b32_e32 v5, v19, v54, vcc
	v_cmp_lt_i32_e32 vcc, v53, v50
	s_mul_hi_i32 s1, s6, s15
	s_mul_i32 s0, s6, s15
	v_cndmask_b32_e32 v6, v19, v53, vcc
	v_cmp_lt_i32_e32 vcc, v52, v50
	v_ashrrev_i32_e32 v3, 31, v2
	v_cndmask_b32_e32 v7, v19, v52, vcc
	v_cmp_lt_i32_e32 vcc, v51, v50
	s_lshl_b64 s[0:1], s[0:1], 2
	v_lshlrev_b64 v[2:3], 1, v[2:3]
	v_cndmask_b32_e32 v8, v19, v51, vcc
	s_add_u32 s8, s18, s0
	v_add_co_u32_e32 v2, vcc, s30, v2
	s_mul_hi_i32 s3, s6, s14
	s_mul_i32 s2, s6, s14
	s_addc_u32 s9, s19, s1
	v_addc_co_u32_e32 v3, vcc, v70, v3, vcc
	v_lshlrev_b32_e32 v90, 2, v4
	v_lshlrev_b32_e32 v89, 2, v5
	;; [unrolled: 1-line block ×5, first 2 shown]
	s_lshl_b64 s[34:35], s[2:3], 2
	v_mov_b32_e32 v4, s9
	v_mov_b32_e32 v5, s9
	v_add_co_u32_e32 v6, vcc, s8, v22
	v_mov_b32_e32 v7, s9
	v_add_co_u32_e64 v8, s[0:1], s8, v24
	v_mov_b32_e32 v9, s9
	v_add_co_u32_e64 v10, s[2:3], s8, v26
	v_add_co_u32_e64 v11, s[8:9], s8, v20
	v_addc_co_u32_e64 v12, s[8:9], v4, v21, s[8:9]
	v_addc_co_u32_e32 v5, vcc, v5, v23, vcc
	v_addc_co_u32_e64 v13, s[0:1], v7, v25, s[0:1]
	v_addc_co_u32_e64 v9, s[2:3], v9, v27, s[2:3]
	v_add_co_u32_e64 v46, s[8:9], v11, v69
	v_add_co_u32_e32 v6, vcc, v6, v69
	v_add_co_u32_e64 v4, s[0:1], v8, v69
	v_add_co_u32_e64 v8, s[2:3], v10, v69
	v_addc_co_u32_e64 v47, s[8:9], 0, v12, s[8:9]
	v_addc_co_u32_e32 v7, vcc, 0, v5, vcc
	v_addc_co_u32_e64 v5, vcc, 0, v13, s[0:1]
	v_addc_co_u32_e64 v9, vcc, 0, v9, s[2:3]
	global_load_dwordx4 v[92:95], v[46:47], off
	global_load_dwordx4 v[96:99], v[6:7], off
	;; [unrolled: 1-line block ×4, first 2 shown]
	v_mov_b32_e32 v0, 0
	v_mov_b32_e32 v1, 0
	s_add_u32 s34, s12, s34
	s_addc_u32 s35, s13, s35
	v_mov_b32_e32 v10, s35
	v_add_co_u32_e32 v11, vcc, s34, v28
	v_mov_b32_e32 v12, s35
	v_add_co_u32_e64 v13, s[0:1], s34, v30
	v_mov_b32_e32 v85, v37
	v_mov_b32_e32 v14, s35
	v_add_co_u32_e64 v15, s[2:3], s34, v32
	v_mov_b32_e32 v37, s35
	v_add_co_u32_e64 v38, s[8:9], s34, v34
	v_addc_co_u32_e32 v10, vcc, v10, v29, vcc
	v_addc_co_u32_e64 v12, vcc, v12, v31, s[0:1]
	v_mov_b32_e32 v84, v36
	v_add_co_u32_e32 v36, vcc, v13, v72
	s_waitcnt vmcnt(3)
	ds_write_b128 v56, v[92:95]
	s_waitcnt vmcnt(2)
	ds_write_b128 v57, v[96:99]
	s_waitcnt vmcnt(1)
	ds_write_b128 v58, v[100:103]
	s_waitcnt vmcnt(0)
	ds_write_b128 v59, v[104:107]
	s_waitcnt lgkmcnt(0)
	s_barrier
	ds_read_b128 v[92:95], v61
	ds_read_b128 v[96:99], v60
	ds_read_b128 v[100:103], v61 offset:8704
	s_waitcnt lgkmcnt(1)
	;;#ASMSTART
	v_dot2_f32_f16 v0, v92, v96, v0
	;;#ASMEND
	;;#ASMSTART
	v_dot2_f32_f16 v0, v93, v97, v0
	;;#ASMEND
	;;#ASMSTART
	v_dot2_f32_f16 v0, v94, v98, v0
	;;#ASMEND
	;;#ASMSTART
	v_dot2_f32_f16 v0, v95, v99, v0
	;;#ASMEND
	s_waitcnt lgkmcnt(0)
	;;#ASMSTART
	v_dot2_f32_f16 v1, v100, v96, v1
	;;#ASMEND
	;;#ASMSTART
	v_dot2_f32_f16 v1, v101, v97, v1
	;;#ASMEND
	;;#ASMSTART
	v_dot2_f32_f16 v1, v102, v98, v1
	;;#ASMEND
	;;#ASMSTART
	v_dot2_f32_f16 v1, v103, v99, v1
	;;#ASMEND
	ds_read_b128 v[92:95], v61 offset:16
	ds_read_b128 v[96:99], v60 offset:16
	ds_read_b128 v[100:103], v61 offset:8720
	s_waitcnt lgkmcnt(1)
	;;#ASMSTART
	v_dot2_f32_f16 v0, v92, v96, v0
	;;#ASMEND
	;;#ASMSTART
	v_dot2_f32_f16 v0, v93, v97, v0
	;;#ASMEND
	;;#ASMSTART
	v_dot2_f32_f16 v0, v94, v98, v0
	;;#ASMEND
	;;#ASMSTART
	v_dot2_f32_f16 v0, v95, v99, v0
	;;#ASMEND
	s_waitcnt lgkmcnt(0)
	;;#ASMSTART
	v_dot2_f32_f16 v1, v100, v96, v1
	;;#ASMEND
	;;#ASMSTART
	v_dot2_f32_f16 v1, v101, v97, v1
	;;#ASMEND
	;;#ASMSTART
	v_dot2_f32_f16 v1, v102, v98, v1
	;;#ASMEND
	;;#ASMSTART
	v_dot2_f32_f16 v1, v103, v99, v1
	;;#ASMEND
	ds_read_b128 v[92:95], v61 offset:32
	ds_read_b128 v[96:99], v60 offset:32
	;; [unrolled: 29-line block ×15, first 2 shown]
	ds_read_b128 v[100:103], v61 offset:8944
	s_waitcnt lgkmcnt(1)
	;;#ASMSTART
	v_dot2_f32_f16 v0, v92, v96, v0
	;;#ASMEND
	;;#ASMSTART
	v_dot2_f32_f16 v0, v93, v97, v0
	;;#ASMEND
	;;#ASMSTART
	v_dot2_f32_f16 v0, v94, v98, v0
	;;#ASMEND
	;;#ASMSTART
	v_dot2_f32_f16 v0, v95, v99, v0
	;;#ASMEND
	s_waitcnt lgkmcnt(0)
	;;#ASMSTART
	v_dot2_f32_f16 v1, v100, v96, v1
	;;#ASMEND
	;;#ASMSTART
	v_dot2_f32_f16 v1, v101, v97, v1
	;;#ASMEND
	;; [unrolled: 3-line block ×4, first 2 shown]
	s_barrier
	global_load_dwordx4 v[92:95], v[46:47], off offset:256
	global_load_dwordx4 v[96:99], v[6:7], off offset:256
	;; [unrolled: 1-line block ×4, first 2 shown]
	s_waitcnt vmcnt(3)
	ds_write_b128 v56, v[92:95]
	s_waitcnt vmcnt(2)
	ds_write_b128 v57, v[96:99]
	;; [unrolled: 2-line block ×4, first 2 shown]
	s_waitcnt lgkmcnt(0)
	s_barrier
	ds_read_b128 v[4:7], v61
	ds_read_b128 v[92:95], v60 offset:256
	ds_read_b128 v[96:99], v61 offset:8704
	s_waitcnt lgkmcnt(1)
	;;#ASMSTART
	v_dot2_f32_f16 v0, v4, v92, v0
	;;#ASMEND
	;;#ASMSTART
	v_dot2_f32_f16 v0, v5, v93, v0
	;;#ASMEND
	;;#ASMSTART
	v_dot2_f32_f16 v0, v6, v94, v0
	;;#ASMEND
	;;#ASMSTART
	v_dot2_f32_f16 v0, v7, v95, v0
	;;#ASMEND
	s_waitcnt lgkmcnt(0)
	;;#ASMSTART
	v_dot2_f32_f16 v1, v96, v92, v1
	;;#ASMEND
	;;#ASMSTART
	v_dot2_f32_f16 v1, v97, v93, v1
	;;#ASMEND
	;;#ASMSTART
	v_dot2_f32_f16 v1, v98, v94, v1
	;;#ASMEND
	;;#ASMSTART
	v_dot2_f32_f16 v1, v99, v95, v1
	;;#ASMEND
	ds_read_b128 v[4:7], v61 offset:16
	ds_read_b128 v[92:95], v60 offset:272
	ds_read_b128 v[96:99], v61 offset:8720
	s_waitcnt lgkmcnt(1)
	;;#ASMSTART
	v_dot2_f32_f16 v0, v4, v92, v0
	;;#ASMEND
	;;#ASMSTART
	v_dot2_f32_f16 v0, v5, v93, v0
	;;#ASMEND
	;;#ASMSTART
	v_dot2_f32_f16 v0, v6, v94, v0
	;;#ASMEND
	;;#ASMSTART
	v_dot2_f32_f16 v0, v7, v95, v0
	;;#ASMEND
	s_waitcnt lgkmcnt(0)
	;;#ASMSTART
	v_dot2_f32_f16 v1, v96, v92, v1
	;;#ASMEND
	;;#ASMSTART
	v_dot2_f32_f16 v1, v97, v93, v1
	;;#ASMEND
	;;#ASMSTART
	v_dot2_f32_f16 v1, v98, v94, v1
	;;#ASMEND
	;;#ASMSTART
	v_dot2_f32_f16 v1, v99, v95, v1
	;;#ASMEND
	ds_read_b128 v[4:7], v61 offset:32
	;; [unrolled: 29-line block ×15, first 2 shown]
	ds_read_b128 v[92:95], v60 offset:496
	ds_read_b128 v[96:99], v61 offset:8944
	s_waitcnt lgkmcnt(1)
	;;#ASMSTART
	v_dot2_f32_f16 v0, v4, v92, v0
	;;#ASMEND
	;;#ASMSTART
	v_dot2_f32_f16 v0, v5, v93, v0
	;;#ASMEND
	;; [unrolled: 3-line block ×4, first 2 shown]
	s_waitcnt lgkmcnt(0)
	;;#ASMSTART
	v_dot2_f32_f16 v1, v96, v92, v1
	;;#ASMEND
	;;#ASMSTART
	v_dot2_f32_f16 v1, v97, v93, v1
	;;#ASMEND
	;;#ASMSTART
	v_dot2_f32_f16 v1, v98, v94, v1
	;;#ASMEND
	;;#ASMSTART
	v_dot2_f32_f16 v1, v99, v95, v1
	;;#ASMEND
	flat_load_ushort v46, v[2:3] offset:64
	flat_load_ushort v47, v[2:3]
	v_addc_co_u32_e64 v13, s[0:1], v14, v33, s[2:3]
	v_addc_co_u32_e64 v14, s[2:3], v37, v35, s[8:9]
	v_add_co_u32_e64 v44, s[8:9], v11, v72
	v_add_co_u32_e64 v42, s[0:1], v15, v72
	;; [unrolled: 1-line block ×3, first 2 shown]
	v_addc_co_u32_e64 v45, s[8:9], 0, v10, s[8:9]
	v_addc_co_u32_e32 v37, vcc, 0, v12, vcc
	v_addc_co_u32_e64 v43, vcc, 0, v13, s[0:1]
	v_addc_co_u32_e64 v41, vcc, 0, v14, s[2:3]
	s_waitcnt lgkmcnt(0)
	s_barrier
	global_load_dwordx4 v[2:5], v[44:45], off
	global_load_dwordx4 v[6:9], v[36:37], off
	;; [unrolled: 1-line block ×4, first 2 shown]
	s_or_b32 s36, s6, 32
	s_mul_hi_i32 s35, s36, s14
	s_mul_i32 s34, s36, s14
	s_lshl_b64 s[34:35], s[34:35], 2
	s_add_u32 s8, s12, s34
	s_addc_u32 s2, s13, s35
	v_mov_b32_e32 v10, s2
	v_mov_b32_e32 v11, s2
	v_add_co_u32_e32 v12, vcc, s8, v30
	v_mov_b32_e32 v13, s2
	v_add_co_u32_e64 v14, s[0:1], s8, v32
	v_mov_b32_e32 v15, s2
	v_add_co_u32_e64 v38, s[2:3], s8, v34
	v_add_co_u32_e64 v39, s[8:9], s8, v28
	v_addc_co_u32_e32 v11, vcc, v11, v31, vcc
	v_addc_co_u32_e64 v13, s[0:1], v13, v33, s[0:1]
	v_addc_co_u32_e64 v108, s[2:3], v15, v35, s[2:3]
	;; [unrolled: 1-line block ×3, first 2 shown]
	v_add_co_u32_e32 v10, vcc, v12, v72
	v_add_co_u32_e64 v14, s[0:1], v14, v72
	v_add_co_u32_e64 v12, s[2:3], v38, v72
	v_addc_co_u32_e32 v11, vcc, 0, v11, vcc
	v_addc_co_u32_e64 v15, vcc, 0, v13, s[0:1]
	v_addc_co_u32_e64 v13, vcc, 0, v108, s[2:3]
	v_add_co_u32_e64 v38, s[8:9], v39, v72
	v_addc_co_u32_e64 v39, s[8:9], 0, v91, s[8:9]
	s_waitcnt vmcnt(0)
	v_cvt_f32_f16_e32 v37, v46
	v_cvt_f32_f16_e32 v36, v47
	v_pk_add_f32 v[0:1], v[0:1], v[36:37]
	v_add_f32_e32 v36, 0x40051340, v0
	v_add_f32_e32 v37, 0x40051340, v1
	v_max3_f32 v36, v84, v36, v37
	ds_bpermute_b32 v37, v90, v36
	s_waitcnt lgkmcnt(0)
	v_max_f32_e32 v37, v37, v37
	v_max_f32_e32 v36, v36, v37
	ds_bpermute_b32 v37, v89, v36
	s_waitcnt lgkmcnt(0)
	v_max_f32_e32 v37, v37, v37
	v_max_f32_e32 v36, v36, v37
	;; [unrolled: 4-line block ×5, first 2 shown]
	v_sub_f32_e32 v37, v84, v36
	v_pk_add_f32 v[0:1], v[0:1], v[36:37] op_sel_hi:[1,0] neg_lo:[0,1] neg_hi:[0,1]
	v_mul_f32_e32 v41, 0x3fb8aa3b, v0
	v_mul_f32_e32 v40, 0x3fb8aa3b, v1
	;; [unrolled: 1-line block ×3, first 2 shown]
	v_fma_f32 v45, v0, s24, -v41
	v_rndne_f32_e32 v46, v41
	v_fma_f32 v43, v1, s24, -v40
	v_rndne_f32_e32 v44, v40
	;; [unrolled: 2-line block ×3, first 2 shown]
	v_fmac_f32_e32 v45, 0x32a5705f, v0
	v_sub_f32_e32 v41, v41, v46
	v_fmac_f32_e32 v43, 0x32a5705f, v1
	v_sub_f32_e32 v40, v40, v44
	;; [unrolled: 2-line block ×3, first 2 shown]
	v_add_f32_e32 v41, v41, v45
	v_cvt_i32_f32_e32 v46, v46
	v_add_f32_e32 v40, v40, v43
	v_add_f32_e32 v42, v42, v47
	v_exp_f32_e32 v41, v41
	v_cvt_i32_f32_e32 v44, v44
	v_cvt_i32_f32_e32 v84, v84
	v_exp_f32_e32 v40, v40
	v_exp_f32_e32 v42, v42
	v_ldexp_f32 v41, v41, v46
	v_cmp_ngt_f32_e32 vcc, s25, v0
	v_ldexp_f32 v40, v40, v44
	v_ldexp_f32 v42, v42, v84
	v_cmp_ngt_f32_e64 s[0:1], s25, v37
	v_cmp_ngt_f32_e64 s[2:3], s25, v1
	v_cndmask_b32_e32 v41, 0, v41, vcc
	v_cmp_nlt_f32_e32 vcc, s31, v0
	v_cndmask_b32_e64 v40, 0, v40, s[2:3]
	v_cndmask_b32_e64 v0, 0, v42, s[0:1]
	v_cmp_nlt_f32_e64 s[0:1], s31, v37
	v_cmp_nlt_f32_e64 s[2:3], s31, v1
	v_cndmask_b32_e32 v37, v71, v41, vcc
	v_cndmask_b32_e64 v1, v71, v40, s[2:3]
	v_cvt_f16_f32_e32 v40, v37
	v_add_f32_e32 v37, v37, v1
	v_cvt_f16_f32_e32 v1, v1
	v_cndmask_b32_e64 v0, v71, v0, s[0:1]
	v_cvt_f16_f32_e32 v220, v0
	v_fmac_f32_e32 v37, v85, v0
	ds_write_b16 v63, v40
	ds_write_b16 v63, v1 offset:64
	ds_write_b128 v64, v[2:5]
	ds_write_b128 v65, v[6:9]
	;; [unrolled: 1-line block ×4, first 2 shown]
	s_waitcnt lgkmcnt(0)
	s_barrier
	ds_read2_b64 v[0:3], v68 offset1:32
	ds_read_b128 v[4:7], v62
	ds_read_b128 v[40:43], v62 offset:16
	ds_read_b128 v[44:47], v62 offset:32
	;; [unrolled: 1-line block ×3, first 2 shown]
	ds_read2_b64 v[88:91], v68 offset0:64 offset1:96
	ds_read2_b64 v[92:95], v68 offset0:128 offset1:160
	ds_read2_b64 v[96:99], v68 offset0:192 offset1:224
	ds_read2_b64 v[100:103], v73 offset1:32
	ds_read2_b64 v[104:107], v73 offset0:64 offset1:96
	ds_read2_b64 v[108:111], v73 offset0:128 offset1:160
	ds_read2_b64 v[112:115], v73 offset0:192 offset1:224
	ds_read2_b64 v[116:119], v74 offset1:32
	;; [unrolled: 4-line block ×7, first 2 shown]
	ds_read2_b64 v[200:203], v79 offset0:64 offset1:96
	ds_read2_b64 v[204:207], v79 offset0:128 offset1:160
	;; [unrolled: 1-line block ×3, first 2 shown]
	s_waitcnt lgkmcnt(0)
	s_barrier
	global_load_dwordx4 v[212:215], v[38:39], off
	s_nop 0
	global_load_dwordx4 v[8:11], v[10:11], off
	s_nop 0
	;; [unrolled: 2-line block ×3, first 2 shown]
	global_load_dwordx4 v[12:15], v[12:13], off
	v_pk_mul_f16 v83, v220, v83 op_sel_hi:[0,1]
	v_pk_mul_f16 v80, v220, v80 op_sel_hi:[0,1]
	v_pk_mul_f16 v0, v0, v4 op_sel_hi:[1,0]
	v_pk_mul_f16 v1, v1, v4 op_sel_hi:[1,0]
	v_pk_fma_f16 v2, v2, v4, v83 op_sel_hi:[1,0,1]
	v_pk_fma_f16 v3, v3, v4, v80 op_sel_hi:[1,0,1]
	v_pk_fma_f16 v0, v82, v220, v0 op_sel_hi:[1,0,1]
	v_pk_fma_f16 v1, v81, v220, v1 op_sel_hi:[1,0,1]
	v_pk_fma_f16 v2, v90, v4, v2 op_sel:[0,1,0]
	v_pk_fma_f16 v3, v91, v4, v3 op_sel:[0,1,0]
	v_pk_fma_f16 v0, v88, v4, v0 op_sel:[0,1,0]
	v_pk_fma_f16 v1, v89, v4, v1 op_sel:[0,1,0]
	v_pk_fma_f16 v2, v94, v5, v2 op_sel_hi:[1,0,1]
	v_pk_fma_f16 v3, v95, v5, v3 op_sel_hi:[1,0,1]
	v_pk_fma_f16 v0, v92, v5, v0 op_sel_hi:[1,0,1]
	v_pk_fma_f16 v1, v93, v5, v1 op_sel_hi:[1,0,1]
	v_pk_fma_f16 v2, v98, v5, v2 op_sel:[0,1,0]
	v_pk_fma_f16 v3, v99, v5, v3 op_sel:[0,1,0]
	v_pk_fma_f16 v0, v96, v5, v0 op_sel:[0,1,0]
	v_pk_fma_f16 v1, v97, v5, v1 op_sel:[0,1,0]
	v_pk_fma_f16 v2, v102, v6, v2 op_sel_hi:[1,0,1]
	v_pk_fma_f16 v3, v103, v6, v3 op_sel_hi:[1,0,1]
	v_pk_fma_f16 v0, v100, v6, v0 op_sel_hi:[1,0,1]
	v_pk_fma_f16 v1, v101, v6, v1 op_sel_hi:[1,0,1]
	v_pk_fma_f16 v2, v106, v6, v2 op_sel:[0,1,0]
	v_pk_fma_f16 v3, v107, v6, v3 op_sel:[0,1,0]
	v_pk_fma_f16 v0, v104, v6, v0 op_sel:[0,1,0]
	v_pk_fma_f16 v1, v105, v6, v1 op_sel:[0,1,0]
	v_pk_fma_f16 v2, v110, v7, v2 op_sel_hi:[1,0,1]
	v_pk_fma_f16 v3, v111, v7, v3 op_sel_hi:[1,0,1]
	v_pk_fma_f16 v0, v108, v7, v0 op_sel_hi:[1,0,1]
	v_pk_fma_f16 v1, v109, v7, v1 op_sel_hi:[1,0,1]
	v_pk_fma_f16 v2, v114, v7, v2 op_sel:[0,1,0]
	v_pk_fma_f16 v3, v115, v7, v3 op_sel:[0,1,0]
	v_pk_fma_f16 v0, v112, v7, v0 op_sel:[0,1,0]
	v_pk_fma_f16 v1, v113, v7, v1 op_sel:[0,1,0]
	v_pk_fma_f16 v2, v118, v40, v2 op_sel_hi:[1,0,1]
	v_pk_fma_f16 v3, v119, v40, v3 op_sel_hi:[1,0,1]
	v_pk_fma_f16 v0, v116, v40, v0 op_sel_hi:[1,0,1]
	v_pk_fma_f16 v1, v117, v40, v1 op_sel_hi:[1,0,1]
	v_pk_fma_f16 v2, v122, v40, v2 op_sel:[0,1,0]
	v_pk_fma_f16 v3, v123, v40, v3 op_sel:[0,1,0]
	v_pk_fma_f16 v0, v120, v40, v0 op_sel:[0,1,0]
	v_pk_fma_f16 v1, v121, v40, v1 op_sel:[0,1,0]
	v_pk_fma_f16 v2, v126, v41, v2 op_sel_hi:[1,0,1]
	v_pk_fma_f16 v3, v127, v41, v3 op_sel_hi:[1,0,1]
	v_pk_fma_f16 v0, v124, v41, v0 op_sel_hi:[1,0,1]
	v_pk_fma_f16 v1, v125, v41, v1 op_sel_hi:[1,0,1]
	v_pk_fma_f16 v2, v130, v41, v2 op_sel:[0,1,0]
	v_pk_fma_f16 v3, v131, v41, v3 op_sel:[0,1,0]
	v_pk_fma_f16 v0, v128, v41, v0 op_sel:[0,1,0]
	v_pk_fma_f16 v1, v129, v41, v1 op_sel:[0,1,0]
	v_pk_fma_f16 v2, v134, v42, v2 op_sel_hi:[1,0,1]
	v_pk_fma_f16 v3, v135, v42, v3 op_sel_hi:[1,0,1]
	v_pk_fma_f16 v0, v132, v42, v0 op_sel_hi:[1,0,1]
	v_pk_fma_f16 v1, v133, v42, v1 op_sel_hi:[1,0,1]
	v_pk_fma_f16 v2, v138, v42, v2 op_sel:[0,1,0]
	v_pk_fma_f16 v3, v139, v42, v3 op_sel:[0,1,0]
	v_pk_fma_f16 v0, v136, v42, v0 op_sel:[0,1,0]
	v_pk_fma_f16 v1, v137, v42, v1 op_sel:[0,1,0]
	v_pk_fma_f16 v2, v142, v43, v2 op_sel_hi:[1,0,1]
	v_pk_fma_f16 v3, v143, v43, v3 op_sel_hi:[1,0,1]
	v_pk_fma_f16 v0, v140, v43, v0 op_sel_hi:[1,0,1]
	v_pk_fma_f16 v1, v141, v43, v1 op_sel_hi:[1,0,1]
	v_pk_fma_f16 v2, v146, v43, v2 op_sel:[0,1,0]
	v_pk_fma_f16 v3, v147, v43, v3 op_sel:[0,1,0]
	v_pk_fma_f16 v0, v144, v43, v0 op_sel:[0,1,0]
	v_pk_fma_f16 v1, v145, v43, v1 op_sel:[0,1,0]
	v_pk_fma_f16 v2, v150, v44, v2 op_sel_hi:[1,0,1]
	v_pk_fma_f16 v3, v151, v44, v3 op_sel_hi:[1,0,1]
	v_pk_fma_f16 v0, v148, v44, v0 op_sel_hi:[1,0,1]
	v_pk_fma_f16 v1, v149, v44, v1 op_sel_hi:[1,0,1]
	v_pk_fma_f16 v2, v154, v44, v2 op_sel:[0,1,0]
	v_pk_fma_f16 v3, v155, v44, v3 op_sel:[0,1,0]
	v_pk_fma_f16 v0, v152, v44, v0 op_sel:[0,1,0]
	v_pk_fma_f16 v1, v153, v44, v1 op_sel:[0,1,0]
	v_pk_fma_f16 v2, v158, v45, v2 op_sel_hi:[1,0,1]
	v_pk_fma_f16 v3, v159, v45, v3 op_sel_hi:[1,0,1]
	v_pk_fma_f16 v0, v156, v45, v0 op_sel_hi:[1,0,1]
	v_pk_fma_f16 v1, v157, v45, v1 op_sel_hi:[1,0,1]
	v_pk_fma_f16 v2, v162, v45, v2 op_sel:[0,1,0]
	v_pk_fma_f16 v3, v163, v45, v3 op_sel:[0,1,0]
	v_pk_fma_f16 v0, v160, v45, v0 op_sel:[0,1,0]
	v_pk_fma_f16 v1, v161, v45, v1 op_sel:[0,1,0]
	v_pk_fma_f16 v2, v166, v46, v2 op_sel_hi:[1,0,1]
	v_pk_fma_f16 v3, v167, v46, v3 op_sel_hi:[1,0,1]
	v_pk_fma_f16 v0, v164, v46, v0 op_sel_hi:[1,0,1]
	v_pk_fma_f16 v1, v165, v46, v1 op_sel_hi:[1,0,1]
	v_pk_fma_f16 v2, v170, v46, v2 op_sel:[0,1,0]
	v_pk_fma_f16 v3, v171, v46, v3 op_sel:[0,1,0]
	v_pk_fma_f16 v0, v168, v46, v0 op_sel:[0,1,0]
	v_pk_fma_f16 v1, v169, v46, v1 op_sel:[0,1,0]
	v_pk_fma_f16 v2, v174, v47, v2 op_sel_hi:[1,0,1]
	v_pk_fma_f16 v3, v175, v47, v3 op_sel_hi:[1,0,1]
	v_pk_fma_f16 v0, v172, v47, v0 op_sel_hi:[1,0,1]
	v_pk_fma_f16 v1, v173, v47, v1 op_sel_hi:[1,0,1]
	v_pk_fma_f16 v2, v178, v47, v2 op_sel:[0,1,0]
	v_pk_fma_f16 v3, v179, v47, v3 op_sel:[0,1,0]
	v_pk_fma_f16 v0, v176, v47, v0 op_sel:[0,1,0]
	v_pk_fma_f16 v1, v177, v47, v1 op_sel:[0,1,0]
	v_pk_fma_f16 v2, v182, v84, v2 op_sel_hi:[1,0,1]
	v_pk_fma_f16 v3, v183, v84, v3 op_sel_hi:[1,0,1]
	v_pk_fma_f16 v0, v180, v84, v0 op_sel_hi:[1,0,1]
	v_pk_fma_f16 v1, v181, v84, v1 op_sel_hi:[1,0,1]
	v_pk_fma_f16 v2, v186, v84, v2 op_sel:[0,1,0]
	v_pk_fma_f16 v3, v187, v84, v3 op_sel:[0,1,0]
	v_pk_fma_f16 v0, v184, v84, v0 op_sel:[0,1,0]
	v_pk_fma_f16 v1, v185, v84, v1 op_sel:[0,1,0]
	v_pk_fma_f16 v2, v190, v85, v2 op_sel_hi:[1,0,1]
	v_pk_fma_f16 v3, v191, v85, v3 op_sel_hi:[1,0,1]
	v_pk_fma_f16 v0, v188, v85, v0 op_sel_hi:[1,0,1]
	v_pk_fma_f16 v1, v189, v85, v1 op_sel_hi:[1,0,1]
	v_pk_fma_f16 v2, v194, v85, v2 op_sel:[0,1,0]
	v_pk_fma_f16 v3, v195, v85, v3 op_sel:[0,1,0]
	v_pk_fma_f16 v0, v192, v85, v0 op_sel:[0,1,0]
	v_pk_fma_f16 v1, v193, v85, v1 op_sel:[0,1,0]
	v_pk_fma_f16 v2, v198, v86, v2 op_sel_hi:[1,0,1]
	v_pk_fma_f16 v3, v199, v86, v3 op_sel_hi:[1,0,1]
	v_pk_fma_f16 v0, v196, v86, v0 op_sel_hi:[1,0,1]
	v_pk_fma_f16 v1, v197, v86, v1 op_sel_hi:[1,0,1]
	v_pk_fma_f16 v2, v202, v86, v2 op_sel:[0,1,0]
	v_pk_fma_f16 v3, v203, v86, v3 op_sel:[0,1,0]
	v_pk_fma_f16 v0, v200, v86, v0 op_sel:[0,1,0]
	v_pk_fma_f16 v1, v201, v86, v1 op_sel:[0,1,0]
	v_pk_fma_f16 v2, v206, v87, v2 op_sel_hi:[1,0,1]
	v_pk_fma_f16 v3, v207, v87, v3 op_sel_hi:[1,0,1]
	v_pk_fma_f16 v0, v204, v87, v0 op_sel_hi:[1,0,1]
	v_pk_fma_f16 v1, v205, v87, v1 op_sel_hi:[1,0,1]
	v_pk_fma_f16 v46, v210, v87, v2 op_sel:[0,1,0]
	v_pk_fma_f16 v47, v211, v87, v3 op_sel:[0,1,0]
	v_pk_fma_f16 v200, v208, v87, v0 op_sel:[0,1,0]
	v_pk_fma_f16 v201, v209, v87, v1 op_sel:[0,1,0]
	s_waitcnt vmcnt(3)
	ds_write_b128 v64, v[212:215]
	s_waitcnt vmcnt(2)
	ds_write_b128 v65, v[8:11]
	;; [unrolled: 2-line block ×4, first 2 shown]
	s_waitcnt lgkmcnt(0)
	s_barrier
	ds_read2_b64 v[38:41], v68 offset1:32
	ds_read_b128 v[12:15], v62 offset:64
	ds_read_b128 v[8:11], v62 offset:80
	;; [unrolled: 1-line block ×4, first 2 shown]
	ds_read2_b64 v[42:45], v68 offset0:64 offset1:96
	ds_read2_b64 v[80:83], v68 offset0:128 offset1:160
	ds_read2_b64 v[84:87], v68 offset0:192 offset1:224
	ds_read2_b64 v[88:91], v73 offset1:32
	ds_read2_b64 v[92:95], v73 offset0:64 offset1:96
	ds_read2_b64 v[96:99], v73 offset0:128 offset1:160
	ds_read2_b64 v[100:103], v73 offset0:192 offset1:224
	ds_read2_b64 v[104:107], v74 offset1:32
	;; [unrolled: 4-line block ×7, first 2 shown]
	ds_read2_b64 v[188:191], v79 offset0:64 offset1:96
	ds_read2_b64 v[192:195], v79 offset0:128 offset1:160
	;; [unrolled: 1-line block ×3, first 2 shown]
	s_waitcnt lgkmcnt(14)
	v_pk_fma_f16 v38, v38, v12, v200 op_sel_hi:[1,0,1]
	v_pk_fma_f16 v39, v39, v12, v201 op_sel_hi:[1,0,1]
	v_pk_fma_f16 v40, v40, v12, v46 op_sel_hi:[1,0,1]
	v_pk_fma_f16 v41, v41, v12, v47 op_sel_hi:[1,0,1]
	v_pk_fma_f16 v38, v42, v12, v38 op_sel:[0,1,0]
	v_pk_fma_f16 v39, v43, v12, v39 op_sel:[0,1,0]
	v_pk_fma_f16 v40, v44, v12, v40 op_sel:[0,1,0]
	v_pk_fma_f16 v12, v45, v12, v41 op_sel:[0,1,0]
	v_pk_fma_f16 v38, v80, v13, v38 op_sel_hi:[1,0,1]
	v_pk_fma_f16 v39, v81, v13, v39 op_sel_hi:[1,0,1]
	v_pk_fma_f16 v40, v82, v13, v40 op_sel_hi:[1,0,1]
	v_pk_fma_f16 v12, v83, v13, v12 op_sel_hi:[1,0,1]
	v_pk_fma_f16 v38, v84, v13, v38 op_sel:[0,1,0]
	v_pk_fma_f16 v39, v85, v13, v39 op_sel:[0,1,0]
	v_pk_fma_f16 v40, v86, v13, v40 op_sel:[0,1,0]
	v_pk_fma_f16 v12, v87, v13, v12 op_sel:[0,1,0]
	;; [unrolled: 8-line block ×9, first 2 shown]
	s_waitcnt lgkmcnt(13)
	v_pk_fma_f16 v8, v144, v5, v9 op_sel_hi:[1,0,1]
	v_pk_fma_f16 v9, v145, v5, v10 op_sel_hi:[1,0,1]
	v_pk_fma_f16 v10, v146, v5, v11 op_sel_hi:[1,0,1]
	v_pk_fma_f16 v4, v147, v5, v4 op_sel_hi:[1,0,1]
	s_waitcnt lgkmcnt(12)
	v_pk_fma_f16 v8, v148, v5, v8 op_sel:[0,1,0]
	v_pk_fma_f16 v9, v149, v5, v9 op_sel:[0,1,0]
	v_pk_fma_f16 v10, v150, v5, v10 op_sel:[0,1,0]
	v_pk_fma_f16 v4, v151, v5, v4 op_sel:[0,1,0]
	s_waitcnt lgkmcnt(11)
	v_pk_fma_f16 v5, v152, v6, v8 op_sel_hi:[1,0,1]
	v_pk_fma_f16 v8, v153, v6, v9 op_sel_hi:[1,0,1]
	v_pk_fma_f16 v9, v154, v6, v10 op_sel_hi:[1,0,1]
	v_pk_fma_f16 v4, v155, v6, v4 op_sel_hi:[1,0,1]
	s_waitcnt lgkmcnt(10)
	v_pk_fma_f16 v5, v156, v6, v5 op_sel:[0,1,0]
	v_pk_fma_f16 v8, v157, v6, v8 op_sel:[0,1,0]
	v_pk_fma_f16 v9, v158, v6, v9 op_sel:[0,1,0]
	v_pk_fma_f16 v4, v159, v6, v4 op_sel:[0,1,0]
	;; [unrolled: 10-line block ×3, first 2 shown]
	s_waitcnt lgkmcnt(0)
	s_barrier
	s_load_dword s0, s[10:11], 0x4
	v_pk_fma_f16 v5, v168, v0, v5 op_sel_hi:[1,0,1]
	v_pk_fma_f16 v6, v169, v0, v6 op_sel_hi:[1,0,1]
	;; [unrolled: 1-line block ×4, first 2 shown]
	v_pk_fma_f16 v5, v172, v0, v5 op_sel:[0,1,0]
	v_pk_fma_f16 v6, v173, v0, v6 op_sel:[0,1,0]
	;; [unrolled: 1-line block ×4, first 2 shown]
	v_pk_fma_f16 v4, v176, v1, v5 op_sel_hi:[1,0,1]
	v_pk_fma_f16 v5, v177, v1, v6 op_sel_hi:[1,0,1]
	;; [unrolled: 1-line block ×4, first 2 shown]
	v_pk_fma_f16 v4, v180, v1, v4 op_sel:[0,1,0]
	v_pk_fma_f16 v5, v181, v1, v5 op_sel:[0,1,0]
	;; [unrolled: 1-line block ×4, first 2 shown]
	v_pk_fma_f16 v1, v184, v2, v4 op_sel_hi:[1,0,1]
	v_pk_fma_f16 v4, v185, v2, v5 op_sel_hi:[1,0,1]
	;; [unrolled: 1-line block ×4, first 2 shown]
	s_waitcnt lgkmcnt(0)
	s_lshl_b32 s0, s0, 6
	v_pk_fma_f16 v1, v188, v2, v1 op_sel:[0,1,0]
	v_pk_fma_f16 v4, v189, v2, v4 op_sel:[0,1,0]
	;; [unrolled: 1-line block ×4, first 2 shown]
	s_add_i32 s6, s0, s6
	v_pk_fma_f16 v1, v192, v3, v1 op_sel_hi:[1,0,1]
	v_pk_fma_f16 v2, v193, v3, v4 op_sel_hi:[1,0,1]
	;; [unrolled: 1-line block ×4, first 2 shown]
	s_cmp_lt_i32 s6, s28
	v_pk_fma_f16 v82, v196, v3, v1 op_sel:[0,1,0]
	v_pk_fma_f16 v81, v197, v3, v2 op_sel:[0,1,0]
	;; [unrolled: 1-line block ×4, first 2 shown]
	s_cbranch_scc1 .LBB33_9
.LBB33_10:
	v_cmp_lt_i32_e32 vcc, v55, v50
	v_cndmask_b32_e32 v0, v19, v55, vcc
	v_lshlrev_b32_e32 v0, 2, v0
	ds_bpermute_b32 v0, v0, v37
	v_cmp_lt_i32_e32 vcc, v54, v50
	v_cndmask_b32_e32 v1, v19, v54, vcc
	v_lshlrev_b32_e32 v1, 2, v1
	v_cmp_lt_i32_e32 vcc, v53, v50
	s_waitcnt lgkmcnt(0)
	v_add_f32_e32 v0, v37, v0
	ds_bpermute_b32 v1, v1, v0
	v_cndmask_b32_e32 v2, v19, v53, vcc
	v_lshlrev_b32_e32 v2, 2, v2
	v_cmp_lt_i32_e32 vcc, v52, v50
	s_cmp_eq_u64 s[16:17], 0
	s_waitcnt lgkmcnt(0)
	v_add_f32_e32 v0, v0, v1
	ds_bpermute_b32 v1, v2, v0
	v_cndmask_b32_e32 v2, v19, v52, vcc
	v_lshlrev_b32_e32 v2, 2, v2
	v_cmp_lt_i32_e32 vcc, v51, v50
	s_cselect_b64 s[0:1], -1, 0
	s_waitcnt lgkmcnt(0)
	v_add_f32_e32 v0, v0, v1
	ds_bpermute_b32 v1, v2, v0
	v_cndmask_b32_e32 v2, v19, v51, vcc
	v_lshlrev_b32_e32 v2, 2, v2
	s_cmp_lg_u32 s7, 0
	s_cselect_b64 s[2:3], -1, 0
	s_waitcnt lgkmcnt(0)
	v_add_f32_e32 v0, v0, v1
	ds_bpermute_b32 v1, v2, v0
	s_or_b64 s[0:1], s[2:3], s[0:1]
	s_and_b64 vcc, exec, s[0:1]
	s_waitcnt lgkmcnt(0)
	v_add_f32_e32 v37, v0, v1
	s_cbranch_vccnz .LBB33_13
; %bb.11:
	v_add_u32_e32 v0, s29, v17
	v_ashrrev_i32_e32 v1, 31, v0
	v_lshlrev_b64 v[0:1], 2, v[0:1]
	v_mov_b32_e32 v2, s17
	v_add_co_u32_e32 v0, vcc, s16, v0
	v_addc_co_u32_e32 v1, vcc, v2, v1, vcc
	global_load_dword v1, v[0:1], off
	v_max_f32_e32 v0, v36, v36
	s_mov_b32 s0, 0x3fb8aa3b
	s_mov_b32 s1, 0xc2ce8ed0
	s_waitcnt vmcnt(0)
	v_max_f32_e32 v2, v1, v1
	v_max_f32_e32 v0, v0, v2
	v_sub_f32_e32 v2, v36, v0
	v_sub_f32_e32 v1, v1, v0
	v_mul_f32_e32 v3, 0x3fb8aa3b, v2
	v_mul_f32_e32 v4, 0x3fb8aa3b, v1
	v_fma_f32 v5, v2, s0, -v3
	v_rndne_f32_e32 v6, v3
	v_fma_f32 v7, v1, s0, -v4
	v_rndne_f32_e32 v8, v4
	v_fmac_f32_e32 v5, 0x32a5705f, v2
	v_sub_f32_e32 v3, v3, v6
	v_fmac_f32_e32 v7, 0x32a5705f, v1
	v_sub_f32_e32 v4, v4, v8
	v_add_f32_e32 v3, v3, v5
	v_cvt_i32_f32_e32 v6, v6
	v_add_f32_e32 v4, v4, v7
	v_exp_f32_e32 v3, v3
	v_cvt_i32_f32_e32 v8, v8
	v_exp_f32_e32 v4, v4
	v_cmp_ngt_f32_e32 vcc, s1, v2
	v_ldexp_f32 v3, v3, v6
	s_mov_b32 s0, 0x42b17218
	v_ldexp_f32 v4, v4, v8
	v_cndmask_b32_e32 v3, 0, v3, vcc
	v_cmp_ngt_f32_e32 vcc, s1, v1
	v_mov_b32_e32 v5, 0x7f800000
	v_cndmask_b32_e32 v4, 0, v4, vcc
	v_cmp_nlt_f32_e32 vcc, s0, v2
	v_cndmask_b32_e32 v2, v5, v3, vcc
	v_cvt_f16_f32_e32 v3, v2
	v_cmp_nlt_f32_e32 vcc, s0, v1
	v_cndmask_b32_e32 v1, v5, v4, vcc
	v_fmac_f32_e32 v1, v37, v2
	v_pk_mul_f16 v82, v3, v82 op_sel_hi:[0,1]
	v_pk_mul_f16 v81, v3, v81 op_sel_hi:[0,1]
	;; [unrolled: 1-line block ×4, first 2 shown]
	v_pk_mov_b32 v[36:37], v[0:1], v[0:1] op_sel:[0,1]
	v_cmp_gt_i32_e32 vcc, s26, v48
	s_and_saveexec_b64 s[0:1], vcc
	s_cbranch_execnz .LBB33_14
.LBB33_12:
	s_endpgm
.LBB33_13:
	v_mov_b32_e32 v1, v37
	v_cmp_gt_i32_e32 vcc, s26, v48
	s_and_saveexec_b64 s[0:1], vcc
	s_cbranch_execz .LBB33_12
.LBB33_14:
	v_div_scale_f32 v0, s[0:1], v1, v1, 1.0
	v_rcp_f32_e32 v2, v0
	s_load_dword s2, s[4:5], 0xd4
	s_mul_i32 s33, s33, s26
	v_cvt_f32_f16_sdwa v11, v81 dst_sel:DWORD dst_unused:UNUSED_PAD src0_sel:WORD_1
	v_fma_f32 v3, -v0, v2, 1.0
	v_fmac_f32_e32 v2, v3, v2
	v_div_scale_f32 v3, vcc, 1.0, v1, 1.0
	v_mul_f32_e32 v4, v3, v2
	v_fma_f32 v5, -v0, v4, v3
	v_fmac_f32_e32 v4, v5, v2
	v_fma_f32 v0, -v0, v4, v3
	s_waitcnt lgkmcnt(0)
	s_cmp_lg_u32 s2, 1
	v_div_fmas_f32 v0, v0, v2, v4
	v_div_fixup_f32 v0, v0, v1, 1.0
	s_cselect_b64 s[0:1], -1, 0
	v_cndmask_b32_e64 v6, v0, 1.0, s[0:1]
	v_add_u32_e32 v0, s33, v48
	v_mul_lo_u32 v0, v0, s27
	v_add3_u32 v0, s29, v17, v0
	v_mul_lo_u32 v0, s2, v0
	v_add_u32_e32 v0, s7, v0
	v_cvt_f32_f16_sdwa v5, v82 dst_sel:DWORD dst_unused:UNUSED_PAD src0_sel:WORD_1
	v_cvt_f32_f16_e32 v4, v82
	v_cvt_f32_f16_e32 v10, v81
	v_lshl_add_u32 v8, v0, 8, v49
	v_mov_b32_e32 v9, 0
	v_lshlrev_b64 v[2:3], 2, v[8:9]
	v_mov_b32_e32 v1, s21
	v_add_co_u32_e32 v12, vcc, s20, v2
	v_addc_co_u32_e32 v13, vcc, v1, v3, vcc
	v_pk_mul_f32 v[2:3], v[6:7], v[4:5] op_sel_hi:[0,1]
	v_pk_mul_f32 v[4:5], v[6:7], v[10:11] op_sel_hi:[0,1]
	v_add_u32_e32 v8, 0x80, v8
	global_store_dwordx4 v[12:13], v[2:5], off
	s_nop 0
	v_lshlrev_b64 v[2:3], 2, v[8:9]
	v_cvt_f32_f16_sdwa v5, v83 dst_sel:DWORD dst_unused:UNUSED_PAD src0_sel:WORD_1
	v_cvt_f32_f16_e32 v4, v83
	v_cvt_f32_f16_sdwa v9, v80 dst_sel:DWORD dst_unused:UNUSED_PAD src0_sel:WORD_1
	v_cvt_f32_f16_e32 v8, v80
	v_add_co_u32_e32 v10, vcc, s20, v2
	v_addc_co_u32_e32 v11, vcc, v1, v3, vcc
	v_cmp_eq_u32_e32 vcc, 0, v16
	v_pk_mul_f32 v[2:3], v[6:7], v[4:5] op_sel_hi:[0,1]
	v_pk_mul_f32 v[4:5], v[6:7], v[8:9] op_sel_hi:[0,1]
	s_and_b64 s[0:1], vcc, s[0:1]
	global_store_dwordx4 v[10:11], v[2:5], off
	s_and_b64 exec, exec, s[0:1]
	s_cbranch_execz .LBB33_12
; %bb.15:
	v_ashrrev_i32_e32 v1, 31, v0
	v_lshlrev_b64 v[0:1], 3, v[0:1]
	v_mov_b32_e32 v2, s23
	v_add_co_u32_e32 v0, vcc, s22, v0
	v_addc_co_u32_e32 v1, vcc, v2, v1, vcc
	global_store_dwordx2 v[0:1], v[36:37], off
	s_endpgm
	.section	.rodata,"a",@progbits
	.p2align	6, 0x0
	.amdhsa_kernel _ZL15flash_attn_tileILi256ELi256ELi4ELi2ELb0EEvPKcS1_S1_S1_S1_PKiPfP15HIP_vector_typeIfLj2EEffffjfiS5_IjLj3EEiiiiiiiiiiiliiliiiiil
		.amdhsa_group_segment_fixed_size 22528
		.amdhsa_private_segment_fixed_size 0
		.amdhsa_kernarg_size 464
		.amdhsa_user_sgpr_count 6
		.amdhsa_user_sgpr_private_segment_buffer 1
		.amdhsa_user_sgpr_dispatch_ptr 0
		.amdhsa_user_sgpr_queue_ptr 0
		.amdhsa_user_sgpr_kernarg_segment_ptr 1
		.amdhsa_user_sgpr_dispatch_id 0
		.amdhsa_user_sgpr_flat_scratch_init 0
		.amdhsa_user_sgpr_kernarg_preload_length 0
		.amdhsa_user_sgpr_kernarg_preload_offset 0
		.amdhsa_user_sgpr_private_segment_size 0
		.amdhsa_uses_dynamic_stack 0
		.amdhsa_system_sgpr_private_segment_wavefront_offset 0
		.amdhsa_system_sgpr_workgroup_id_x 1
		.amdhsa_system_sgpr_workgroup_id_y 1
		.amdhsa_system_sgpr_workgroup_id_z 1
		.amdhsa_system_sgpr_workgroup_info 0
		.amdhsa_system_vgpr_workitem_id 1
		.amdhsa_next_free_vgpr 221
		.amdhsa_next_free_sgpr 44
		.amdhsa_accum_offset 224
		.amdhsa_reserve_vcc 1
		.amdhsa_reserve_flat_scratch 0
		.amdhsa_float_round_mode_32 0
		.amdhsa_float_round_mode_16_64 0
		.amdhsa_float_denorm_mode_32 3
		.amdhsa_float_denorm_mode_16_64 3
		.amdhsa_dx10_clamp 1
		.amdhsa_ieee_mode 1
		.amdhsa_fp16_overflow 0
		.amdhsa_tg_split 0
		.amdhsa_exception_fp_ieee_invalid_op 0
		.amdhsa_exception_fp_denorm_src 0
		.amdhsa_exception_fp_ieee_div_zero 0
		.amdhsa_exception_fp_ieee_overflow 0
		.amdhsa_exception_fp_ieee_underflow 0
		.amdhsa_exception_fp_ieee_inexact 0
		.amdhsa_exception_int_div_zero 0
	.end_amdhsa_kernel
	.section	.text._ZL15flash_attn_tileILi256ELi256ELi4ELi2ELb0EEvPKcS1_S1_S1_S1_PKiPfP15HIP_vector_typeIfLj2EEffffjfiS5_IjLj3EEiiiiiiiiiiiliiliiiiil,"axG",@progbits,_ZL15flash_attn_tileILi256ELi256ELi4ELi2ELb0EEvPKcS1_S1_S1_S1_PKiPfP15HIP_vector_typeIfLj2EEffffjfiS5_IjLj3EEiiiiiiiiiiiliiliiiiil,comdat
.Lfunc_end33:
	.size	_ZL15flash_attn_tileILi256ELi256ELi4ELi2ELb0EEvPKcS1_S1_S1_S1_PKiPfP15HIP_vector_typeIfLj2EEffffjfiS5_IjLj3EEiiiiiiiiiiiliiliiiiil, .Lfunc_end33-_ZL15flash_attn_tileILi256ELi256ELi4ELi2ELb0EEvPKcS1_S1_S1_S1_PKiPfP15HIP_vector_typeIfLj2EEffffjfiS5_IjLj3EEiiiiiiiiiiiliiliiiiil
                                        ; -- End function
	.section	.AMDGPU.csdata,"",@progbits
; Kernel info:
; codeLenInByte = 9676
; NumSgprs: 48
; NumVgprs: 221
; NumAgprs: 0
; TotalNumVgprs: 221
; ScratchSize: 0
; MemoryBound: 0
; FloatMode: 240
; IeeeMode: 1
; LDSByteSize: 22528 bytes/workgroup (compile time only)
; SGPRBlocks: 5
; VGPRBlocks: 27
; NumSGPRsForWavesPerEU: 48
; NumVGPRsForWavesPerEU: 221
; AccumOffset: 224
; Occupancy: 2
; WaveLimiterHint : 1
; COMPUTE_PGM_RSRC2:SCRATCH_EN: 0
; COMPUTE_PGM_RSRC2:USER_SGPR: 6
; COMPUTE_PGM_RSRC2:TRAP_HANDLER: 0
; COMPUTE_PGM_RSRC2:TGID_X_EN: 1
; COMPUTE_PGM_RSRC2:TGID_Y_EN: 1
; COMPUTE_PGM_RSRC2:TGID_Z_EN: 1
; COMPUTE_PGM_RSRC2:TIDIG_COMP_CNT: 1
; COMPUTE_PGM_RSRC3_GFX90A:ACCUM_OFFSET: 55
; COMPUTE_PGM_RSRC3_GFX90A:TG_SPLIT: 0
	.section	.text._ZL33flash_attn_stream_k_fixup_uniformILi256ELi4ELi2EEvPfPK15HIP_vector_typeIfLj2EEiiiiiiS1_IjLj3EES5_S5_,"axG",@progbits,_ZL33flash_attn_stream_k_fixup_uniformILi256ELi4ELi2EEvPfPK15HIP_vector_typeIfLj2EEiiiiiiS1_IjLj3EES5_S5_,comdat
	.globl	_ZL33flash_attn_stream_k_fixup_uniformILi256ELi4ELi2EEvPfPK15HIP_vector_typeIfLj2EEiiiiiiS1_IjLj3EES5_S5_ ; -- Begin function _ZL33flash_attn_stream_k_fixup_uniformILi256ELi4ELi2EEvPfPK15HIP_vector_typeIfLj2EEiiiiiiS1_IjLj3EES5_S5_
	.p2align	8
	.type	_ZL33flash_attn_stream_k_fixup_uniformILi256ELi4ELi2EEvPfPK15HIP_vector_typeIfLj2EEiiiiiiS1_IjLj3EES5_S5_,@function
_ZL33flash_attn_stream_k_fixup_uniformILi256ELi4ELi2EEvPfPK15HIP_vector_typeIfLj2EEiiiiiiS1_IjLj3EES5_S5_: ; @_ZL33flash_attn_stream_k_fixup_uniformILi256ELi4ELi2EEvPfPK15HIP_vector_typeIfLj2EEiiiiiiS1_IjLj3EES5_S5_
; %bb.0:
	s_load_dwordx8 s[12:19], s[4:5], 0x1c
	s_load_dwordx2 s[10:11], s[4:5], 0x10
	s_load_dwordx4 s[0:3], s[4:5], 0x3c
	s_waitcnt lgkmcnt(0)
	s_mul_hi_u32 s9, s15, s6
	s_add_i32 s9, s6, s9
	s_lshr_b32 s9, s9, s16
	s_mul_i32 s15, s9, s17
	s_sub_i32 s15, s6, s15
	s_mul_hi_u32 s16, s15, s18
	s_add_i32 s16, s15, s16
	s_lshr_b32 s16, s16, s19
	s_mul_i32 s0, s16, s0
	s_sub_i32 s0, s15, s0
	;; [unrolled: 5-line block ×3, first 2 shown]
	s_lshl_b32 s0, s17, 2
	s_lshl_b32 s15, s1, 1
	s_add_i32 s0, s0, s7
	s_cmp_lt_i32 s0, s10
	s_cselect_b64 s[0:1], -1, 0
	s_add_i32 s2, s15, s8
	s_cmp_lt_i32 s2, s13
	s_cselect_b64 s[2:3], -1, 0
	s_and_b64 s[0:1], s[0:1], s[2:3]
	s_andn2_b64 vcc, exec, s[0:1]
	s_cbranch_vccnz .LBB34_6
; %bb.1:
	s_load_dwordx4 s[0:3], s[4:5], 0x0
	s_mul_i32 s4, s9, s10
	s_add_i32 s4, s4, s7
	s_mul_i32 s4, s4, s11
	s_mul_i32 s16, s16, s13
	s_add_i32 s4, s4, s8
	s_add_i32 s4, s4, s16
	s_mul_i32 s5, s11, s17
	s_add_i32 s4, s4, s15
	s_lshl_b32 s5, s5, 10
	s_lshl_b32 s4, s4, 8
	s_add_i32 s5, s5, s4
	v_or_b32_e32 v2, s5, v0
	v_ashrrev_i32_e32 v3, 31, v2
	v_lshlrev_b64 v[2:3], 2, v[2:3]
	s_waitcnt lgkmcnt(0)
	v_mov_b32_e32 v1, s1
	v_add_co_u32_e32 v2, vcc, s0, v2
	v_addc_co_u32_e32 v3, vcc, v1, v3, vcc
	global_load_dword v8, v[2:3], off
	s_mul_i32 s9, s6, s14
	s_lshl_b32 s4, s7, 1
	s_add_i32 s11, s9, s14
	s_add_i32 s0, s4, s8
	s_lshl_b32 s1, s11, 3
	s_add_i32 s0, s0, s1
	s_add_i32 s0, s0, -8
	s_ashr_i32 s1, s0, 31
	s_lshl_b64 s[0:1], s[0:1], 3
	s_add_u32 s0, s2, s0
	s_addc_u32 s1, s3, s1
	s_load_dword s5, s[0:1], 0x4
	s_add_i32 s10, s11, -2
	s_cmp_lt_i32 s10, s9
	s_cbranch_scc1 .LBB34_4
; %bb.2:
	s_lshl_b32 s16, s12, 5
	s_ashr_i32 s17, s16, 31
	s_lshl_b64 s[16:17], s[16:17], 2
	s_add_u32 s10, s2, s16
	s_addc_u32 s13, s3, s17
	s_add_i32 s6, s6, 1
	s_load_dword s0, s[0:1], 0x0
	s_mul_i32 s1, s14, s6
	s_lshl_b32 s7, s7, 9
	s_lshl_b32 s14, s8, 8
	;; [unrolled: 1-line block ×3, first 2 shown]
	s_add_i32 s7, s14, s7
	s_lshl_b32 s1, s1, 3
	s_add_i32 s7, s7, s6
	s_add_i32 s1, s8, s1
	s_lshl_b32 s6, s12, 3
	s_add_i32 s1, s1, s6
	v_or_b32_e32 v0, s7, v0
	s_add_i32 s1, s1, s4
	s_add_i32 s11, s11, -1
	v_add_u32_e32 v0, 0xfffff000, v0
	s_add_i32 s4, s1, -16
	s_waitcnt lgkmcnt(0)
	v_mov_b32_e32 v7, s5
	v_mov_b32_e32 v6, s0
	;; [unrolled: 1-line block ×3, first 2 shown]
	s_mov_b32 s6, 0x3fb8aa3b
	s_mov_b32 s7, 0xc2ce8ed0
	;; [unrolled: 1-line block ×3, first 2 shown]
	v_mov_b32_e32 v5, 0x7f800000
	s_mov_b32 s12, 0xc1a00000
.LBB34_3:                               ; =>This Inner Loop Header: Depth=1
	v_ashrrev_i32_e32 v1, 31, v0
	v_lshlrev_b64 v[10:11], 2, v[0:1]
	v_add_co_u32_e32 v10, vcc, s10, v10
	v_addc_co_u32_e32 v11, vcc, v4, v11, vcc
	global_load_dword v1, v[10:11], off
	s_ashr_i32 s5, s4, 31
	s_lshl_b64 s[0:1], s[4:5], 3
	s_add_u32 s0, s2, s0
	s_addc_u32 s1, s3, s1
	s_load_dwordx2 s[14:15], s[0:1], 0x0
	s_waitcnt vmcnt(1)
	v_mov_b32_e32 v9, v8
	v_max_f32_e32 v8, v6, v6
	v_mov_b32_e32 v10, v7
	s_add_i32 s11, s11, -1
	s_waitcnt lgkmcnt(0)
	v_max_f32_e64 v7, s14, s14
	v_max_f32_e32 v7, v8, v7
	v_sub_f32_e32 v11, s14, v7
	v_sub_f32_e32 v8, v6, v7
	v_mul_f32_e32 v12, 0x3fb8aa3b, v11
	v_mov_b32_e32 v6, v7
	v_mul_f32_e32 v7, 0x3fb8aa3b, v8
	v_fma_f32 v15, v11, s6, -v12
	v_rndne_f32_e32 v16, v12
	v_fma_f32 v13, v8, s6, -v7
	v_rndne_f32_e32 v14, v7
	v_fmac_f32_e32 v15, 0x32a5705f, v11
	v_sub_f32_e32 v12, v12, v16
	v_fmac_f32_e32 v13, 0x32a5705f, v8
	v_sub_f32_e32 v7, v7, v14
	v_add_f32_e32 v12, v12, v15
	v_cvt_i32_f32_e32 v16, v16
	v_add_f32_e32 v7, v7, v13
	v_exp_f32_e32 v12, v12
	v_cvt_i32_f32_e32 v14, v14
	v_exp_f32_e32 v7, v7
	v_cmp_ngt_f32_e32 vcc, s7, v11
	v_ldexp_f32 v12, v12, v16
	v_cmp_ngt_f32_e64 s[0:1], s7, v8
	v_ldexp_f32 v7, v7, v14
	v_cndmask_b32_e32 v12, 0, v12, vcc
	v_cmp_nlt_f32_e32 vcc, s8, v11
	v_cndmask_b32_e64 v7, 0, v7, s[0:1]
	v_cmp_nlt_f32_e64 s[0:1], s8, v8
	v_cndmask_b32_e32 v12, v5, v12, vcc
	v_cmp_le_f32_e32 vcc, s12, v11
	v_cndmask_b32_e64 v7, v5, v7, s[0:1]
	v_cmp_le_f32_e64 s[0:1], s12, v8
	v_cndmask_b32_e32 v8, 0, v12, vcc
	s_add_i32 s4, s4, -8
	v_cndmask_b32_e64 v11, 0, v7, s[0:1]
	v_mul_f32_e32 v7, s15, v8
	v_add_u32_e32 v0, 0xfffff800, v0
	s_cmp_le_i32 s11, s9
	v_fmac_f32_e32 v7, v10, v11
	s_waitcnt vmcnt(0)
	v_mul_f32_e32 v8, v1, v8
	v_fmac_f32_e32 v8, v9, v11
	s_cbranch_scc0 .LBB34_3
	s_branch .LBB34_5
.LBB34_4:
	s_waitcnt lgkmcnt(0)
	v_mov_b32_e32 v7, s5
.LBB34_5:
	s_waitcnt vmcnt(0)
	v_div_scale_f32 v0, s[0:1], v7, v7, v8
	v_rcp_f32_e32 v1, v0
	v_div_scale_f32 v4, vcc, v8, v7, v8
	v_fma_f32 v5, -v0, v1, 1.0
	v_fmac_f32_e32 v1, v5, v1
	v_mul_f32_e32 v5, v4, v1
	v_fma_f32 v6, -v0, v5, v4
	v_fmac_f32_e32 v5, v6, v1
	v_fma_f32 v0, -v0, v5, v4
	v_div_fmas_f32 v0, v0, v1, v5
	v_div_fixup_f32 v0, v0, v7, v8
	global_store_dword v[2:3], v0, off
.LBB34_6:
	s_endpgm
	.section	.rodata,"a",@progbits
	.p2align	6, 0x0
	.amdhsa_kernel _ZL33flash_attn_stream_k_fixup_uniformILi256ELi4ELi2EEvPfPK15HIP_vector_typeIfLj2EEiiiiiiS1_IjLj3EES5_S5_
		.amdhsa_group_segment_fixed_size 0
		.amdhsa_private_segment_fixed_size 0
		.amdhsa_kernarg_size 76
		.amdhsa_user_sgpr_count 6
		.amdhsa_user_sgpr_private_segment_buffer 1
		.amdhsa_user_sgpr_dispatch_ptr 0
		.amdhsa_user_sgpr_queue_ptr 0
		.amdhsa_user_sgpr_kernarg_segment_ptr 1
		.amdhsa_user_sgpr_dispatch_id 0
		.amdhsa_user_sgpr_flat_scratch_init 0
		.amdhsa_user_sgpr_kernarg_preload_length 0
		.amdhsa_user_sgpr_kernarg_preload_offset 0
		.amdhsa_user_sgpr_private_segment_size 0
		.amdhsa_uses_dynamic_stack 0
		.amdhsa_system_sgpr_private_segment_wavefront_offset 0
		.amdhsa_system_sgpr_workgroup_id_x 1
		.amdhsa_system_sgpr_workgroup_id_y 1
		.amdhsa_system_sgpr_workgroup_id_z 1
		.amdhsa_system_sgpr_workgroup_info 0
		.amdhsa_system_vgpr_workitem_id 0
		.amdhsa_next_free_vgpr 17
		.amdhsa_next_free_sgpr 20
		.amdhsa_accum_offset 20
		.amdhsa_reserve_vcc 1
		.amdhsa_reserve_flat_scratch 0
		.amdhsa_float_round_mode_32 0
		.amdhsa_float_round_mode_16_64 0
		.amdhsa_float_denorm_mode_32 3
		.amdhsa_float_denorm_mode_16_64 3
		.amdhsa_dx10_clamp 1
		.amdhsa_ieee_mode 1
		.amdhsa_fp16_overflow 0
		.amdhsa_tg_split 0
		.amdhsa_exception_fp_ieee_invalid_op 0
		.amdhsa_exception_fp_denorm_src 0
		.amdhsa_exception_fp_ieee_div_zero 0
		.amdhsa_exception_fp_ieee_overflow 0
		.amdhsa_exception_fp_ieee_underflow 0
		.amdhsa_exception_fp_ieee_inexact 0
		.amdhsa_exception_int_div_zero 0
	.end_amdhsa_kernel
	.section	.text._ZL33flash_attn_stream_k_fixup_uniformILi256ELi4ELi2EEvPfPK15HIP_vector_typeIfLj2EEiiiiiiS1_IjLj3EES5_S5_,"axG",@progbits,_ZL33flash_attn_stream_k_fixup_uniformILi256ELi4ELi2EEvPfPK15HIP_vector_typeIfLj2EEiiiiiiS1_IjLj3EES5_S5_,comdat
.Lfunc_end34:
	.size	_ZL33flash_attn_stream_k_fixup_uniformILi256ELi4ELi2EEvPfPK15HIP_vector_typeIfLj2EEiiiiiiS1_IjLj3EES5_S5_, .Lfunc_end34-_ZL33flash_attn_stream_k_fixup_uniformILi256ELi4ELi2EEvPfPK15HIP_vector_typeIfLj2EEiiiiiiS1_IjLj3EES5_S5_
                                        ; -- End function
	.section	.AMDGPU.csdata,"",@progbits
; Kernel info:
; codeLenInByte = 856
; NumSgprs: 24
; NumVgprs: 17
; NumAgprs: 0
; TotalNumVgprs: 17
; ScratchSize: 0
; MemoryBound: 0
; FloatMode: 240
; IeeeMode: 1
; LDSByteSize: 0 bytes/workgroup (compile time only)
; SGPRBlocks: 2
; VGPRBlocks: 2
; NumSGPRsForWavesPerEU: 24
; NumVGPRsForWavesPerEU: 17
; AccumOffset: 20
; Occupancy: 8
; WaveLimiterHint : 0
; COMPUTE_PGM_RSRC2:SCRATCH_EN: 0
; COMPUTE_PGM_RSRC2:USER_SGPR: 6
; COMPUTE_PGM_RSRC2:TRAP_HANDLER: 0
; COMPUTE_PGM_RSRC2:TGID_X_EN: 1
; COMPUTE_PGM_RSRC2:TGID_Y_EN: 1
; COMPUTE_PGM_RSRC2:TGID_Z_EN: 1
; COMPUTE_PGM_RSRC2:TIDIG_COMP_CNT: 0
; COMPUTE_PGM_RSRC3_GFX90A:ACCUM_OFFSET: 4
; COMPUTE_PGM_RSRC3_GFX90A:TG_SPLIT: 0
	.section	.text._ZL33flash_attn_stream_k_fixup_generalILi256ELi4ELi2EEvPfPK15HIP_vector_typeIfLj2EEiiiiS1_IjLj3EES5_S5_S5_,"axG",@progbits,_ZL33flash_attn_stream_k_fixup_generalILi256ELi4ELi2EEvPfPK15HIP_vector_typeIfLj2EEiiiiS1_IjLj3EES5_S5_S5_,comdat
	.globl	_ZL33flash_attn_stream_k_fixup_generalILi256ELi4ELi2EEvPfPK15HIP_vector_typeIfLj2EEiiiiS1_IjLj3EES5_S5_S5_ ; -- Begin function _ZL33flash_attn_stream_k_fixup_generalILi256ELi4ELi2EEvPfPK15HIP_vector_typeIfLj2EEiiiiS1_IjLj3EES5_S5_S5_
	.p2align	8
	.type	_ZL33flash_attn_stream_k_fixup_generalILi256ELi4ELi2EEvPfPK15HIP_vector_typeIfLj2EEiiiiS1_IjLj3EES5_S5_S5_,@function
_ZL33flash_attn_stream_k_fixup_generalILi256ELi4ELi2EEvPfPK15HIP_vector_typeIfLj2EEiiiiS1_IjLj3EES5_S5_S5_: ; @_ZL33flash_attn_stream_k_fixup_generalILi256ELi4ELi2EEvPfPK15HIP_vector_typeIfLj2EEiiiiS1_IjLj3EES5_S5_S5_
; %bb.0:
	s_load_dwordx4 s[12:15], s[4:5], 0x10
	s_load_dword s9, s[4:5], 0x50
	s_mov_b32 s2, 0
	s_waitcnt lgkmcnt(0)
	s_mul_hi_i32 s3, s15, s6
	s_cmp_lg_u64 s[2:3], 0
	s_mul_i32 s2, s15, s6
	s_cbranch_scc0 .LBB35_21
; %bb.1:
	v_cvt_f32_u32_e32 v1, s9
	v_cvt_f32_ubyte0_e32 v2, 0
	s_sub_u32 s10, 0, s9
	s_subb_u32 s11, 0, 0
	v_madmk_f32 v1, v2, 0x4f800000, v1
	v_rcp_f32_e32 v1, v1
	v_mul_f32_e32 v1, 0x5f7ffffc, v1
	v_mul_f32_e32 v2, 0x2f800000, v1
	v_trunc_f32_e32 v2, v2
	v_madmk_f32 v1, v2, 0xcf800000, v1
	v_cvt_u32_f32_e32 v2, v2
	v_cvt_u32_f32_e32 v1, v1
	v_readfirstlane_b32 s16, v2
	v_readfirstlane_b32 s17, v1
	s_mul_i32 s18, s10, s16
	s_mul_hi_u32 s20, s10, s17
	s_mul_i32 s19, s11, s17
	s_add_i32 s18, s20, s18
	s_add_i32 s18, s18, s19
	s_mul_i32 s21, s10, s17
	s_mul_hi_u32 s19, s17, s18
	s_mul_i32 s20, s17, s18
	s_mul_hi_u32 s17, s17, s21
	s_add_u32 s17, s17, s20
	s_addc_u32 s19, 0, s19
	s_mul_hi_u32 s22, s16, s21
	s_mul_i32 s21, s16, s21
	s_add_u32 s17, s17, s21
	s_mul_hi_u32 s20, s16, s18
	s_addc_u32 s17, s19, s22
	s_addc_u32 s19, s20, 0
	s_mul_i32 s18, s16, s18
	s_add_u32 s17, s17, s18
	s_addc_u32 s18, 0, s19
	v_add_co_u32_e32 v1, vcc, s17, v1
	s_cmp_lg_u64 vcc, 0
	s_addc_u32 s16, s16, s18
	v_readfirstlane_b32 s18, v1
	s_mul_i32 s17, s10, s16
	s_mul_hi_u32 s19, s10, s18
	s_add_i32 s17, s19, s17
	s_mul_i32 s11, s11, s18
	s_add_i32 s17, s17, s11
	s_mul_i32 s10, s10, s18
	s_mul_hi_u32 s19, s16, s10
	s_mul_i32 s20, s16, s10
	s_mul_i32 s22, s18, s17
	s_mul_hi_u32 s10, s18, s10
	s_mul_hi_u32 s21, s18, s17
	s_add_u32 s10, s10, s22
	s_addc_u32 s18, 0, s21
	s_add_u32 s10, s10, s20
	s_mul_hi_u32 s11, s16, s17
	s_addc_u32 s10, s18, s19
	s_addc_u32 s11, s11, 0
	s_mul_i32 s17, s16, s17
	s_add_u32 s10, s10, s17
	s_addc_u32 s11, 0, s11
	v_add_co_u32_e32 v1, vcc, s10, v1
	s_cmp_lg_u64 vcc, 0
	s_addc_u32 s18, s16, s11
	s_ashr_i32 s10, s3, 31
	s_add_u32 s16, s2, s10
	s_mov_b32 s11, s10
	s_addc_u32 s17, s3, s10
	s_xor_b64 s[16:17], s[16:17], s[10:11]
	v_readfirstlane_b32 s20, v1
	s_mul_i32 s19, s16, s18
	s_mul_hi_u32 s21, s16, s20
	s_mul_hi_u32 s3, s16, s18
	s_add_u32 s19, s21, s19
	s_addc_u32 s3, 0, s3
	s_mul_hi_u32 s22, s17, s20
	s_mul_i32 s20, s17, s20
	s_add_u32 s19, s19, s20
	s_mul_hi_u32 s21, s17, s18
	s_addc_u32 s3, s3, s22
	s_addc_u32 s19, s21, 0
	s_mul_i32 s18, s17, s18
	s_add_u32 s3, s3, s18
	s_addc_u32 s18, 0, s19
	s_add_u32 s19, s3, 1
	s_addc_u32 s20, s18, 0
	s_add_u32 s21, s3, 2
	s_mul_i32 s23, s9, s18
	s_mul_hi_u32 s24, s9, s3
	s_addc_u32 s22, s18, 0
	s_add_i32 s24, s24, s23
	s_mul_i32 s23, s9, s3
	v_mov_b32_e32 v1, s23
	v_sub_co_u32_e32 v1, vcc, s16, v1
	s_cmp_lg_u64 vcc, 0
	s_subb_u32 s16, s17, s24
	v_subrev_co_u32_e32 v2, vcc, s9, v1
	s_cmp_lg_u64 vcc, 0
	s_subb_u32 s17, s16, 0
	v_readfirstlane_b32 s23, v2
	s_cmp_ge_u32 s23, s9
	s_cselect_b32 s23, -1, 0
	s_cmp_eq_u32 s17, 0
	s_cselect_b32 s17, s23, -1
	s_cmp_lg_u32 s17, 0
	s_cselect_b32 s17, s22, s20
	v_readfirstlane_b32 s20, v1
	s_cselect_b32 s19, s21, s19
	s_cmp_ge_u32 s20, s9
	s_cselect_b32 s20, -1, 0
	s_cmp_eq_u32 s16, 0
	s_cselect_b32 s16, s20, -1
	s_cmp_lg_u32 s16, 0
	s_cselect_b32 s17, s17, s18
	s_cselect_b32 s16, s19, s3
	s_xor_b64 s[16:17], s[16:17], s[10:11]
	s_sub_u32 s20, s16, s10
	s_load_dwordx4 s[16:19], s[4:5], 0x44
	s_cbranch_execnz .LBB35_3
.LBB35_2:
	v_cvt_f32_u32_e32 v1, s9
	s_sub_i32 s0, 0, s9
	v_rcp_iflag_f32_e32 v1, v1
	v_mul_f32_e32 v1, 0x4f7ffffe, v1
	v_cvt_u32_f32_e32 v1, v1
	v_readfirstlane_b32 s1, v1
	s_mul_i32 s0, s0, s1
	s_mul_hi_u32 s0, s1, s0
	s_add_i32 s1, s1, s0
	s_mul_hi_u32 s0, s2, s1
	s_mul_i32 s3, s0, s9
	s_sub_i32 s2, s2, s3
	s_add_i32 s1, s0, 1
	s_sub_i32 s3, s2, s9
	s_cmp_ge_u32 s2, s9
	s_cselect_b32 s0, s1, s0
	s_cselect_b32 s2, s3, s2
	s_add_i32 s1, s0, 1
	s_cmp_ge_u32 s2, s9
	s_cselect_b32 s20, s1, s0
.LBB35_3:
	s_add_i32 s0, s6, 1
	s_mul_hi_i32 s3, s15, s0
	s_mov_b32 s2, 0
	s_cmp_lg_u64 s[2:3], 0
	s_mul_i32 s2, s15, s0
	s_cbranch_scc0 .LBB35_22
; %bb.4:
	v_cvt_f32_u32_e32 v1, s9
	v_cvt_f32_ubyte0_e32 v2, 0
	s_sub_u32 s10, 0, s9
	s_subb_u32 s11, 0, 0
	v_madmk_f32 v1, v2, 0x4f800000, v1
	v_rcp_f32_e32 v1, v1
	v_mul_f32_e32 v1, 0x5f7ffffc, v1
	v_mul_f32_e32 v2, 0x2f800000, v1
	v_trunc_f32_e32 v2, v2
	v_madmk_f32 v1, v2, 0xcf800000, v1
	v_cvt_u32_f32_e32 v2, v2
	v_cvt_u32_f32_e32 v1, v1
	s_waitcnt lgkmcnt(0)
	v_readfirstlane_b32 s19, v2
	v_readfirstlane_b32 s21, v1
	s_mul_i32 s22, s10, s19
	s_mul_hi_u32 s24, s10, s21
	s_mul_i32 s23, s11, s21
	s_add_i32 s22, s24, s22
	s_add_i32 s22, s22, s23
	s_mul_i32 s25, s10, s21
	s_mul_hi_u32 s23, s21, s22
	s_mul_i32 s24, s21, s22
	s_mul_hi_u32 s21, s21, s25
	s_add_u32 s21, s21, s24
	s_addc_u32 s23, 0, s23
	s_mul_hi_u32 s26, s19, s25
	s_mul_i32 s25, s19, s25
	s_add_u32 s21, s21, s25
	s_mul_hi_u32 s24, s19, s22
	s_addc_u32 s21, s23, s26
	s_addc_u32 s23, s24, 0
	s_mul_i32 s22, s19, s22
	s_add_u32 s21, s21, s22
	s_addc_u32 s22, 0, s23
	v_add_co_u32_e32 v1, vcc, s21, v1
	s_cmp_lg_u64 vcc, 0
	s_addc_u32 s19, s19, s22
	v_readfirstlane_b32 s22, v1
	s_mul_i32 s21, s10, s19
	s_mul_hi_u32 s23, s10, s22
	s_add_i32 s21, s23, s21
	s_mul_i32 s11, s11, s22
	s_add_i32 s21, s21, s11
	s_mul_i32 s10, s10, s22
	s_mul_hi_u32 s23, s19, s10
	s_mul_i32 s24, s19, s10
	s_mul_i32 s26, s22, s21
	s_mul_hi_u32 s10, s22, s10
	s_mul_hi_u32 s25, s22, s21
	s_add_u32 s10, s10, s26
	s_addc_u32 s22, 0, s25
	s_add_u32 s10, s10, s24
	s_mul_hi_u32 s11, s19, s21
	s_addc_u32 s10, s22, s23
	s_addc_u32 s11, s11, 0
	s_mul_i32 s21, s19, s21
	s_add_u32 s10, s10, s21
	s_addc_u32 s11, 0, s11
	v_add_co_u32_e32 v1, vcc, s10, v1
	s_cmp_lg_u64 vcc, 0
	s_addc_u32 s19, s19, s11
	s_ashr_i32 s10, s3, 31
	s_add_u32 s22, s2, s10
	s_mov_b32 s11, s10
	s_addc_u32 s23, s3, s10
	s_xor_b64 s[22:23], s[22:23], s[10:11]
	v_readfirstlane_b32 s21, v1
	s_mul_i32 s11, s22, s19
	s_mul_hi_u32 s24, s22, s21
	s_mul_hi_u32 s3, s22, s19
	s_add_u32 s11, s24, s11
	s_addc_u32 s3, 0, s3
	s_mul_hi_u32 s25, s23, s21
	s_mul_i32 s21, s23, s21
	s_add_u32 s11, s11, s21
	s_mul_hi_u32 s24, s23, s19
	s_addc_u32 s3, s3, s25
	s_addc_u32 s11, s24, 0
	s_mul_i32 s19, s23, s19
	s_add_u32 s3, s3, s19
	s_addc_u32 s11, 0, s11
	s_mul_i32 s11, s9, s11
	s_mul_hi_u32 s24, s9, s3
	s_add_i32 s24, s24, s11
	s_mul_i32 s11, s9, s3
	v_mov_b32_e32 v1, s11
	s_add_u32 s19, s3, 1
	s_add_u32 s21, s3, 2
	v_sub_co_u32_e32 v1, vcc, s22, v1
	s_cmp_lg_u64 vcc, 0
	s_subb_u32 s11, s23, s24
	v_subrev_co_u32_e32 v2, vcc, s9, v1
	s_cmp_lg_u64 vcc, 0
	s_subb_u32 s22, s11, 0
	v_cmp_le_u32_e32 vcc, s9, v2
	s_cmp_eq_u32 s22, 0
	v_cndmask_b32_e64 v2, 0, -1, vcc
	s_cselect_b64 vcc, -1, 0
	v_cndmask_b32_e32 v2, -1, v2, vcc
	v_mov_b32_e32 v3, s19
	v_mov_b32_e32 v4, s21
	v_cmp_ne_u32_e32 vcc, 0, v2
	v_cndmask_b32_e32 v2, v3, v4, vcc
	v_cmp_le_u32_e32 vcc, s9, v1
	s_cmp_eq_u32 s11, 0
	v_cndmask_b32_e64 v1, 0, -1, vcc
	s_cselect_b64 vcc, -1, 0
	v_cndmask_b32_e32 v1, -1, v1, vcc
	v_mov_b32_e32 v3, s3
	v_cmp_ne_u32_e32 vcc, 0, v1
	v_cndmask_b32_e32 v1, v3, v2, vcc
	v_xor_b32_e32 v1, s10, v1
	v_subrev_co_u32_e32 v2, vcc, s10, v1
	s_cbranch_execnz .LBB35_6
.LBB35_5:
	v_cvt_f32_u32_e32 v1, s9
	s_sub_i32 s0, 0, s9
	s_mov_b32 s1, 0
	v_rcp_iflag_f32_e32 v1, v1
	v_mul_f32_e32 v1, 0x4f7ffffe, v1
	v_cvt_u32_f32_e32 v1, v1
	v_readfirstlane_b32 s3, v1
	s_mul_i32 s0, s0, s3
	s_mul_hi_u32 s0, s3, s0
	s_add_i32 s3, s3, s0
	s_mul_hi_u32 s0, s2, s3
	s_mul_i32 s10, s0, s9
	s_sub_i32 s2, s2, s10
	s_add_i32 s3, s0, 1
	s_sub_i32 s10, s2, s9
	s_cmp_ge_u32 s2, s9
	s_cselect_b32 s0, s3, s0
	s_cselect_b32 s2, s10, s2
	s_add_i32 s3, s0, 1
	s_cmp_ge_u32 s2, s9
	s_cselect_b32 s0, s3, s0
	v_pk_mov_b32 v[2:3], s[0:1], s[0:1] op_sel:[0,1]
.LBB35_6:
	s_waitcnt lgkmcnt(0)
	s_mul_hi_u32 s0, s20, s16
	s_add_i32 s0, s0, s20
	v_mul_hi_u32 v1, v2, s16
	s_lshr_b32 s19, s0, s17
	v_add_u32_e32 v1, v1, v2
	s_mul_i32 s0, s19, s18
	v_lshrrev_b32_e32 v1, s17, v1
	s_cmp_eq_u32 s0, s20
	v_cmp_eq_u32_e64 s[0:1], s19, v1
	v_mul_lo_u32 v1, v1, s18
	v_cmp_eq_u32_e32 vcc, s20, v2
	s_cselect_b64 s[10:11], -1, 0
	v_cmp_ne_u32_e64 s[2:3], v1, v2
	s_and_b64 s[0:1], s[0:1], s[2:3]
	s_or_b64 s[2:3], vcc, s[10:11]
	s_or_b64 s[0:1], s[2:3], s[0:1]
	s_and_b64 vcc, exec, s[0:1]
	s_cbranch_vccnz .LBB35_24
; %bb.7:
	s_load_dwordx8 s[24:31], s[4:5], 0x20
	s_load_dword s0, s[4:5], 0x40
	s_mov_b32 s10, 0
	s_waitcnt lgkmcnt(0)
	s_mul_hi_u32 s1, s20, s24
	s_add_i32 s1, s1, s20
	s_lshr_b32 s11, s1, s25
	s_mul_i32 s1, s11, s26
	s_sub_i32 s1, s20, s1
	s_mul_hi_u32 s2, s1, s27
	s_add_i32 s2, s1, s2
	s_lshr_b32 s24, s2, s28
	s_mul_i32 s2, s24, s29
	s_sub_i32 s1, s1, s2
	;; [unrolled: 5-line block ×3, first 2 shown]
	s_mul_hi_u32 s1, s0, s16
	s_add_i32 s0, s0, s1
	s_lshr_b32 s26, s0, s17
	s_lshl_b32 s0, s26, 2
	s_lshl_b32 s25, s2, 1
	s_add_i32 s0, s0, s7
	s_cmp_lt_i32 s0, s12
	s_cselect_b64 s[0:1], -1, 0
	s_add_i32 s2, s25, s8
	s_cmp_lt_i32 s2, s14
	s_cselect_b64 s[2:3], -1, 0
	s_and_b64 s[0:1], s[0:1], s[2:3]
	s_andn2_b64 vcc, exec, s[0:1]
	s_cbranch_vccnz .LBB35_24
; %bb.8:
	s_load_dwordx4 s[0:3], s[4:5], 0x0
	s_lshl_b32 s21, s7, 1
	s_lshl_b32 s4, s9, 5
	s_mov_b32 s5, s10
	s_add_i32 s21, s21, s8
	s_lshl_b64 s[4:5], s[4:5], 2
	s_waitcnt lgkmcnt(0)
	s_add_u32 s22, s2, s4
	s_mul_i32 s4, s11, s12
	s_addc_u32 s23, s3, s5
	s_add_i32 s4, s4, s7
	s_mul_i32 s4, s4, s13
	s_mul_i32 s24, s24, s14
	s_add_i32 s4, s4, s8
	s_add_i32 s4, s4, s24
	s_mul_i32 s5, s13, s26
	s_add_i32 s4, s4, s25
	s_lshl_b32 s5, s5, 10
	s_lshl_b32 s4, s4, 8
	s_add_i32 s5, s5, s4
	v_or_b32_e32 v2, s5, v0
	v_ashrrev_i32_e32 v3, 31, v2
	v_lshlrev_b64 v[2:3], 2, v[2:3]
	v_mov_b32_e32 v1, s1
	v_add_co_u32_e32 v2, vcc, s0, v2
	v_addc_co_u32_e32 v3, vcc, v1, v3, vcc
	global_load_dword v5, v[2:3], off
	v_lshl_or_b32 v4, s21, 8, v0
	v_cvt_f32_u32_e32 v0, s9
	v_cvt_f32_ubyte0_e32 v1, 0
	s_lshl_b32 s0, s6, 3
	s_add_i32 s0, s21, s0
	v_mac_f32_e32 v0, 0x4f800000, v1
	v_rcp_f32_e32 v0, v0
	v_cvt_f32_u32_e32 v1, s9
	s_ashr_i32 s1, s0, 31
	s_lshl_b64 s[0:1], s[0:1], 3
	v_mul_f32_e32 v0, 0x5f7ffffc, v0
	v_rcp_iflag_f32_e32 v1, v1
	s_add_u32 s0, s2, s0
	v_mul_f32_e32 v9, 0x2f800000, v0
	s_addc_u32 s1, s3, s1
	v_trunc_f32_e32 v10, v9
	s_load_dwordx2 s[0:1], s[0:1], 0x0
	v_mac_f32_e32 v0, 0xcf800000, v10
	v_cvt_u32_f32_e32 v9, v0
	v_mul_f32_e32 v0, 0x4f7ffffe, v1
	v_cvt_u32_f32_e32 v10, v10
	v_cvt_u32_f32_e32 v11, v0
	s_add_i32 s8, s6, -1
	s_waitcnt lgkmcnt(0)
	v_mov_b32_e32 v6, s1
	v_mov_b32_e32 v7, s0
	v_mov_b32_e32 v8, s20
	s_mov_b32 s6, 0x3fb8aa3b
	s_mov_b32 s7, 0xc2ce8ed0
	;; [unrolled: 1-line block ×4, first 2 shown]
	v_mov_b32_e32 v12, 0x7f800000
	s_mul_hi_i32 s11, s8, s15
	s_cmp_lg_u64 s[10:11], 0
	s_mul_i32 s4, s8, s15
	s_cbranch_scc0 .LBB35_15
.LBB35_9:
	s_sub_u32 s0, 0, s9
	v_readfirstlane_b32 s5, v9
	v_readfirstlane_b32 s24, v10
	s_subb_u32 s1, 0, 0
	s_mul_hi_u32 s20, s0, s5
	s_mul_i32 s25, s0, s24
	s_mul_i32 s14, s1, s5
	s_add_i32 s20, s20, s25
	s_add_i32 s20, s20, s14
	s_mul_i32 s26, s0, s5
	s_mul_hi_u32 s14, s5, s20
	s_mul_i32 s25, s5, s20
	s_mul_hi_u32 s5, s5, s26
	s_add_u32 s5, s5, s25
	s_addc_u32 s14, 0, s14
	s_mul_hi_u32 s27, s24, s26
	s_mul_i32 s26, s24, s26
	s_add_u32 s5, s5, s26
	s_mul_hi_u32 s25, s24, s20
	s_addc_u32 s5, s14, s27
	s_addc_u32 s14, s25, 0
	s_mul_i32 s20, s24, s20
	s_add_u32 s5, s5, s20
	s_addc_u32 s14, 0, s14
	v_add_co_u32_e32 v0, vcc, s5, v9
	s_cmp_lg_u64 vcc, 0
	s_addc_u32 s5, s24, s14
	v_readfirstlane_b32 s20, v0
	s_mul_i32 s14, s0, s5
	s_mul_hi_u32 s24, s0, s20
	s_add_i32 s14, s24, s14
	s_mul_i32 s1, s1, s20
	s_add_i32 s14, s14, s1
	s_mul_i32 s0, s0, s20
	s_mul_hi_u32 s24, s5, s0
	s_mul_i32 s25, s5, s0
	s_mul_i32 s27, s20, s14
	s_mul_hi_u32 s0, s20, s0
	s_mul_hi_u32 s26, s20, s14
	s_add_u32 s0, s0, s27
	s_addc_u32 s20, 0, s26
	s_add_u32 s0, s0, s25
	s_mul_hi_u32 s1, s5, s14
	s_addc_u32 s0, s20, s24
	s_addc_u32 s1, s1, 0
	s_mul_i32 s14, s5, s14
	s_add_u32 s0, s0, s14
	s_addc_u32 s1, 0, s1
	v_add_co_u32_e32 v0, vcc, s0, v0
	s_cmp_lg_u64 vcc, 0
	s_addc_u32 s5, s5, s1
	s_ashr_i32 s0, s11, 31
	s_add_u32 s24, s4, s0
	s_mov_b32 s1, s0
	s_addc_u32 s25, s11, s0
	s_xor_b64 s[24:25], s[24:25], s[0:1]
	v_readfirstlane_b32 s14, v0
	s_mul_i32 s11, s24, s5
	s_mul_hi_u32 s20, s24, s14
	s_mul_hi_u32 s1, s24, s5
	s_add_u32 s11, s20, s11
	s_addc_u32 s1, 0, s1
	s_mul_hi_u32 s26, s25, s14
	s_mul_i32 s14, s25, s14
	s_add_u32 s11, s11, s14
	s_mul_hi_u32 s20, s25, s5
	s_addc_u32 s1, s1, s26
	s_addc_u32 s11, s20, 0
	s_mul_i32 s5, s25, s5
	s_add_u32 s1, s1, s5
	s_addc_u32 s5, 0, s11
	s_mul_i32 s5, s9, s5
	s_mul_hi_u32 s20, s9, s1
	s_add_i32 s20, s20, s5
	s_mul_i32 s5, s9, s1
	v_mov_b32_e32 v0, s5
	s_add_u32 s11, s1, 1
	s_add_u32 s14, s1, 2
	v_sub_co_u32_e32 v0, vcc, s24, v0
	s_cmp_lg_u64 vcc, 0
	s_subb_u32 s5, s25, s20
	v_subrev_co_u32_e32 v1, vcc, s9, v0
	s_cmp_lg_u64 vcc, 0
	s_subb_u32 s20, s5, 0
	v_cmp_le_u32_e32 vcc, s9, v1
	s_cmp_eq_u32 s20, 0
	v_cndmask_b32_e64 v1, 0, -1, vcc
	s_cselect_b64 vcc, -1, 0
	v_cndmask_b32_e32 v1, -1, v1, vcc
	v_mov_b32_e32 v13, s11
	v_mov_b32_e32 v14, s14
	v_cmp_ne_u32_e32 vcc, 0, v1
	v_cndmask_b32_e32 v1, v13, v14, vcc
	v_cmp_le_u32_e32 vcc, s9, v0
	s_cmp_eq_u32 s5, 0
	v_cndmask_b32_e64 v0, 0, -1, vcc
	s_cselect_b64 vcc, -1, 0
	v_cndmask_b32_e32 v0, -1, v0, vcc
	v_mov_b32_e32 v13, s1
	v_cmp_ne_u32_e32 vcc, 0, v0
	v_cndmask_b32_e32 v0, v13, v1, vcc
	v_xor_b32_e32 v0, s0, v0
	v_subrev_co_u32_e32 v0, vcc, s0, v0
	s_cbranch_execnz .LBB35_11
.LBB35_10:
	s_sub_i32 s0, 0, s9
	v_mul_lo_u32 v0, s0, v11
	v_mul_hi_u32 v0, v11, v0
	v_add_u32_e32 v0, v11, v0
	v_mul_hi_u32 v0, s4, v0
	v_mul_lo_u32 v13, v0, s9
	v_sub_u32_e32 v13, s4, v13
	v_add_u32_e32 v1, 1, v0
	v_subrev_u32_e32 v14, s9, v13
	v_cmp_le_u32_e32 vcc, s9, v13
	v_cndmask_b32_e32 v13, v13, v14, vcc
	v_cndmask_b32_e32 v0, v0, v1, vcc
	v_add_u32_e32 v1, 1, v0
	v_cmp_le_u32_e32 vcc, s9, v13
	v_cndmask_b32_e32 v0, v0, v1, vcc
.LBB35_11:
	v_cmp_ne_u32_e32 vcc, v8, v0
	s_cbranch_vccz .LBB35_14
; %bb.12:
	s_add_i32 s0, s8, s9
	s_lshl_b32 s0, s0, 3
	v_mul_hi_u32 v1, v0, s16
	s_add_i32 s0, s0, s21
	s_mov_b32 s1, s10
	v_add_u32_e32 v1, v1, v0
	s_lshl_b64 s[0:1], s[0:1], 3
	v_lshrrev_b32_e32 v1, s17, v1
	s_add_u32 s4, s2, s0
	v_mul_lo_u32 v13, v1, s18
	s_addc_u32 s5, s3, s1
	v_cmp_eq_u32_e32 vcc, v13, v0
	v_cmp_gt_u32_e64 s[0:1], s19, v1
	s_or_b64 s[0:1], s[0:1], vcc
	s_and_b64 vcc, exec, s[0:1]
	s_cbranch_vccnz .LBB35_16
; %bb.13:
	s_add_i32 s11, s8, -1
	s_mov_b64 s[0:1], 0
	s_branch .LBB35_17
.LBB35_14:
                                        ; implicit-def: $sgpr0_sgpr1
                                        ; implicit-def: $vgpr14
                                        ; implicit-def: $vgpr1
                                        ; implicit-def: $vgpr13
                                        ; implicit-def: $sgpr11
                                        ; implicit-def: $vgpr0
	s_branch .LBB35_18
.LBB35_15:
                                        ; implicit-def: $vgpr0_vgpr1
	s_branch .LBB35_10
.LBB35_16:
	s_mov_b64 s[0:1], -1
	s_mov_b32 s11, s8
	v_mov_b32_e32 v0, v8
.LBB35_17:
	v_lshl_add_u32 v14, s8, 11, v4
	v_ashrrev_i32_e32 v15, 31, v14
	v_lshlrev_b64 v[14:15], 2, v[14:15]
	v_mov_b32_e32 v1, s23
	v_add_co_u32_e32 v14, vcc, s22, v14
	v_addc_co_u32_e32 v15, vcc, v1, v15, vcc
	global_load_dword v14, v[14:15], off
	s_load_dwordx2 s[4:5], s[4:5], 0x0
	v_max_f32_e32 v1, v7, v7
	s_waitcnt lgkmcnt(0)
	v_max_f32_e64 v13, s4, s4
	v_max_f32_e32 v1, v1, v13
	v_sub_f32_e32 v13, v7, v1
	v_sub_f32_e32 v15, s4, v1
	v_mul_f32_e32 v16, 0x3fb8aa3b, v13
	v_mul_f32_e32 v17, 0x3fb8aa3b, v15
	v_fma_f32 v18, v13, s6, -v16
	v_rndne_f32_e32 v19, v16
	v_fma_f32 v20, v15, s6, -v17
	v_rndne_f32_e32 v21, v17
	v_fmac_f32_e32 v18, 0x32a5705f, v13
	v_sub_f32_e32 v16, v16, v19
	v_fmac_f32_e32 v20, 0x32a5705f, v15
	v_sub_f32_e32 v17, v17, v21
	v_add_f32_e32 v16, v16, v18
	v_cvt_i32_f32_e32 v19, v19
	v_add_f32_e32 v17, v17, v20
	v_exp_f32_e32 v16, v16
	v_cvt_i32_f32_e32 v21, v21
	v_exp_f32_e32 v17, v17
	v_cmp_ngt_f32_e32 vcc, s7, v13
	v_ldexp_f32 v16, v16, v19
	v_cndmask_b32_e32 v16, 0, v16, vcc
	v_ldexp_f32 v17, v17, v21
	v_cmp_ngt_f32_e32 vcc, s7, v15
	v_cndmask_b32_e32 v17, 0, v17, vcc
	v_cmp_nlt_f32_e32 vcc, s12, v13
	v_cndmask_b32_e32 v16, v12, v16, vcc
	v_cmp_nlt_f32_e32 vcc, s12, v15
	v_cndmask_b32_e32 v17, v12, v17, vcc
	v_cmp_le_f32_e32 vcc, s13, v13
	v_cndmask_b32_e32 v16, 0, v16, vcc
	v_cmp_le_f32_e32 vcc, s13, v15
	v_cndmask_b32_e32 v15, 0, v17, vcc
	v_mul_f32_e32 v13, s5, v15
	v_fmac_f32_e32 v13, v6, v16
	s_waitcnt vmcnt(0)
	v_mul_f32_e32 v14, v14, v15
	v_fmac_f32_e32 v14, v5, v16
	s_cbranch_execnz .LBB35_19
.LBB35_18:
	s_add_i32 s11, s8, -1
	s_mov_b64 s[0:1], 0
	v_mov_b32_e32 v0, v8
	v_mov_b32_e32 v13, v6
	;; [unrolled: 1-line block ×3, first 2 shown]
	s_waitcnt vmcnt(0)
	v_mov_b32_e32 v14, v5
.LBB35_19:
	s_andn2_b64 vcc, exec, s[0:1]
	s_cbranch_vccz .LBB35_23
; %bb.20:
	v_mov_b32_e32 v8, v0
	s_mov_b32 s8, s11
	v_mov_b32_e32 v6, v13
	v_mov_b32_e32 v7, v1
	s_waitcnt vmcnt(0)
	v_mov_b32_e32 v5, v14
	s_mul_hi_i32 s11, s8, s15
	s_cmp_lg_u64 s[10:11], 0
	s_mul_i32 s4, s8, s15
	s_cbranch_scc1 .LBB35_9
	s_branch .LBB35_15
.LBB35_21:
                                        ; implicit-def: $sgpr20_sgpr21
	s_load_dwordx4 s[16:19], s[4:5], 0x44
	s_branch .LBB35_2
.LBB35_22:
                                        ; implicit-def: $vgpr2_vgpr3
	s_branch .LBB35_5
.LBB35_23:
	v_div_scale_f32 v0, s[0:1], v13, v13, v14
	v_rcp_f32_e32 v1, v0
	v_div_scale_f32 v4, vcc, v14, v13, v14
	s_waitcnt vmcnt(0)
	v_fma_f32 v5, -v0, v1, 1.0
	v_fmac_f32_e32 v1, v5, v1
	v_mul_f32_e32 v5, v4, v1
	v_fma_f32 v6, -v0, v5, v4
	v_fmac_f32_e32 v5, v6, v1
	v_fma_f32 v0, -v0, v5, v4
	v_div_fmas_f32 v0, v0, v1, v5
	v_div_fixup_f32 v0, v0, v13, v14
	global_store_dword v[2:3], v0, off
.LBB35_24:
	s_endpgm
	.section	.rodata,"a",@progbits
	.p2align	6, 0x0
	.amdhsa_kernel _ZL33flash_attn_stream_k_fixup_generalILi256ELi4ELi2EEvPfPK15HIP_vector_typeIfLj2EEiiiiS1_IjLj3EES5_S5_S5_
		.amdhsa_group_segment_fixed_size 0
		.amdhsa_private_segment_fixed_size 0
		.amdhsa_kernarg_size 336
		.amdhsa_user_sgpr_count 6
		.amdhsa_user_sgpr_private_segment_buffer 1
		.amdhsa_user_sgpr_dispatch_ptr 0
		.amdhsa_user_sgpr_queue_ptr 0
		.amdhsa_user_sgpr_kernarg_segment_ptr 1
		.amdhsa_user_sgpr_dispatch_id 0
		.amdhsa_user_sgpr_flat_scratch_init 0
		.amdhsa_user_sgpr_kernarg_preload_length 0
		.amdhsa_user_sgpr_kernarg_preload_offset 0
		.amdhsa_user_sgpr_private_segment_size 0
		.amdhsa_uses_dynamic_stack 0
		.amdhsa_system_sgpr_private_segment_wavefront_offset 0
		.amdhsa_system_sgpr_workgroup_id_x 1
		.amdhsa_system_sgpr_workgroup_id_y 1
		.amdhsa_system_sgpr_workgroup_id_z 1
		.amdhsa_system_sgpr_workgroup_info 0
		.amdhsa_system_vgpr_workitem_id 0
		.amdhsa_next_free_vgpr 22
		.amdhsa_next_free_sgpr 32
		.amdhsa_accum_offset 24
		.amdhsa_reserve_vcc 1
		.amdhsa_reserve_flat_scratch 0
		.amdhsa_float_round_mode_32 0
		.amdhsa_float_round_mode_16_64 0
		.amdhsa_float_denorm_mode_32 3
		.amdhsa_float_denorm_mode_16_64 3
		.amdhsa_dx10_clamp 1
		.amdhsa_ieee_mode 1
		.amdhsa_fp16_overflow 0
		.amdhsa_tg_split 0
		.amdhsa_exception_fp_ieee_invalid_op 0
		.amdhsa_exception_fp_denorm_src 0
		.amdhsa_exception_fp_ieee_div_zero 0
		.amdhsa_exception_fp_ieee_overflow 0
		.amdhsa_exception_fp_ieee_underflow 0
		.amdhsa_exception_fp_ieee_inexact 0
		.amdhsa_exception_int_div_zero 0
	.end_amdhsa_kernel
	.section	.text._ZL33flash_attn_stream_k_fixup_generalILi256ELi4ELi2EEvPfPK15HIP_vector_typeIfLj2EEiiiiS1_IjLj3EES5_S5_S5_,"axG",@progbits,_ZL33flash_attn_stream_k_fixup_generalILi256ELi4ELi2EEvPfPK15HIP_vector_typeIfLj2EEiiiiS1_IjLj3EES5_S5_S5_,comdat
.Lfunc_end35:
	.size	_ZL33flash_attn_stream_k_fixup_generalILi256ELi4ELi2EEvPfPK15HIP_vector_typeIfLj2EEiiiiS1_IjLj3EES5_S5_S5_, .Lfunc_end35-_ZL33flash_attn_stream_k_fixup_generalILi256ELi4ELi2EEvPfPK15HIP_vector_typeIfLj2EEiiiiS1_IjLj3EES5_S5_S5_
                                        ; -- End function
	.section	.AMDGPU.csdata,"",@progbits
; Kernel info:
; codeLenInByte = 2824
; NumSgprs: 36
; NumVgprs: 22
; NumAgprs: 0
; TotalNumVgprs: 22
; ScratchSize: 0
; MemoryBound: 0
; FloatMode: 240
; IeeeMode: 1
; LDSByteSize: 0 bytes/workgroup (compile time only)
; SGPRBlocks: 4
; VGPRBlocks: 2
; NumSGPRsForWavesPerEU: 36
; NumVGPRsForWavesPerEU: 22
; AccumOffset: 24
; Occupancy: 8
; WaveLimiterHint : 0
; COMPUTE_PGM_RSRC2:SCRATCH_EN: 0
; COMPUTE_PGM_RSRC2:USER_SGPR: 6
; COMPUTE_PGM_RSRC2:TRAP_HANDLER: 0
; COMPUTE_PGM_RSRC2:TGID_X_EN: 1
; COMPUTE_PGM_RSRC2:TGID_Y_EN: 1
; COMPUTE_PGM_RSRC2:TGID_Z_EN: 1
; COMPUTE_PGM_RSRC2:TIDIG_COMP_CNT: 0
; COMPUTE_PGM_RSRC3_GFX90A:ACCUM_OFFSET: 5
; COMPUTE_PGM_RSRC3_GFX90A:TG_SPLIT: 0
	.section	.text._ZL15flash_attn_tileILi256ELi256ELi2ELi2ELb0EEvPKcS1_S1_S1_S1_PKiPfP15HIP_vector_typeIfLj2EEffffjfiS5_IjLj3EEiiiiiiiiiiiliiliiiiil,"axG",@progbits,_ZL15flash_attn_tileILi256ELi256ELi2ELi2ELb0EEvPKcS1_S1_S1_S1_PKiPfP15HIP_vector_typeIfLj2EEffffjfiS5_IjLj3EEiiiiiiiiiiiliiliiiiil,comdat
	.globl	_ZL15flash_attn_tileILi256ELi256ELi2ELi2ELb0EEvPKcS1_S1_S1_S1_PKiPfP15HIP_vector_typeIfLj2EEffffjfiS5_IjLj3EEiiiiiiiiiiiliiliiiiil ; -- Begin function _ZL15flash_attn_tileILi256ELi256ELi2ELi2ELb0EEvPKcS1_S1_S1_S1_PKiPfP15HIP_vector_typeIfLj2EEffffjfiS5_IjLj3EEiiiiiiiiiiiliiliiiiil
	.p2align	8
	.type	_ZL15flash_attn_tileILi256ELi256ELi2ELi2ELb0EEvPKcS1_S1_S1_S1_PKiPfP15HIP_vector_typeIfLj2EEffffjfiS5_IjLj3EEiiiiiiiiiiiliiliiiiil,@function
_ZL15flash_attn_tileILi256ELi256ELi2ELi2ELb0EEvPKcS1_S1_S1_S1_PKiPfP15HIP_vector_typeIfLj2EEffffjfiS5_IjLj3EEiiiiiiiiiiiliiliiiiil: ; @_ZL15flash_attn_tileILi256ELi256ELi2ELi2ELb0EEvPKcS1_S1_S1_S1_PKiPfP15HIP_vector_typeIfLj2EEffffjfiS5_IjLj3EEiiiiiiiiiiiliiliiiiil
; %bb.0:
	s_load_dwordx4 s[0:3], s[4:5], 0x5c
	s_load_dwordx2 s[24:25], s[4:5], 0x80
	s_load_dwordx2 s[28:29], s[4:5], 0xb8
	s_mov_b64 s[26:27], 0
	s_waitcnt lgkmcnt(0)
	s_lshr_b32 s9, s3, 31
	s_add_i32 s9, s3, s9
	s_ashr_i32 s9, s9, 1
	v_cvt_f32_u32_e32 v1, s9
	s_sub_i32 s10, 0, s9
	v_rcp_iflag_f32_e32 v1, v1
	v_mul_f32_e32 v1, 0x4f7ffffe, v1
	v_cvt_u32_f32_e32 v1, v1
	v_readfirstlane_b32 s11, v1
	s_mul_i32 s10, s10, s11
	s_mul_hi_u32 s10, s11, s10
	s_add_i32 s11, s11, s10
	s_mul_hi_u32 s10, s8, s11
	s_mul_i32 s11, s10, s9
	s_sub_i32 s11, s8, s11
	s_add_i32 s12, s10, 1
	s_sub_i32 s13, s11, s9
	s_cmp_ge_u32 s11, s9
	s_cselect_b32 s10, s12, s10
	s_cselect_b32 s11, s13, s11
	s_add_i32 s12, s10, 1
	s_cmp_ge_u32 s11, s9
	s_cselect_b32 s30, s12, s10
	s_abs_i32 s9, s25
	v_cvt_f32_u32_e32 v1, s9
	s_lshl_b32 s8, s8, 1
	s_mul_i32 s12, s30, s3
	s_xor_b32 s10, s3, s25
	v_rcp_iflag_f32_e32 v1, v1
	s_sub_i32 s13, 0, s9
	s_sub_i32 s25, s8, s12
	s_abs_i32 s11, s3
	v_mul_f32_e32 v1, 0x4f7ffffe, v1
	v_cvt_u32_f32_e32 v1, v1
	s_ashr_i32 s10, s10, 31
	v_readfirstlane_b32 s8, v1
	s_mul_i32 s13, s13, s8
	s_mul_hi_u32 s12, s8, s13
	s_add_i32 s8, s8, s12
	s_mul_hi_u32 s8, s11, s8
	s_mul_i32 s12, s8, s9
	s_sub_i32 s11, s11, s12
	s_add_i32 s13, s8, 1
	s_sub_i32 s12, s11, s9
	s_cmp_ge_u32 s11, s9
	s_cselect_b32 s8, s13, s8
	s_cselect_b32 s11, s12, s11
	s_add_i32 s12, s8, 1
	s_cmp_ge_u32 s11, s9
	s_cselect_b32 s8, s12, s8
	s_xor_b32 s8, s8, s10
	s_sub_i32 s33, s8, s10
	s_abs_i32 s31, s33
	v_cvt_f32_u32_e32 v1, s31
	s_load_dwordx16 s[8:23], s[4:5], 0x0
	v_rcp_iflag_f32_e32 v1, v1
	s_waitcnt lgkmcnt(0)
	s_cmp_eq_u64 s[14:15], 0
	v_mul_f32_e32 v1, 0x4f7ffffe, v1
	v_cvt_u32_f32_e32 v1, v1
	v_readfirstlane_b32 s34, v1
	s_cbranch_scc1 .LBB36_2
; %bb.1:
	s_abs_i32 s28, s28
	v_cvt_f32_u32_e32 v1, s28
	s_sub_i32 s37, 0, s28
	s_abs_i32 s36, s30
	s_ashr_i32 s35, s30, 31
	v_rcp_iflag_f32_e32 v1, v1
	s_load_dwordx2 s[26:27], s[4:5], 0xc8
	v_mul_f32_e32 v1, 0x4f7ffffe, v1
	v_cvt_u32_f32_e32 v1, v1
	v_readfirstlane_b32 s38, v1
	s_mul_i32 s37, s37, s38
	s_mul_hi_u32 s37, s38, s37
	s_add_i32 s38, s38, s37
	s_mul_hi_u32 s37, s36, s38
	s_mul_i32 s37, s37, s28
	s_sub_i32 s36, s36, s37
	s_sub_i32 s37, s36, s28
	s_cmp_ge_u32 s36, s28
	s_cselect_b32 s36, s37, s36
	s_sub_i32 s37, s36, s28
	s_cmp_ge_u32 s36, s28
	s_cselect_b32 s28, s37, s36
	s_xor_b32 s28, s28, s35
	s_sub_i32 s28, s28, s35
	s_ashr_i32 s35, s28, 31
	s_waitcnt lgkmcnt(0)
	s_mul_i32 s27, s28, s27
	s_mul_hi_u32 s36, s28, s26
	s_add_i32 s27, s36, s27
	s_mul_i32 s35, s35, s26
	s_add_i32 s27, s27, s35
	s_mul_i32 s28, s28, s26
	s_add_u32 s26, s14, s28
	s_addc_u32 s27, s15, s27
.LBB36_2:
	s_load_dwordx4 s[36:39], s[4:5], 0x70
	v_bfe_u32 v34, v0, 10, 10
	v_lshrrev_b32_e32 v1, 2, v34
	v_lshl_add_u32 v32, s6, 1, v1
	v_mul_hi_u32 v1, s0, v32
	s_waitcnt lgkmcnt(0)
	s_mul_i32 s14, s30, s38
	s_ashr_i32 s28, s14, 31
	s_mul_i32 s15, s25, s37
	s_add_u32 s8, s8, s14
	s_addc_u32 s9, s9, s28
	s_ashr_i32 s14, s15, 31
	s_add_u32 s8, s8, s15
	v_add_u32_e32 v1, v32, v1
	s_addc_u32 s9, s9, s14
	s_ashr_i32 s14, s37, 31
	v_mov_b32_e32 v2, s37
	v_lshrrev_b32_e32 v1, s1, v1
	v_bfe_u32 v31, v34, 1, 1
	v_alignbit_b32 v2, s14, v2, 2
	s_lshr_b32 s14, s14, 2
	v_mul_lo_u32 v1, v1, s2
	v_mul_lo_u32 v3, s14, v31
	v_sub_u32_e32 v4, v32, v1
	s_ashr_i32 s14, s36, 31
	v_mov_b32_e32 v1, s36
	v_alignbit_b32 v1, s14, v1, 2
	v_mad_u64_u32 v[6:7], s[0:1], v1, v4, 0
	v_mul_lo_u32 v2, v2, v31
	v_mov_b32_e32 v8, v7
	s_lshr_b32 s0, s14, 2
	v_mad_u64_u32 v[8:9], s[0:1], s0, v4, v[8:9]
	v_and_b32_e32 v30, 0x3ff, v0
	v_lshlrev_b64 v[0:1], 2, v[2:3]
	v_mov_b32_e32 v7, v8
	v_mov_b32_e32 v2, s9
	v_add_co_u32_e32 v3, vcc, s8, v0
	v_addc_co_u32_e32 v2, vcc, v2, v1, vcc
	v_lshlrev_b64 v[0:1], 2, v[6:7]
	v_add_co_u32_e32 v0, vcc, v3, v0
	v_addc_co_u32_e32 v1, vcc, v2, v1, vcc
	v_lshlrev_b32_e32 v2, 9, v34
	v_and_b32_e32 v2, 0x200, v2
	v_add_co_u32_e32 v0, vcc, v0, v2
	v_addc_co_u32_e32 v1, vcc, 0, v1, vcc
	v_lshlrev_b32_e32 v2, 4, v30
	v_add_co_u32_e32 v0, vcc, v0, v2
	v_addc_co_u32_e32 v1, vcc, 0, v1, vcc
	global_load_dwordx4 v[0:3], v[0:1], off
	s_load_dword s0, s[4:5], 0x40
	s_mov_b32 s1, 0
	v_lshlrev_b32_e32 v6, 6, v34
	v_lshrrev_b32_e32 v5, 1, v34
	v_and_b32_e32 v7, 64, v6
	v_lshlrev_b32_e32 v5, 7, v5
	v_lshl_add_u32 v7, v30, 1, v7
	s_cmp_eq_u64 s[18:19], 0
	s_waitcnt vmcnt(0) lgkmcnt(0)
	v_pk_mul_f32 v[0:1], v[0:1], s[0:1] op_sel_hi:[1,0]
	v_pk_mul_f32 v[2:3], v[2:3], s[0:1] op_sel_hi:[1,0]
	v_cvt_f16_f32_e32 v8, v1
	v_cvt_f16_f32_e32 v1, v3
	;; [unrolled: 1-line block ×4, first 2 shown]
	v_add_lshl_u32 v3, v7, v5, 2
	v_pack_b32_f16 v1, v2, v1
	v_pack_b32_f16 v0, v0, v8
	ds_write_b64 v3, v[0:1] offset:17408
	s_waitcnt lgkmcnt(0)
	s_barrier
	s_cbranch_scc1 .LBB36_4
; %bb.3:
	s_load_dword s0, s[4:5], 0xd0
	s_waitcnt lgkmcnt(0)
	s_mul_i32 s0, s0, s30
	s_add_i32 s0, s0, s6
	s_lshl_b64 s[0:1], s[0:1], 2
	s_add_u32 s0, s18, s0
	s_addc_u32 s1, s19, s1
	s_load_dword s24, s[0:1], 0x0
.LBB36_4:
	s_lshl_b32 s6, s7, 6
	v_lshlrev_b32_e32 v33, 2, v30
	s_waitcnt lgkmcnt(0)
	s_cmp_lt_i32 s6, s24
	v_mbcnt_lo_u32_b32 v14, -1, 0
	v_and_b32_e32 v36, 1, v34
	s_cbranch_scc1 .LBB36_6
; %bb.5:
	v_mbcnt_hi_u32_b32 v5, -1, v14
	v_and_b32_e32 v0, 0x60, v5
	s_mov_b32 s8, 0
	v_add_u32_e32 v37, 32, v0
	v_xor_b32_e32 v42, 16, v5
	v_xor_b32_e32 v41, 8, v5
	;; [unrolled: 1-line block ×5, first 2 shown]
	v_and_b32_e32 v7, 1, v34
	s_mov_b64 s[0:1], 0
	s_mov_b32 s9, 0xfeffffff
	s_branch .LBB36_7
.LBB36_6:
	s_mov_b64 s[0:1], -1
                                        ; implicit-def: $sgpr9
                                        ; implicit-def: $sgpr8
                                        ; implicit-def: $vgpr5
                                        ; implicit-def: $vgpr37
                                        ; implicit-def: $vgpr42
                                        ; implicit-def: $vgpr41
                                        ; implicit-def: $vgpr40
                                        ; implicit-def: $vgpr39
                                        ; implicit-def: $vgpr38
                                        ; implicit-def: $vgpr7
.LBB36_7:
	s_andn2_b64 vcc, exec, s[0:1]
	v_mov_b32_e32 v22, s9
	v_mov_b32_e32 v59, s8
	;; [unrolled: 1-line block ×3, first 2 shown]
	v_lshlrev_b32_e32 v35, 2, v33
	v_mov_b32_e32 v2, s8
	v_mov_b32_e32 v1, s8
	;; [unrolled: 1-line block ×3, first 2 shown]
	s_cbranch_vccnz .LBB36_14
; %bb.8:
	s_sub_i32 s0, 0, s31
	s_mul_i32 s0, s0, s34
	s_mul_hi_u32 s0, s34, s0
	s_add_i32 s34, s34, s0
	s_load_dwordx2 s[0:1], s[4:5], 0x8c
	s_load_dwordx4 s[36:39], s[4:5], 0x98
	s_abs_i32 s18, s25
	s_mul_hi_u32 s19, s18, s34
	s_ashr_i32 s28, s25, 31
	s_waitcnt lgkmcnt(0)
	s_ashr_i32 s15, s0, 2
	s_ashr_i32 s0, s30, 31
	s_mul_i32 s34, s30, s37
	s_mul_hi_u32 s35, s30, s36
	s_add_i32 s34, s35, s34
	s_mul_i32 s35, s0, s36
	s_ashr_i32 s33, s33, 31
	s_ashr_i32 s14, s38, 2
	;; [unrolled: 1-line block ×3, first 2 shown]
	s_add_i32 s34, s34, s35
	s_mul_i32 s35, s30, s36
	s_add_u32 s10, s10, s35
	s_addc_u32 s11, s11, s34
	s_xor_b32 s28, s28, s33
	s_mul_i32 s33, s19, s31
	s_sub_i32 s18, s18, s33
	s_add_i32 s33, s19, 1
	s_sub_i32 s34, s18, s31
	s_cmp_ge_u32 s18, s31
	s_cselect_b32 s19, s33, s19
	s_cselect_b32 s18, s34, s18
	s_add_i32 s33, s19, 1
	s_cmp_ge_u32 s18, s31
	s_load_dwordx2 s[8:9], s[4:5], 0xa8
	s_cselect_b32 s18, s33, s19
	s_xor_b32 s18, s18, s28
	s_sub_i32 s18, s18, s28
	s_mul_i32 s1, s18, s1
	s_ashr_i32 s19, s1, 31
	s_add_u32 s10, s10, s1
	s_waitcnt lgkmcnt(0)
	s_mul_i32 s1, s30, s9
	s_mul_hi_u32 s9, s30, s8
	s_addc_u32 s11, s11, s19
	s_add_i32 s1, s9, s1
	s_mul_i32 s0, s0, s8
	s_add_i32 s1, s1, s0
	s_mul_i32 s0, s30, s8
	s_add_u32 s0, s12, s0
	s_mul_i32 s18, s18, s39
	s_addc_u32 s1, s13, s1
	s_ashr_i32 s8, s18, 31
	v_lshrrev_b32_e32 v0, 4, v30
	v_and_b32_e32 v2, 60, v33
	s_add_u32 s12, s0, s18
	v_lshl_add_u32 v1, v34, 1, v0
	v_lshlrev_b32_e32 v3, 2, v2
	s_movk_i32 s0, 0x110
	s_addc_u32 s13, s1, s8
	v_mad_u32_u24 v43, v1, s0, v3
	v_mul_lo_u32 v8, s15, v1
	s_lshl_b32 s0, s15, 4
	v_lshlrev_b32_e32 v1, 5, v34
	v_add_u32_e32 v10, s0, v8
	v_and_b32_e32 v1, 32, v1
	v_add_u32_e32 v12, s0, v10
	v_add_u32_e32 v18, v1, v30
	;; [unrolled: 1-line block ×3, first 2 shown]
	v_and_b32_e32 v1, 0xff80, v6
	v_mov_b32_e32 v3, 0x4400
	v_mad_u64_u32 v[4:5], s[0:1], v4, s29, v[18:19]
	v_lshl_add_u32 v48, v1, 2, v3
	v_and_b32_e32 v5, 1, v30
	s_movk_i32 s0, 0x3fe
	v_add_u32_e32 v1, 0x4c00, v1
	v_mul_u32_u24_e32 v47, 0x110, v18
	v_and_or_b32 v5, v34, s0, v5
	v_lshl_add_u32 v51, v18, 1, v1
	v_mul_lo_u32 v18, s14, v34
	s_lshl_b32 s0, s14, 3
	v_add_u32_e32 v20, s0, v18
	v_mov_b32_e32 v3, 0x4e00
	v_add_u32_e32 v22, s0, v20
	v_lshl_add_u32 v50, v5, 2, v3
	v_add_u32_e32 v24, s0, v22
	v_lshlrev_b32_e32 v57, 9, v36
	v_mbcnt_hi_u32_b32 v5, -1, v14
	v_mov_b32_e32 v0, 0
	v_ashrrev_i32_e32 v9, 31, v8
	v_ashrrev_i32_e32 v11, 31, v10
	;; [unrolled: 1-line block ×4, first 2 shown]
	v_lshl_add_u32 v49, v34, 2, v3
	v_lshl_add_u32 v52, v34, 9, v35
	v_ashrrev_i32_e32 v19, 31, v18
	v_ashrrev_i32_e32 v21, 31, v20
	v_ashrrev_i32_e32 v23, 31, v22
	v_ashrrev_i32_e32 v25, 31, v24
	v_lshlrev_b32_e32 v56, 3, v30
	v_lshl_or_b32 v58, v36, 1, v1
	v_or_b32_e32 v1, 0x400, v57
	v_or_b32_e32 v3, 0x800, v57
	;; [unrolled: 1-line block ×15, first 2 shown]
	s_add_u32 s8, s4, 0xd0
	v_lshlrev_b32_e32 v60, 2, v2
	v_and_b32_e32 v2, 0x60, v5
	v_add_u32_e32 v44, 0x1100, v43
	v_add_u32_e32 v45, 0x2200, v43
	v_add_u32_e32 v46, 0x3300, v43
	v_cmp_eq_u32_e32 vcc, 0, v30
	v_add_u32_e32 v53, 0x1000, v52
	v_add_u32_e32 v54, 0x2000, v52
	;; [unrolled: 1-line block ×3, first 2 shown]
	s_addc_u32 s9, s5, 0
	v_mov_b32_e32 v78, 0xfeffffff
	v_lshlrev_b64 v[6:7], 2, v[8:9]
	v_lshlrev_b64 v[8:9], 2, v[10:11]
	;; [unrolled: 1-line block ×4, first 2 shown]
	v_mov_b32_e32 v61, s27
	v_add_u32_e32 v37, 32, v2
	v_xor_b32_e32 v42, 16, v5
	v_xor_b32_e32 v41, 8, v5
	;; [unrolled: 1-line block ×5, first 2 shown]
	s_mov_b32 s18, 0x3fb8aa3b
	s_mov_b32 s19, 0xc2ce8ed0
	;; [unrolled: 1-line block ×3, first 2 shown]
	v_lshlrev_b64 v[14:15], 2, v[18:19]
	v_lshlrev_b64 v[16:17], 2, v[20:21]
	;; [unrolled: 1-line block ×4, first 2 shown]
	v_add_u32_e32 v62, v56, v1
	v_add_u32_e32 v63, v56, v3
	;; [unrolled: 1-line block ×15, first 2 shown]
	v_mov_b32_e32 v77, 0x7f800000
	v_mov_b32_e32 v1, v0
	;; [unrolled: 1-line block ×5, first 2 shown]
.LBB36_9:                               ; =>This Inner Loop Header: Depth=1
	s_mul_hi_i32 s1, s6, s15
	s_mul_i32 s0, s6, s15
	s_lshl_b64 s[0:1], s[0:1], 2
	s_add_u32 s28, s10, s0
	s_addc_u32 s29, s11, s1
	v_mov_b32_e32 v22, s29
	v_add_co_u32_e64 v23, s[0:1], s28, v6
	v_addc_co_u32_e64 v24, s[0:1], v22, v7, s[0:1]
	v_add_co_u32_e64 v22, s[0:1], v23, v60
	v_addc_co_u32_e64 v23, s[0:1], 0, v24, s[0:1]
	v_mov_b32_e32 v24, s29
	v_add_co_u32_e64 v25, s[0:1], s28, v8
	v_addc_co_u32_e64 v26, s[0:1], v24, v9, s[0:1]
	v_add_co_u32_e64 v24, s[0:1], v25, v60
	v_addc_co_u32_e64 v25, s[0:1], 0, v26, s[0:1]
	;; [unrolled: 5-line block ×3, first 2 shown]
	v_mov_b32_e32 v28, s29
	v_add_co_u32_e64 v29, s[0:1], s28, v12
	v_addc_co_u32_e64 v79, s[0:1], v28, v13, s[0:1]
	v_add_co_u32_e64 v28, s[0:1], v29, v60
	global_load_dwordx4 v[80:83], v[22:23], off
	global_load_dwordx4 v[84:87], v[24:25], off
	v_addc_co_u32_e64 v29, s[0:1], 0, v79, s[0:1]
	global_load_dwordx4 v[88:91], v[26:27], off
	global_load_dwordx4 v[92:95], v[28:29], off
	v_mov_b32_e32 v79, 0
	s_waitcnt vmcnt(3)
	ds_write_b128 v43, v[80:83]
	s_waitcnt vmcnt(2)
	ds_write_b128 v44, v[84:87]
	s_waitcnt vmcnt(1)
	ds_write_b128 v45, v[88:91]
	s_waitcnt vmcnt(0)
	ds_write_b128 v46, v[92:95]
	s_waitcnt lgkmcnt(0)
	s_barrier
	ds_read_b128 v[80:83], v47
	ds_read_b128 v[84:87], v48
	s_waitcnt lgkmcnt(0)
	;;#ASMSTART
	v_dot2_f32_f16 v79, v80, v84, v79
	;;#ASMEND
	;;#ASMSTART
	v_dot2_f32_f16 v79, v81, v85, v79
	;;#ASMEND
	;;#ASMSTART
	v_dot2_f32_f16 v79, v82, v86, v79
	;;#ASMEND
	;;#ASMSTART
	v_dot2_f32_f16 v79, v83, v87, v79
	;;#ASMEND
	ds_read_b128 v[80:83], v47 offset:16
	ds_read_b128 v[84:87], v48 offset:16
	s_waitcnt lgkmcnt(0)
	;;#ASMSTART
	v_dot2_f32_f16 v79, v80, v84, v79
	;;#ASMEND
	;;#ASMSTART
	v_dot2_f32_f16 v79, v81, v85, v79
	;;#ASMEND
	;;#ASMSTART
	v_dot2_f32_f16 v79, v82, v86, v79
	;;#ASMEND
	;;#ASMSTART
	v_dot2_f32_f16 v79, v83, v87, v79
	;;#ASMEND
	ds_read_b128 v[80:83], v47 offset:32
	ds_read_b128 v[84:87], v48 offset:32
	;; [unrolled: 15-line block ×15, first 2 shown]
	s_waitcnt lgkmcnt(0)
	;;#ASMSTART
	v_dot2_f32_f16 v79, v80, v84, v79
	;;#ASMEND
	;;#ASMSTART
	v_dot2_f32_f16 v79, v81, v85, v79
	;;#ASMEND
	;; [unrolled: 3-line block ×4, first 2 shown]
	s_barrier
	global_load_dwordx4 v[80:83], v[22:23], off offset:256
	global_load_dwordx4 v[84:87], v[24:25], off offset:256
	;; [unrolled: 1-line block ×4, first 2 shown]
	s_waitcnt vmcnt(3)
	ds_write_b128 v43, v[80:83]
	s_waitcnt vmcnt(2)
	ds_write_b128 v44, v[84:87]
	;; [unrolled: 2-line block ×4, first 2 shown]
	s_waitcnt lgkmcnt(0)
	s_barrier
	ds_read_b128 v[22:25], v47
	ds_read_b128 v[26:29], v48 offset:256
	s_waitcnt lgkmcnt(0)
	;;#ASMSTART
	v_dot2_f32_f16 v79, v22, v26, v79
	;;#ASMEND
	;;#ASMSTART
	v_dot2_f32_f16 v79, v23, v27, v79
	;;#ASMEND
	;;#ASMSTART
	v_dot2_f32_f16 v79, v24, v28, v79
	;;#ASMEND
	;;#ASMSTART
	v_dot2_f32_f16 v79, v25, v29, v79
	;;#ASMEND
	ds_read_b128 v[22:25], v47 offset:16
	ds_read_b128 v[26:29], v48 offset:272
	s_waitcnt lgkmcnt(0)
	;;#ASMSTART
	v_dot2_f32_f16 v79, v22, v26, v79
	;;#ASMEND
	;;#ASMSTART
	v_dot2_f32_f16 v79, v23, v27, v79
	;;#ASMEND
	;;#ASMSTART
	v_dot2_f32_f16 v79, v24, v28, v79
	;;#ASMEND
	;;#ASMSTART
	v_dot2_f32_f16 v79, v25, v29, v79
	;;#ASMEND
	ds_read_b128 v[22:25], v47 offset:32
	ds_read_b128 v[26:29], v48 offset:288
	s_waitcnt lgkmcnt(0)
	;;#ASMSTART
	v_dot2_f32_f16 v79, v22, v26, v79
	;;#ASMEND
	;;#ASMSTART
	v_dot2_f32_f16 v79, v23, v27, v79
	;;#ASMEND
	;;#ASMSTART
	v_dot2_f32_f16 v79, v24, v28, v79
	;;#ASMEND
	;;#ASMSTART
	v_dot2_f32_f16 v79, v25, v29, v79
	;;#ASMEND
	ds_read_b128 v[22:25], v47 offset:48
	ds_read_b128 v[26:29], v48 offset:304
	s_waitcnt lgkmcnt(0)
	;;#ASMSTART
	v_dot2_f32_f16 v79, v22, v26, v79
	;;#ASMEND
	;;#ASMSTART
	v_dot2_f32_f16 v79, v23, v27, v79
	;;#ASMEND
	;;#ASMSTART
	v_dot2_f32_f16 v79, v24, v28, v79
	;;#ASMEND
	;;#ASMSTART
	v_dot2_f32_f16 v79, v25, v29, v79
	;;#ASMEND
	ds_read_b128 v[22:25], v47 offset:64
	ds_read_b128 v[26:29], v48 offset:320
	s_waitcnt lgkmcnt(0)
	;;#ASMSTART
	v_dot2_f32_f16 v79, v22, v26, v79
	;;#ASMEND
	;;#ASMSTART
	v_dot2_f32_f16 v79, v23, v27, v79
	;;#ASMEND
	;;#ASMSTART
	v_dot2_f32_f16 v79, v24, v28, v79
	;;#ASMEND
	;;#ASMSTART
	v_dot2_f32_f16 v79, v25, v29, v79
	;;#ASMEND
	ds_read_b128 v[22:25], v47 offset:80
	ds_read_b128 v[26:29], v48 offset:336
	s_waitcnt lgkmcnt(0)
	;;#ASMSTART
	v_dot2_f32_f16 v79, v22, v26, v79
	;;#ASMEND
	;;#ASMSTART
	v_dot2_f32_f16 v79, v23, v27, v79
	;;#ASMEND
	;;#ASMSTART
	v_dot2_f32_f16 v79, v24, v28, v79
	;;#ASMEND
	;;#ASMSTART
	v_dot2_f32_f16 v79, v25, v29, v79
	;;#ASMEND
	ds_read_b128 v[22:25], v47 offset:96
	ds_read_b128 v[26:29], v48 offset:352
	s_waitcnt lgkmcnt(0)
	;;#ASMSTART
	v_dot2_f32_f16 v79, v22, v26, v79
	;;#ASMEND
	;;#ASMSTART
	v_dot2_f32_f16 v79, v23, v27, v79
	;;#ASMEND
	;;#ASMSTART
	v_dot2_f32_f16 v79, v24, v28, v79
	;;#ASMEND
	;;#ASMSTART
	v_dot2_f32_f16 v79, v25, v29, v79
	;;#ASMEND
	ds_read_b128 v[22:25], v47 offset:112
	ds_read_b128 v[26:29], v48 offset:368
	s_waitcnt lgkmcnt(0)
	;;#ASMSTART
	v_dot2_f32_f16 v79, v22, v26, v79
	;;#ASMEND
	;;#ASMSTART
	v_dot2_f32_f16 v79, v23, v27, v79
	;;#ASMEND
	;;#ASMSTART
	v_dot2_f32_f16 v79, v24, v28, v79
	;;#ASMEND
	;;#ASMSTART
	v_dot2_f32_f16 v79, v25, v29, v79
	;;#ASMEND
	ds_read_b128 v[22:25], v47 offset:128
	ds_read_b128 v[26:29], v48 offset:384
	s_waitcnt lgkmcnt(0)
	;;#ASMSTART
	v_dot2_f32_f16 v79, v22, v26, v79
	;;#ASMEND
	;;#ASMSTART
	v_dot2_f32_f16 v79, v23, v27, v79
	;;#ASMEND
	;;#ASMSTART
	v_dot2_f32_f16 v79, v24, v28, v79
	;;#ASMEND
	;;#ASMSTART
	v_dot2_f32_f16 v79, v25, v29, v79
	;;#ASMEND
	ds_read_b128 v[22:25], v47 offset:144
	ds_read_b128 v[26:29], v48 offset:400
	s_waitcnt lgkmcnt(0)
	;;#ASMSTART
	v_dot2_f32_f16 v79, v22, v26, v79
	;;#ASMEND
	;;#ASMSTART
	v_dot2_f32_f16 v79, v23, v27, v79
	;;#ASMEND
	;;#ASMSTART
	v_dot2_f32_f16 v79, v24, v28, v79
	;;#ASMEND
	;;#ASMSTART
	v_dot2_f32_f16 v79, v25, v29, v79
	;;#ASMEND
	ds_read_b128 v[22:25], v47 offset:160
	ds_read_b128 v[26:29], v48 offset:416
	s_waitcnt lgkmcnt(0)
	;;#ASMSTART
	v_dot2_f32_f16 v79, v22, v26, v79
	;;#ASMEND
	;;#ASMSTART
	v_dot2_f32_f16 v79, v23, v27, v79
	;;#ASMEND
	;;#ASMSTART
	v_dot2_f32_f16 v79, v24, v28, v79
	;;#ASMEND
	;;#ASMSTART
	v_dot2_f32_f16 v79, v25, v29, v79
	;;#ASMEND
	ds_read_b128 v[22:25], v47 offset:176
	ds_read_b128 v[26:29], v48 offset:432
	s_waitcnt lgkmcnt(0)
	;;#ASMSTART
	v_dot2_f32_f16 v79, v22, v26, v79
	;;#ASMEND
	;;#ASMSTART
	v_dot2_f32_f16 v79, v23, v27, v79
	;;#ASMEND
	;;#ASMSTART
	v_dot2_f32_f16 v79, v24, v28, v79
	;;#ASMEND
	;;#ASMSTART
	v_dot2_f32_f16 v79, v25, v29, v79
	;;#ASMEND
	ds_read_b128 v[22:25], v47 offset:192
	ds_read_b128 v[26:29], v48 offset:448
	s_waitcnt lgkmcnt(0)
	;;#ASMSTART
	v_dot2_f32_f16 v79, v22, v26, v79
	;;#ASMEND
	;;#ASMSTART
	v_dot2_f32_f16 v79, v23, v27, v79
	;;#ASMEND
	;;#ASMSTART
	v_dot2_f32_f16 v79, v24, v28, v79
	;;#ASMEND
	;;#ASMSTART
	v_dot2_f32_f16 v79, v25, v29, v79
	;;#ASMEND
	ds_read_b128 v[22:25], v47 offset:208
	ds_read_b128 v[26:29], v48 offset:464
	s_waitcnt lgkmcnt(0)
	;;#ASMSTART
	v_dot2_f32_f16 v79, v22, v26, v79
	;;#ASMEND
	;;#ASMSTART
	v_dot2_f32_f16 v79, v23, v27, v79
	;;#ASMEND
	;;#ASMSTART
	v_dot2_f32_f16 v79, v24, v28, v79
	;;#ASMEND
	;;#ASMSTART
	v_dot2_f32_f16 v79, v25, v29, v79
	;;#ASMEND
	ds_read_b128 v[22:25], v47 offset:224
	ds_read_b128 v[26:29], v48 offset:480
	s_waitcnt lgkmcnt(0)
	;;#ASMSTART
	v_dot2_f32_f16 v79, v22, v26, v79
	;;#ASMEND
	;;#ASMSTART
	v_dot2_f32_f16 v79, v23, v27, v79
	;;#ASMEND
	;;#ASMSTART
	v_dot2_f32_f16 v79, v24, v28, v79
	;;#ASMEND
	;;#ASMSTART
	v_dot2_f32_f16 v79, v25, v29, v79
	;;#ASMEND
	ds_read_b128 v[22:25], v47 offset:240
	ds_read_b128 v[26:29], v48 offset:496
	v_add_u32_e32 v80, s6, v4
	v_ashrrev_i32_e32 v81, 31, v80
	v_lshlrev_b64 v[80:81], 1, v[80:81]
	s_waitcnt lgkmcnt(0)
	;;#ASMSTART
	v_dot2_f32_f16 v79, v22, v26, v79
	;;#ASMEND
	v_add_co_u32_e64 v80, s[0:1], s26, v80
	;;#ASMSTART
	v_dot2_f32_f16 v79, v23, v27, v79
	;;#ASMEND
	v_addc_co_u32_e64 v81, s[0:1], v61, v81, s[0:1]
	;;#ASMSTART
	v_dot2_f32_f16 v79, v24, v28, v79
	;;#ASMEND
	;;#ASMSTART
	v_dot2_f32_f16 v79, v25, v29, v79
	;;#ASMEND
	flat_load_ushort v22, v[80:81]
	v_cmp_lt_i32_e64 s[0:1], v42, v37
	v_cndmask_b32_e64 v23, v5, v42, s[0:1]
	v_lshlrev_b32_e32 v25, 2, v23
	v_max_f32_e32 v24, v78, v78
	v_cmp_lt_i32_e64 s[0:1], v41, v37
	s_waitcnt vmcnt(0) lgkmcnt(0)
	v_cvt_f32_f16_e32 v22, v22
	v_add_f32_e32 v23, v79, v22
	v_add_f32_e32 v22, 0x40051340, v23
	v_max_f32_e32 v22, v24, v22
	ds_bpermute_b32 v24, v25, v22
	v_cndmask_b32_e64 v25, v5, v41, s[0:1]
	v_lshlrev_b32_e32 v25, 2, v25
	v_cmp_lt_i32_e64 s[0:1], v40, v37
	s_waitcnt lgkmcnt(0)
	v_max_f32_e32 v24, v24, v24
	v_max_f32_e32 v22, v22, v24
	ds_bpermute_b32 v24, v25, v22
	v_cndmask_b32_e64 v25, v5, v40, s[0:1]
	v_lshlrev_b32_e32 v25, 2, v25
	v_cmp_lt_i32_e64 s[0:1], v39, v37
	s_waitcnt lgkmcnt(0)
	v_max_f32_e32 v24, v24, v24
	;; [unrolled: 7-line block ×3, first 2 shown]
	v_max_f32_e32 v22, v22, v24
	ds_bpermute_b32 v24, v25, v22
	v_cndmask_b32_e64 v25, v5, v38, s[0:1]
	s_waitcnt lgkmcnt(0)
	v_max_f32_e32 v24, v24, v24
	v_max_f32_e32 v22, v22, v24
	v_lshlrev_b32_e32 v24, 2, v25
	ds_bpermute_b32 v24, v24, v22
	s_and_saveexec_b64 s[0:1], vcc
	s_cbranch_execz .LBB36_11
; %bb.10:                               ;   in Loop: Header=BB36_9 Depth=1
	s_waitcnt lgkmcnt(0)
	v_max_f32_e32 v24, v24, v24
	v_max_f32_e32 v22, v22, v22
	;; [unrolled: 1-line block ×3, first 2 shown]
	ds_write_b32 v49, v22
.LBB36_11:                              ;   in Loop: Header=BB36_9 Depth=1
	s_or_b64 exec, exec, s[0:1]
	s_waitcnt lgkmcnt(0)
	s_barrier
	ds_read_b32 v22, v50
	v_and_b32_e32 v24, 0x7e, v5
	v_add_u32_e32 v24, 2, v24
	v_cmp_lt_i32_e64 s[0:1], v38, v24
	v_cndmask_b32_e64 v24, v5, v38, s[0:1]
	v_lshlrev_b32_e32 v24, 2, v24
	s_waitcnt lgkmcnt(0)
	ds_bpermute_b32 v24, v24, v22
	v_max_f32_e32 v22, v22, v22
	s_waitcnt lgkmcnt(0)
	v_max_f32_e32 v24, v24, v24
	v_max_f32_e32 v22, v22, v24
	v_sub_f32_e32 v24, v78, v22
	v_mul_f32_e32 v25, 0x3fb8aa3b, v24
	v_fma_f32 v26, v24, s18, -v25
	v_rndne_f32_e32 v27, v25
	v_fmac_f32_e32 v26, 0x32a5705f, v24
	v_sub_f32_e32 v25, v25, v27
	v_add_f32_e32 v25, v25, v26
	v_exp_f32_e32 v25, v25
	v_cvt_i32_f32_e32 v26, v27
	v_cmp_ngt_f32_e64 s[0:1], s19, v24
	v_sub_f32_e32 v23, v23, v22
	v_ldexp_f32 v25, v25, v26
	v_cndmask_b32_e64 v25, 0, v25, s[0:1]
	v_cmp_nlt_f32_e64 s[0:1], s27, v24
	v_cndmask_b32_e64 v24, v77, v25, s[0:1]
	v_mul_f32_e32 v25, 0x3fb8aa3b, v23
	v_fma_f32 v26, v23, s18, -v25
	v_rndne_f32_e32 v27, v25
	v_fmac_f32_e32 v26, 0x32a5705f, v23
	v_sub_f32_e32 v25, v25, v27
	v_add_f32_e32 v25, v25, v26
	v_exp_f32_e32 v25, v25
	v_cvt_i32_f32_e32 v26, v27
	v_cvt_f16_f32_e32 v28, v24
	v_cmp_ngt_f32_e64 s[0:1], s19, v23
	v_ldexp_f32 v25, v25, v26
	v_cndmask_b32_e64 v25, 0, v25, s[0:1]
	v_cmp_nlt_f32_e64 s[0:1], s27, v23
	v_cndmask_b32_e64 v23, v77, v25, s[0:1]
	v_pk_mul_f16 v29, v2, v28 op_sel_hi:[1,0]
	v_cvt_f16_f32_e32 v2, v23
	s_mul_hi_i32 s1, s6, s14
	s_mul_i32 s0, s6, s14
	s_lshl_b64 s[0:1], s[0:1], 2
	s_add_u32 s28, s12, s0
	s_addc_u32 s29, s13, s1
	v_pk_mul_f16 v78, v28, v3 op_sel_hi:[0,1]
	ds_write_b16 v51, v2
	v_add_co_u32_e64 v2, s[0:1], s28, v14
	v_mov_b32_e32 v3, s29
	v_addc_co_u32_e64 v3, s[0:1], v3, v15, s[0:1]
	v_add_co_u32_e64 v2, s[0:1], v2, v35
	v_addc_co_u32_e64 v3, s[0:1], 0, v3, s[0:1]
	v_fma_f32 v59, v59, v24, v23
	global_load_dwordx4 v[24:27], v[2:3], off
	v_add_co_u32_e64 v2, s[0:1], s28, v16
	v_mov_b32_e32 v3, s29
	v_addc_co_u32_e64 v3, s[0:1], v3, v17, s[0:1]
	v_add_co_u32_e64 v2, s[0:1], v2, v35
	v_addc_co_u32_e64 v3, s[0:1], 0, v3, s[0:1]
	v_add_u32_e32 v23, v56, v57
	s_waitcnt vmcnt(0)
	ds_write_b128 v52, v[24:27]
	global_load_dwordx4 v[24:27], v[2:3], off
	v_add_co_u32_e64 v2, s[0:1], s28, v18
	v_mov_b32_e32 v3, s29
	v_addc_co_u32_e64 v3, s[0:1], v3, v19, s[0:1]
	v_add_co_u32_e64 v2, s[0:1], v2, v35
	v_addc_co_u32_e64 v3, s[0:1], 0, v3, s[0:1]
	s_waitcnt vmcnt(0)
	ds_write_b128 v53, v[24:27]
	global_load_dwordx4 v[24:27], v[2:3], off
	v_add_co_u32_e64 v2, s[0:1], s28, v20
	v_mov_b32_e32 v3, s29
	v_addc_co_u32_e64 v3, s[0:1], v3, v21, s[0:1]
	v_add_co_u32_e64 v2, s[0:1], v2, v35
	v_addc_co_u32_e64 v3, s[0:1], 0, v3, s[0:1]
	s_or_b32 s0, s6, 32
	s_mul_hi_i32 s1, s0, s14
	s_mul_i32 s0, s0, s14
	s_lshl_b64 s[0:1], s[0:1], 2
	s_add_u32 s28, s12, s0
	s_addc_u32 s29, s13, s1
	s_waitcnt vmcnt(0)
	ds_write_b128 v54, v[24:27]
	global_load_dwordx4 v[24:27], v[2:3], off
	s_waitcnt vmcnt(0)
	ds_write_b128 v55, v[24:27]
	s_waitcnt lgkmcnt(0)
	s_barrier
	ds_read2_b64 v[24:27], v23 offset1:32
	ds_read_u16 v2, v58
	ds_read_u16 v79, v58 offset:4
	ds_read_u16 v80, v58 offset:8
	;; [unrolled: 1-line block ×15, first 2 shown]
	s_waitcnt lgkmcnt(14)
	v_pk_mul_f16 v3, v24, v2 op_sel_hi:[1,0]
	v_pk_fma_f16 v24, v0, v28, v3 op_sel_hi:[1,0,1]
	v_pk_mul_f16 v0, v25, v2 op_sel_hi:[1,0]
	v_pk_fma_f16 v25, v1, v28, v0 op_sel_hi:[1,0,1]
	v_pk_fma_f16 v26, v26, v2, v29 op_sel_hi:[1,0,1]
	v_pk_fma_f16 v27, v27, v2, v78 op_sel_hi:[1,0,1]
	ds_read2_b64 v[0:3], v62 offset1:32
	s_waitcnt lgkmcnt(0)
	v_pk_fma_f16 v24, v0, v79, v24 op_sel_hi:[1,0,1]
	v_pk_fma_f16 v25, v1, v79, v25 op_sel_hi:[1,0,1]
	v_pk_fma_f16 v26, v2, v79, v26 op_sel_hi:[1,0,1]
	v_pk_fma_f16 v27, v3, v79, v27 op_sel_hi:[1,0,1]
	ds_read2_b64 v[0:3], v63 offset1:32
	s_waitcnt lgkmcnt(0)
	v_pk_fma_f16 v24, v0, v80, v24 op_sel_hi:[1,0,1]
	;; [unrolled: 6-line block ×14, first 2 shown]
	v_pk_fma_f16 v25, v1, v92, v25 op_sel_hi:[1,0,1]
	v_pk_fma_f16 v26, v2, v92, v26 op_sel_hi:[1,0,1]
	;; [unrolled: 1-line block ×3, first 2 shown]
	ds_read2_b64 v[0:3], v76 offset1:32
	s_waitcnt lgkmcnt(0)
	s_barrier
	v_pk_fma_f16 v24, v0, v93, v24 op_sel_hi:[1,0,1]
	v_pk_fma_f16 v25, v1, v93, v25 op_sel_hi:[1,0,1]
	v_add_co_u32_e64 v0, s[0:1], s28, v14
	v_mov_b32_e32 v1, s29
	v_addc_co_u32_e64 v1, s[0:1], v1, v15, s[0:1]
	v_add_co_u32_e64 v0, s[0:1], v0, v35
	v_addc_co_u32_e64 v1, s[0:1], 0, v1, s[0:1]
	v_pk_fma_f16 v26, v2, v93, v26 op_sel_hi:[1,0,1]
	v_pk_fma_f16 v27, v3, v93, v27 op_sel_hi:[1,0,1]
	global_load_dwordx4 v[0:3], v[0:1], off
	s_waitcnt vmcnt(0)
	ds_write_b128 v52, v[0:3]
	v_add_co_u32_e64 v0, s[0:1], s28, v16
	v_mov_b32_e32 v1, s29
	v_addc_co_u32_e64 v1, s[0:1], v1, v17, s[0:1]
	v_add_co_u32_e64 v0, s[0:1], v0, v35
	v_addc_co_u32_e64 v1, s[0:1], 0, v1, s[0:1]
	global_load_dwordx4 v[0:3], v[0:1], off
	s_waitcnt vmcnt(0)
	ds_write_b128 v53, v[0:3]
	v_add_co_u32_e64 v0, s[0:1], s28, v18
	v_mov_b32_e32 v1, s29
	v_addc_co_u32_e64 v1, s[0:1], v1, v19, s[0:1]
	v_add_co_u32_e64 v0, s[0:1], v0, v35
	v_addc_co_u32_e64 v1, s[0:1], 0, v1, s[0:1]
	;; [unrolled: 8-line block ×3, first 2 shown]
	global_load_dwordx4 v[0:3], v[0:1], off
	s_waitcnt vmcnt(0)
	ds_write_b128 v55, v[0:3]
	s_waitcnt lgkmcnt(0)
	s_barrier
	ds_read2_b64 v[0:3], v23 offset1:32
	ds_read_u16 v23, v58 offset:64
	ds_read_u16 v28, v58 offset:68
	;; [unrolled: 1-line block ×16, first 2 shown]
	s_waitcnt lgkmcnt(14)
	v_pk_fma_f16 v24, v0, v23, v24 op_sel_hi:[1,0,1]
	v_pk_fma_f16 v25, v1, v23, v25 op_sel_hi:[1,0,1]
	v_pk_fma_f16 v26, v2, v23, v26 op_sel_hi:[1,0,1]
	v_pk_fma_f16 v23, v3, v23, v27 op_sel_hi:[1,0,1]
	ds_read2_b64 v[0:3], v62 offset1:32
	s_waitcnt lgkmcnt(0)
	v_pk_fma_f16 v24, v0, v28, v24 op_sel_hi:[1,0,1]
	v_pk_fma_f16 v25, v1, v28, v25 op_sel_hi:[1,0,1]
	v_pk_fma_f16 v26, v2, v28, v26 op_sel_hi:[1,0,1]
	v_pk_fma_f16 v23, v3, v28, v23 op_sel_hi:[1,0,1]
	ds_read2_b64 v[0:3], v63 offset1:32
	;; [unrolled: 6-line block ×15, first 2 shown]
	s_waitcnt lgkmcnt(0)
	s_barrier
	s_load_dword s0, s[8:9], 0x4
	v_pk_fma_f16 v0, v0, v90, v24 op_sel_hi:[1,0,1]
	v_pk_fma_f16 v1, v1, v90, v25 op_sel_hi:[1,0,1]
	;; [unrolled: 1-line block ×4, first 2 shown]
	s_waitcnt lgkmcnt(0)
	s_lshl_b32 s0, s0, 6
	s_add_i32 s6, s0, s6
	s_cmp_lt_i32 s6, s24
	s_cbranch_scc0 .LBB36_13
; %bb.12:                               ;   in Loop: Header=BB36_9 Depth=1
	v_mov_b32_e32 v78, v22
	s_branch .LBB36_9
.LBB36_13:
	v_mov_b32_e32 v7, v36
.LBB36_14:
	v_cmp_lt_i32_e32 vcc, v42, v37
	v_cndmask_b32_e32 v6, v5, v42, vcc
	v_lshlrev_b32_e32 v6, 2, v6
	ds_bpermute_b32 v6, v6, v59
	v_cmp_lt_i32_e32 vcc, v41, v37
	v_cndmask_b32_e32 v8, v5, v41, vcc
	v_lshlrev_b32_e32 v8, 2, v8
	v_cmp_lt_i32_e32 vcc, v40, v37
	s_waitcnt lgkmcnt(0)
	v_add_f32_e32 v6, v59, v6
	ds_bpermute_b32 v8, v8, v6
	v_cndmask_b32_e32 v9, v5, v40, vcc
	v_lshlrev_b32_e32 v9, 2, v9
	v_cmp_lt_i32_e32 vcc, v39, v37
	v_lshlrev_b32_e32 v4, 7, v34
	s_waitcnt lgkmcnt(0)
	v_add_f32_e32 v6, v6, v8
	ds_bpermute_b32 v8, v9, v6
	v_cndmask_b32_e32 v9, v5, v39, vcc
	v_lshlrev_b32_e32 v9, 2, v9
	v_cmp_lt_i32_e32 vcc, v38, v37
	v_cndmask_b32_e32 v5, v5, v38, vcc
	s_waitcnt lgkmcnt(0)
	v_add_f32_e32 v6, v6, v8
	ds_bpermute_b32 v8, v9, v6
	v_lshlrev_b32_e32 v5, 2, v5
	v_cmp_eq_u32_e32 vcc, 0, v7
	v_cmp_ne_u32_e64 s[0:1], 0, v7
	s_waitcnt lgkmcnt(0)
	v_add_f32_e32 v6, v6, v8
	ds_bpermute_b32 v5, v5, v6
	s_waitcnt lgkmcnt(0)
	v_add_f32_e32 v23, v6, v5
	s_and_saveexec_b64 s[8:9], s[0:1]
	s_xor_b64 s[8:9], exec, s[8:9]
	s_cbranch_execnz .LBB36_18
; %bb.15:
	s_andn2_saveexec_b64 s[0:1], s[8:9]
	s_cbranch_execnz .LBB36_21
.LBB36_16:
	s_or_b64 exec, exec, s[0:1]
	s_and_saveexec_b64 s[0:1], vcc
	s_cbranch_execnz .LBB36_22
.LBB36_17:
	s_endpgm
.LBB36_18:
	v_lshl_add_u32 v4, v4, 2, v35
	v_cmp_eq_u32_e64 s[0:1], 0, v30
	ds_write_b128 v4, v[0:3]
	s_and_saveexec_b64 s[10:11], s[0:1]
	s_cbranch_execz .LBB36_20
; %bb.19:
	v_lshlrev_b32_e32 v4, 2, v34
	ds_write_b32 v4, v23 offset:17408
.LBB36_20:
	s_or_b64 exec, exec, s[10:11]
                                        ; implicit-def: $vgpr4
                                        ; implicit-def: $vgpr35
                                        ; implicit-def: $vgpr34
	s_andn2_saveexec_b64 s[0:1], s[8:9]
	s_cbranch_execz .LBB36_16
.LBB36_21:
	v_lshl_add_u32 v4, v4, 2, v35
	v_lshlrev_b32_e32 v8, 2, v34
	s_waitcnt lgkmcnt(0)
	s_barrier
	ds_read_b128 v[4:7], v4 offset:512
	ds_read_b32 v8, v8 offset:17412
	s_waitcnt lgkmcnt(1)
	v_pk_add_f16 v0, v4, v0
	v_pk_add_f16 v1, v5, v1
	;; [unrolled: 1-line block ×4, first 2 shown]
	s_waitcnt lgkmcnt(0)
	v_add_f32_e32 v23, v23, v8
	s_or_b64 exec, exec, s[0:1]
	s_and_saveexec_b64 s[0:1], vcc
	s_cbranch_execz .LBB36_17
.LBB36_22:
	s_cmp_eq_u64 s[16:17], 0
	s_cselect_b64 s[0:1], -1, 0
	s_cmp_lg_u32 s7, 0
	s_cselect_b64 s[8:9], -1, 0
	s_or_b64 s[0:1], s[8:9], s[0:1]
	s_and_b64 vcc, exec, s[0:1]
	s_cbranch_vccnz .LBB36_24
; %bb.23:
	v_add_u32_e32 v4, s25, v31
	v_ashrrev_i32_e32 v5, 31, v4
	v_lshlrev_b64 v[4:5], 2, v[4:5]
	v_mov_b32_e32 v6, s17
	v_add_co_u32_e32 v4, vcc, s16, v4
	v_addc_co_u32_e32 v5, vcc, v6, v5, vcc
	global_load_dword v5, v[4:5], off
	v_max_f32_e32 v4, v22, v22
	s_mov_b32 s0, 0x3fb8aa3b
	s_mov_b32 s1, 0xc2ce8ed0
	s_waitcnt vmcnt(0)
	v_max_f32_e32 v6, v5, v5
	v_max_f32_e32 v4, v4, v6
	v_sub_f32_e32 v6, v22, v4
	v_sub_f32_e32 v5, v5, v4
	v_mul_f32_e32 v7, 0x3fb8aa3b, v6
	v_mul_f32_e32 v8, 0x3fb8aa3b, v5
	v_fma_f32 v9, v6, s0, -v7
	v_rndne_f32_e32 v10, v7
	v_fma_f32 v11, v5, s0, -v8
	v_rndne_f32_e32 v12, v8
	v_fmac_f32_e32 v9, 0x32a5705f, v6
	v_sub_f32_e32 v7, v7, v10
	v_fmac_f32_e32 v11, 0x32a5705f, v5
	v_sub_f32_e32 v8, v8, v12
	v_add_f32_e32 v7, v7, v9
	v_cvt_i32_f32_e32 v10, v10
	v_add_f32_e32 v8, v8, v11
	v_exp_f32_e32 v7, v7
	v_cvt_i32_f32_e32 v12, v12
	v_exp_f32_e32 v8, v8
	v_cmp_ngt_f32_e32 vcc, s1, v6
	v_ldexp_f32 v7, v7, v10
	s_mov_b32 s0, 0x42b17218
	v_ldexp_f32 v8, v8, v12
	v_cndmask_b32_e32 v7, 0, v7, vcc
	v_cmp_ngt_f32_e32 vcc, s1, v5
	v_mov_b32_e32 v9, 0x7f800000
	v_cndmask_b32_e32 v8, 0, v8, vcc
	v_cmp_nlt_f32_e32 vcc, s0, v6
	v_cndmask_b32_e32 v6, v9, v7, vcc
	v_cvt_f16_f32_e32 v7, v6
	v_cmp_nlt_f32_e32 vcc, s0, v5
	v_cndmask_b32_e32 v5, v9, v8, vcc
	v_fmac_f32_e32 v5, v23, v6
	v_pk_mul_f16 v0, v7, v0 op_sel_hi:[0,1]
	v_pk_mul_f16 v1, v7, v1 op_sel_hi:[0,1]
	v_pk_mul_f16 v2, v7, v2 op_sel_hi:[0,1]
	v_pk_mul_f16 v3, v7, v3 op_sel_hi:[0,1]
	v_pk_mov_b32 v[22:23], v[4:5], v[4:5] op_sel:[0,1]
	v_cmp_gt_i32_e32 vcc, s2, v32
	s_and_b64 exec, exec, vcc
	s_cbranch_execz .LBB36_17
	s_branch .LBB36_25
.LBB36_24:
	v_mov_b32_e32 v5, v23
	v_cmp_gt_i32_e32 vcc, s2, v32
	s_and_b64 exec, exec, vcc
	s_cbranch_execz .LBB36_17
.LBB36_25:
	v_div_scale_f32 v4, s[0:1], v5, v5, 1.0
	v_rcp_f32_e32 v6, v4
	s_load_dword s4, s[4:5], 0xd4
	s_mul_i32 s30, s30, s2
	v_cvt_f32_f16_sdwa v15, v1 dst_sel:DWORD dst_unused:UNUSED_PAD src0_sel:WORD_1
	v_fma_f32 v7, -v4, v6, 1.0
	v_fmac_f32_e32 v6, v7, v6
	v_div_scale_f32 v7, vcc, 1.0, v5, 1.0
	v_mul_f32_e32 v8, v7, v6
	v_fma_f32 v9, -v4, v8, v7
	v_fmac_f32_e32 v8, v9, v6
	v_fma_f32 v4, -v4, v8, v7
	s_waitcnt lgkmcnt(0)
	s_cmp_lg_u32 s4, 1
	v_div_fmas_f32 v4, v4, v6, v8
	v_div_fixup_f32 v4, v4, v5, 1.0
	s_cselect_b64 s[0:1], -1, 0
	v_cndmask_b32_e64 v10, v4, 1.0, s[0:1]
	v_add_u32_e32 v4, s30, v32
	v_mul_lo_u32 v4, v4, s3
	v_add3_u32 v4, s25, v31, v4
	v_mul_lo_u32 v4, s4, v4
	v_add_u32_e32 v4, s7, v4
	v_cvt_f32_f16_sdwa v9, v0 dst_sel:DWORD dst_unused:UNUSED_PAD src0_sel:WORD_1
	v_cvt_f32_f16_e32 v8, v0
	v_cvt_f32_f16_e32 v14, v1
	v_lshl_add_u32 v12, v4, 8, v33
	v_mov_b32_e32 v13, 0
	v_lshlrev_b64 v[6:7], 2, v[12:13]
	v_mov_b32_e32 v5, s21
	v_add_co_u32_e32 v0, vcc, s20, v6
	v_addc_co_u32_e32 v1, vcc, v5, v7, vcc
	v_pk_mul_f32 v[6:7], v[10:11], v[8:9] op_sel_hi:[0,1]
	v_pk_mul_f32 v[8:9], v[10:11], v[14:15] op_sel_hi:[0,1]
	v_add_u32_e32 v12, 0x80, v12
	global_store_dwordx4 v[0:1], v[6:9], off
	v_lshlrev_b64 v[0:1], 2, v[12:13]
	v_cvt_f32_f16_sdwa v7, v2 dst_sel:DWORD dst_unused:UNUSED_PAD src0_sel:WORD_1
	v_cvt_f32_f16_e32 v6, v2
	v_cvt_f32_f16_sdwa v9, v3 dst_sel:DWORD dst_unused:UNUSED_PAD src0_sel:WORD_1
	v_cvt_f32_f16_e32 v8, v3
	v_add_co_u32_e32 v12, vcc, s20, v0
	v_addc_co_u32_e32 v13, vcc, v5, v1, vcc
	v_cmp_eq_u32_e32 vcc, 0, v30
	v_pk_mul_f32 v[0:1], v[10:11], v[6:7] op_sel_hi:[0,1]
	v_pk_mul_f32 v[2:3], v[10:11], v[8:9] op_sel_hi:[0,1]
	s_and_b64 s[0:1], vcc, s[0:1]
	global_store_dwordx4 v[12:13], v[0:3], off
	s_and_b64 exec, exec, s[0:1]
	s_cbranch_execz .LBB36_17
; %bb.26:
	v_ashrrev_i32_e32 v5, 31, v4
	v_lshlrev_b64 v[0:1], 3, v[4:5]
	v_mov_b32_e32 v2, s23
	v_add_co_u32_e32 v0, vcc, s22, v0
	v_addc_co_u32_e32 v1, vcc, v2, v1, vcc
	global_store_dwordx2 v[0:1], v[22:23], off
	s_endpgm
	.section	.rodata,"a",@progbits
	.p2align	6, 0x0
	.amdhsa_kernel _ZL15flash_attn_tileILi256ELi256ELi2ELi2ELb0EEvPKcS1_S1_S1_S1_PKiPfP15HIP_vector_typeIfLj2EEffffjfiS5_IjLj3EEiiiiiiiiiiiliiliiiiil
		.amdhsa_group_segment_fixed_size 20000
		.amdhsa_private_segment_fixed_size 0
		.amdhsa_kernarg_size 464
		.amdhsa_user_sgpr_count 6
		.amdhsa_user_sgpr_private_segment_buffer 1
		.amdhsa_user_sgpr_dispatch_ptr 0
		.amdhsa_user_sgpr_queue_ptr 0
		.amdhsa_user_sgpr_kernarg_segment_ptr 1
		.amdhsa_user_sgpr_dispatch_id 0
		.amdhsa_user_sgpr_flat_scratch_init 0
		.amdhsa_user_sgpr_kernarg_preload_length 0
		.amdhsa_user_sgpr_kernarg_preload_offset 0
		.amdhsa_user_sgpr_private_segment_size 0
		.amdhsa_uses_dynamic_stack 0
		.amdhsa_system_sgpr_private_segment_wavefront_offset 0
		.amdhsa_system_sgpr_workgroup_id_x 1
		.amdhsa_system_sgpr_workgroup_id_y 1
		.amdhsa_system_sgpr_workgroup_id_z 1
		.amdhsa_system_sgpr_workgroup_info 0
		.amdhsa_system_vgpr_workitem_id 1
		.amdhsa_next_free_vgpr 96
		.amdhsa_next_free_sgpr 40
		.amdhsa_accum_offset 96
		.amdhsa_reserve_vcc 1
		.amdhsa_reserve_flat_scratch 0
		.amdhsa_float_round_mode_32 0
		.amdhsa_float_round_mode_16_64 0
		.amdhsa_float_denorm_mode_32 3
		.amdhsa_float_denorm_mode_16_64 3
		.amdhsa_dx10_clamp 1
		.amdhsa_ieee_mode 1
		.amdhsa_fp16_overflow 0
		.amdhsa_tg_split 0
		.amdhsa_exception_fp_ieee_invalid_op 0
		.amdhsa_exception_fp_denorm_src 0
		.amdhsa_exception_fp_ieee_div_zero 0
		.amdhsa_exception_fp_ieee_overflow 0
		.amdhsa_exception_fp_ieee_underflow 0
		.amdhsa_exception_fp_ieee_inexact 0
		.amdhsa_exception_int_div_zero 0
	.end_amdhsa_kernel
	.section	.text._ZL15flash_attn_tileILi256ELi256ELi2ELi2ELb0EEvPKcS1_S1_S1_S1_PKiPfP15HIP_vector_typeIfLj2EEffffjfiS5_IjLj3EEiiiiiiiiiiiliiliiiiil,"axG",@progbits,_ZL15flash_attn_tileILi256ELi256ELi2ELi2ELb0EEvPKcS1_S1_S1_S1_PKiPfP15HIP_vector_typeIfLj2EEffffjfiS5_IjLj3EEiiiiiiiiiiiliiliiiiil,comdat
.Lfunc_end36:
	.size	_ZL15flash_attn_tileILi256ELi256ELi2ELi2ELb0EEvPKcS1_S1_S1_S1_PKiPfP15HIP_vector_typeIfLj2EEffffjfiS5_IjLj3EEiiiiiiiiiiiliiliiiiil, .Lfunc_end36-_ZL15flash_attn_tileILi256ELi256ELi2ELi2ELb0EEvPKcS1_S1_S1_S1_PKiPfP15HIP_vector_typeIfLj2EEffffjfiS5_IjLj3EEiiiiiiiiiiiliiliiiiil
                                        ; -- End function
	.section	.AMDGPU.csdata,"",@progbits
; Kernel info:
; codeLenInByte = 7740
; NumSgprs: 44
; NumVgprs: 96
; NumAgprs: 0
; TotalNumVgprs: 96
; ScratchSize: 0
; MemoryBound: 0
; FloatMode: 240
; IeeeMode: 1
; LDSByteSize: 20000 bytes/workgroup (compile time only)
; SGPRBlocks: 5
; VGPRBlocks: 11
; NumSGPRsForWavesPerEU: 44
; NumVGPRsForWavesPerEU: 96
; AccumOffset: 96
; Occupancy: 3
; WaveLimiterHint : 1
; COMPUTE_PGM_RSRC2:SCRATCH_EN: 0
; COMPUTE_PGM_RSRC2:USER_SGPR: 6
; COMPUTE_PGM_RSRC2:TRAP_HANDLER: 0
; COMPUTE_PGM_RSRC2:TGID_X_EN: 1
; COMPUTE_PGM_RSRC2:TGID_Y_EN: 1
; COMPUTE_PGM_RSRC2:TGID_Z_EN: 1
; COMPUTE_PGM_RSRC2:TIDIG_COMP_CNT: 1
; COMPUTE_PGM_RSRC3_GFX90A:ACCUM_OFFSET: 23
; COMPUTE_PGM_RSRC3_GFX90A:TG_SPLIT: 0
	.section	.text._ZL33flash_attn_stream_k_fixup_uniformILi256ELi2ELi2EEvPfPK15HIP_vector_typeIfLj2EEiiiiiiS1_IjLj3EES5_S5_,"axG",@progbits,_ZL33flash_attn_stream_k_fixup_uniformILi256ELi2ELi2EEvPfPK15HIP_vector_typeIfLj2EEiiiiiiS1_IjLj3EES5_S5_,comdat
	.globl	_ZL33flash_attn_stream_k_fixup_uniformILi256ELi2ELi2EEvPfPK15HIP_vector_typeIfLj2EEiiiiiiS1_IjLj3EES5_S5_ ; -- Begin function _ZL33flash_attn_stream_k_fixup_uniformILi256ELi2ELi2EEvPfPK15HIP_vector_typeIfLj2EEiiiiiiS1_IjLj3EES5_S5_
	.p2align	8
	.type	_ZL33flash_attn_stream_k_fixup_uniformILi256ELi2ELi2EEvPfPK15HIP_vector_typeIfLj2EEiiiiiiS1_IjLj3EES5_S5_,@function
_ZL33flash_attn_stream_k_fixup_uniformILi256ELi2ELi2EEvPfPK15HIP_vector_typeIfLj2EEiiiiiiS1_IjLj3EES5_S5_: ; @_ZL33flash_attn_stream_k_fixup_uniformILi256ELi2ELi2EEvPfPK15HIP_vector_typeIfLj2EEiiiiiiS1_IjLj3EES5_S5_
; %bb.0:
	s_load_dwordx8 s[12:19], s[4:5], 0x1c
	s_load_dwordx2 s[10:11], s[4:5], 0x10
	s_load_dwordx4 s[0:3], s[4:5], 0x3c
	s_waitcnt lgkmcnt(0)
	s_mul_hi_u32 s9, s15, s6
	s_add_i32 s9, s6, s9
	s_lshr_b32 s9, s9, s16
	s_mul_i32 s15, s9, s17
	s_sub_i32 s15, s6, s15
	s_mul_hi_u32 s16, s15, s18
	s_add_i32 s16, s15, s16
	s_lshr_b32 s16, s16, s19
	s_mul_i32 s0, s16, s0
	s_sub_i32 s0, s15, s0
	;; [unrolled: 5-line block ×3, first 2 shown]
	s_lshl_b32 s0, s17, 1
	s_lshl_b32 s15, s1, 1
	s_add_i32 s0, s0, s7
	s_cmp_lt_i32 s0, s10
	s_cselect_b64 s[0:1], -1, 0
	s_add_i32 s2, s15, s8
	s_cmp_lt_i32 s2, s13
	s_cselect_b64 s[2:3], -1, 0
	s_and_b64 s[0:1], s[0:1], s[2:3]
	s_andn2_b64 vcc, exec, s[0:1]
	s_cbranch_vccnz .LBB37_6
; %bb.1:
	s_load_dwordx4 s[0:3], s[4:5], 0x0
	s_mul_i32 s4, s9, s10
	s_add_i32 s4, s4, s7
	s_mul_i32 s4, s4, s11
	s_mul_i32 s16, s16, s13
	s_add_i32 s4, s4, s8
	s_add_i32 s4, s4, s16
	s_mul_i32 s5, s11, s17
	s_add_i32 s4, s4, s15
	s_lshl_b32 s5, s5, 9
	s_lshl_b32 s4, s4, 8
	s_add_i32 s5, s5, s4
	v_or_b32_e32 v2, s5, v0
	v_ashrrev_i32_e32 v3, 31, v2
	v_lshlrev_b64 v[2:3], 2, v[2:3]
	s_waitcnt lgkmcnt(0)
	v_mov_b32_e32 v1, s1
	v_add_co_u32_e32 v2, vcc, s0, v2
	v_addc_co_u32_e32 v3, vcc, v1, v3, vcc
	global_load_dword v8, v[2:3], off
	s_mul_i32 s9, s6, s14
	s_lshl_b32 s4, s7, 1
	s_add_i32 s11, s9, s14
	s_add_i32 s0, s4, s8
	s_lshl_b32 s1, s11, 2
	s_add_i32 s0, s0, s1
	s_add_i32 s0, s0, -4
	s_ashr_i32 s1, s0, 31
	s_lshl_b64 s[0:1], s[0:1], 3
	s_add_u32 s0, s2, s0
	s_addc_u32 s1, s3, s1
	s_load_dword s5, s[0:1], 0x4
	s_add_i32 s10, s11, -2
	s_cmp_lt_i32 s10, s9
	s_cbranch_scc1 .LBB37_4
; %bb.2:
	s_lshl_b32 s16, s12, 4
	s_ashr_i32 s17, s16, 31
	s_lshl_b64 s[16:17], s[16:17], 2
	s_add_u32 s10, s2, s16
	s_addc_u32 s13, s3, s17
	s_add_i32 s6, s6, 1
	s_load_dword s0, s[0:1], 0x0
	s_mul_i32 s1, s14, s6
	s_lshl_b32 s7, s7, 9
	s_lshl_b32 s14, s8, 8
	;; [unrolled: 1-line block ×3, first 2 shown]
	s_add_i32 s7, s14, s7
	s_lshl_b32 s1, s1, 2
	s_add_i32 s7, s7, s6
	s_add_i32 s1, s8, s1
	s_lshl_b32 s6, s12, 2
	s_add_i32 s1, s1, s6
	v_or_b32_e32 v0, s7, v0
	s_add_i32 s1, s1, s4
	s_add_i32 s11, s11, -1
	v_add_u32_e32 v0, 0xfffff800, v0
	s_add_i32 s4, s1, -8
	s_waitcnt lgkmcnt(0)
	v_mov_b32_e32 v7, s5
	v_mov_b32_e32 v6, s0
	;; [unrolled: 1-line block ×3, first 2 shown]
	s_mov_b32 s6, 0x3fb8aa3b
	s_mov_b32 s7, 0xc2ce8ed0
	;; [unrolled: 1-line block ×3, first 2 shown]
	v_mov_b32_e32 v5, 0x7f800000
	s_mov_b32 s12, 0xc1a00000
.LBB37_3:                               ; =>This Inner Loop Header: Depth=1
	v_ashrrev_i32_e32 v1, 31, v0
	v_lshlrev_b64 v[10:11], 2, v[0:1]
	v_add_co_u32_e32 v10, vcc, s10, v10
	v_addc_co_u32_e32 v11, vcc, v4, v11, vcc
	global_load_dword v1, v[10:11], off
	s_ashr_i32 s5, s4, 31
	s_lshl_b64 s[0:1], s[4:5], 3
	s_add_u32 s0, s2, s0
	s_addc_u32 s1, s3, s1
	s_load_dwordx2 s[14:15], s[0:1], 0x0
	s_waitcnt vmcnt(1)
	v_mov_b32_e32 v9, v8
	v_max_f32_e32 v8, v6, v6
	v_mov_b32_e32 v10, v7
	s_add_i32 s11, s11, -1
	s_waitcnt lgkmcnt(0)
	v_max_f32_e64 v7, s14, s14
	v_max_f32_e32 v7, v8, v7
	v_sub_f32_e32 v11, s14, v7
	v_sub_f32_e32 v8, v6, v7
	v_mul_f32_e32 v12, 0x3fb8aa3b, v11
	v_mov_b32_e32 v6, v7
	v_mul_f32_e32 v7, 0x3fb8aa3b, v8
	v_fma_f32 v15, v11, s6, -v12
	v_rndne_f32_e32 v16, v12
	v_fma_f32 v13, v8, s6, -v7
	v_rndne_f32_e32 v14, v7
	v_fmac_f32_e32 v15, 0x32a5705f, v11
	v_sub_f32_e32 v12, v12, v16
	v_fmac_f32_e32 v13, 0x32a5705f, v8
	v_sub_f32_e32 v7, v7, v14
	v_add_f32_e32 v12, v12, v15
	v_cvt_i32_f32_e32 v16, v16
	v_add_f32_e32 v7, v7, v13
	v_exp_f32_e32 v12, v12
	v_cvt_i32_f32_e32 v14, v14
	v_exp_f32_e32 v7, v7
	v_cmp_ngt_f32_e32 vcc, s7, v11
	v_ldexp_f32 v12, v12, v16
	v_cmp_ngt_f32_e64 s[0:1], s7, v8
	v_ldexp_f32 v7, v7, v14
	v_cndmask_b32_e32 v12, 0, v12, vcc
	v_cmp_nlt_f32_e32 vcc, s8, v11
	v_cndmask_b32_e64 v7, 0, v7, s[0:1]
	v_cmp_nlt_f32_e64 s[0:1], s8, v8
	v_cndmask_b32_e32 v12, v5, v12, vcc
	v_cmp_le_f32_e32 vcc, s12, v11
	v_cndmask_b32_e64 v7, v5, v7, s[0:1]
	v_cmp_le_f32_e64 s[0:1], s12, v8
	v_cndmask_b32_e32 v8, 0, v12, vcc
	s_add_i32 s4, s4, -4
	v_cndmask_b32_e64 v11, 0, v7, s[0:1]
	v_mul_f32_e32 v7, s15, v8
	v_add_u32_e32 v0, 0xfffffc00, v0
	s_cmp_le_i32 s11, s9
	v_fmac_f32_e32 v7, v10, v11
	s_waitcnt vmcnt(0)
	v_mul_f32_e32 v8, v1, v8
	v_fmac_f32_e32 v8, v9, v11
	s_cbranch_scc0 .LBB37_3
	s_branch .LBB37_5
.LBB37_4:
	s_waitcnt lgkmcnt(0)
	v_mov_b32_e32 v7, s5
.LBB37_5:
	s_waitcnt vmcnt(0)
	v_div_scale_f32 v0, s[0:1], v7, v7, v8
	v_rcp_f32_e32 v1, v0
	v_div_scale_f32 v4, vcc, v8, v7, v8
	v_fma_f32 v5, -v0, v1, 1.0
	v_fmac_f32_e32 v1, v5, v1
	v_mul_f32_e32 v5, v4, v1
	v_fma_f32 v6, -v0, v5, v4
	v_fmac_f32_e32 v5, v6, v1
	v_fma_f32 v0, -v0, v5, v4
	v_div_fmas_f32 v0, v0, v1, v5
	v_div_fixup_f32 v0, v0, v7, v8
	global_store_dword v[2:3], v0, off
.LBB37_6:
	s_endpgm
	.section	.rodata,"a",@progbits
	.p2align	6, 0x0
	.amdhsa_kernel _ZL33flash_attn_stream_k_fixup_uniformILi256ELi2ELi2EEvPfPK15HIP_vector_typeIfLj2EEiiiiiiS1_IjLj3EES5_S5_
		.amdhsa_group_segment_fixed_size 0
		.amdhsa_private_segment_fixed_size 0
		.amdhsa_kernarg_size 76
		.amdhsa_user_sgpr_count 6
		.amdhsa_user_sgpr_private_segment_buffer 1
		.amdhsa_user_sgpr_dispatch_ptr 0
		.amdhsa_user_sgpr_queue_ptr 0
		.amdhsa_user_sgpr_kernarg_segment_ptr 1
		.amdhsa_user_sgpr_dispatch_id 0
		.amdhsa_user_sgpr_flat_scratch_init 0
		.amdhsa_user_sgpr_kernarg_preload_length 0
		.amdhsa_user_sgpr_kernarg_preload_offset 0
		.amdhsa_user_sgpr_private_segment_size 0
		.amdhsa_uses_dynamic_stack 0
		.amdhsa_system_sgpr_private_segment_wavefront_offset 0
		.amdhsa_system_sgpr_workgroup_id_x 1
		.amdhsa_system_sgpr_workgroup_id_y 1
		.amdhsa_system_sgpr_workgroup_id_z 1
		.amdhsa_system_sgpr_workgroup_info 0
		.amdhsa_system_vgpr_workitem_id 0
		.amdhsa_next_free_vgpr 17
		.amdhsa_next_free_sgpr 20
		.amdhsa_accum_offset 20
		.amdhsa_reserve_vcc 1
		.amdhsa_reserve_flat_scratch 0
		.amdhsa_float_round_mode_32 0
		.amdhsa_float_round_mode_16_64 0
		.amdhsa_float_denorm_mode_32 3
		.amdhsa_float_denorm_mode_16_64 3
		.amdhsa_dx10_clamp 1
		.amdhsa_ieee_mode 1
		.amdhsa_fp16_overflow 0
		.amdhsa_tg_split 0
		.amdhsa_exception_fp_ieee_invalid_op 0
		.amdhsa_exception_fp_denorm_src 0
		.amdhsa_exception_fp_ieee_div_zero 0
		.amdhsa_exception_fp_ieee_overflow 0
		.amdhsa_exception_fp_ieee_underflow 0
		.amdhsa_exception_fp_ieee_inexact 0
		.amdhsa_exception_int_div_zero 0
	.end_amdhsa_kernel
	.section	.text._ZL33flash_attn_stream_k_fixup_uniformILi256ELi2ELi2EEvPfPK15HIP_vector_typeIfLj2EEiiiiiiS1_IjLj3EES5_S5_,"axG",@progbits,_ZL33flash_attn_stream_k_fixup_uniformILi256ELi2ELi2EEvPfPK15HIP_vector_typeIfLj2EEiiiiiiS1_IjLj3EES5_S5_,comdat
.Lfunc_end37:
	.size	_ZL33flash_attn_stream_k_fixup_uniformILi256ELi2ELi2EEvPfPK15HIP_vector_typeIfLj2EEiiiiiiS1_IjLj3EES5_S5_, .Lfunc_end37-_ZL33flash_attn_stream_k_fixup_uniformILi256ELi2ELi2EEvPfPK15HIP_vector_typeIfLj2EEiiiiiiS1_IjLj3EES5_S5_
                                        ; -- End function
	.section	.AMDGPU.csdata,"",@progbits
; Kernel info:
; codeLenInByte = 856
; NumSgprs: 24
; NumVgprs: 17
; NumAgprs: 0
; TotalNumVgprs: 17
; ScratchSize: 0
; MemoryBound: 0
; FloatMode: 240
; IeeeMode: 1
; LDSByteSize: 0 bytes/workgroup (compile time only)
; SGPRBlocks: 2
; VGPRBlocks: 2
; NumSGPRsForWavesPerEU: 24
; NumVGPRsForWavesPerEU: 17
; AccumOffset: 20
; Occupancy: 8
; WaveLimiterHint : 0
; COMPUTE_PGM_RSRC2:SCRATCH_EN: 0
; COMPUTE_PGM_RSRC2:USER_SGPR: 6
; COMPUTE_PGM_RSRC2:TRAP_HANDLER: 0
; COMPUTE_PGM_RSRC2:TGID_X_EN: 1
; COMPUTE_PGM_RSRC2:TGID_Y_EN: 1
; COMPUTE_PGM_RSRC2:TGID_Z_EN: 1
; COMPUTE_PGM_RSRC2:TIDIG_COMP_CNT: 0
; COMPUTE_PGM_RSRC3_GFX90A:ACCUM_OFFSET: 4
; COMPUTE_PGM_RSRC3_GFX90A:TG_SPLIT: 0
	.section	.text._ZL33flash_attn_stream_k_fixup_generalILi256ELi2ELi2EEvPfPK15HIP_vector_typeIfLj2EEiiiiS1_IjLj3EES5_S5_S5_,"axG",@progbits,_ZL33flash_attn_stream_k_fixup_generalILi256ELi2ELi2EEvPfPK15HIP_vector_typeIfLj2EEiiiiS1_IjLj3EES5_S5_S5_,comdat
	.globl	_ZL33flash_attn_stream_k_fixup_generalILi256ELi2ELi2EEvPfPK15HIP_vector_typeIfLj2EEiiiiS1_IjLj3EES5_S5_S5_ ; -- Begin function _ZL33flash_attn_stream_k_fixup_generalILi256ELi2ELi2EEvPfPK15HIP_vector_typeIfLj2EEiiiiS1_IjLj3EES5_S5_S5_
	.p2align	8
	.type	_ZL33flash_attn_stream_k_fixup_generalILi256ELi2ELi2EEvPfPK15HIP_vector_typeIfLj2EEiiiiS1_IjLj3EES5_S5_S5_,@function
_ZL33flash_attn_stream_k_fixup_generalILi256ELi2ELi2EEvPfPK15HIP_vector_typeIfLj2EEiiiiS1_IjLj3EES5_S5_S5_: ; @_ZL33flash_attn_stream_k_fixup_generalILi256ELi2ELi2EEvPfPK15HIP_vector_typeIfLj2EEiiiiS1_IjLj3EES5_S5_S5_
; %bb.0:
	s_load_dwordx4 s[12:15], s[4:5], 0x10
	s_load_dword s9, s[4:5], 0x50
	s_mov_b32 s2, 0
	s_waitcnt lgkmcnt(0)
	s_mul_hi_i32 s3, s15, s6
	s_cmp_lg_u64 s[2:3], 0
	s_mul_i32 s2, s15, s6
	s_cbranch_scc0 .LBB38_21
; %bb.1:
	v_cvt_f32_u32_e32 v1, s9
	v_cvt_f32_ubyte0_e32 v2, 0
	s_sub_u32 s10, 0, s9
	s_subb_u32 s11, 0, 0
	v_madmk_f32 v1, v2, 0x4f800000, v1
	v_rcp_f32_e32 v1, v1
	v_mul_f32_e32 v1, 0x5f7ffffc, v1
	v_mul_f32_e32 v2, 0x2f800000, v1
	v_trunc_f32_e32 v2, v2
	v_madmk_f32 v1, v2, 0xcf800000, v1
	v_cvt_u32_f32_e32 v2, v2
	v_cvt_u32_f32_e32 v1, v1
	v_readfirstlane_b32 s16, v2
	v_readfirstlane_b32 s17, v1
	s_mul_i32 s18, s10, s16
	s_mul_hi_u32 s20, s10, s17
	s_mul_i32 s19, s11, s17
	s_add_i32 s18, s20, s18
	s_add_i32 s18, s18, s19
	s_mul_i32 s21, s10, s17
	s_mul_hi_u32 s19, s17, s18
	s_mul_i32 s20, s17, s18
	s_mul_hi_u32 s17, s17, s21
	s_add_u32 s17, s17, s20
	s_addc_u32 s19, 0, s19
	s_mul_hi_u32 s22, s16, s21
	s_mul_i32 s21, s16, s21
	s_add_u32 s17, s17, s21
	s_mul_hi_u32 s20, s16, s18
	s_addc_u32 s17, s19, s22
	s_addc_u32 s19, s20, 0
	s_mul_i32 s18, s16, s18
	s_add_u32 s17, s17, s18
	s_addc_u32 s18, 0, s19
	v_add_co_u32_e32 v1, vcc, s17, v1
	s_cmp_lg_u64 vcc, 0
	s_addc_u32 s16, s16, s18
	v_readfirstlane_b32 s18, v1
	s_mul_i32 s17, s10, s16
	s_mul_hi_u32 s19, s10, s18
	s_add_i32 s17, s19, s17
	s_mul_i32 s11, s11, s18
	s_add_i32 s17, s17, s11
	s_mul_i32 s10, s10, s18
	s_mul_hi_u32 s19, s16, s10
	s_mul_i32 s20, s16, s10
	s_mul_i32 s22, s18, s17
	s_mul_hi_u32 s10, s18, s10
	s_mul_hi_u32 s21, s18, s17
	s_add_u32 s10, s10, s22
	s_addc_u32 s18, 0, s21
	s_add_u32 s10, s10, s20
	s_mul_hi_u32 s11, s16, s17
	s_addc_u32 s10, s18, s19
	s_addc_u32 s11, s11, 0
	s_mul_i32 s17, s16, s17
	s_add_u32 s10, s10, s17
	s_addc_u32 s11, 0, s11
	v_add_co_u32_e32 v1, vcc, s10, v1
	s_cmp_lg_u64 vcc, 0
	s_addc_u32 s18, s16, s11
	s_ashr_i32 s10, s3, 31
	s_add_u32 s16, s2, s10
	s_mov_b32 s11, s10
	s_addc_u32 s17, s3, s10
	s_xor_b64 s[16:17], s[16:17], s[10:11]
	v_readfirstlane_b32 s20, v1
	s_mul_i32 s19, s16, s18
	s_mul_hi_u32 s21, s16, s20
	s_mul_hi_u32 s3, s16, s18
	s_add_u32 s19, s21, s19
	s_addc_u32 s3, 0, s3
	s_mul_hi_u32 s22, s17, s20
	s_mul_i32 s20, s17, s20
	s_add_u32 s19, s19, s20
	s_mul_hi_u32 s21, s17, s18
	s_addc_u32 s3, s3, s22
	s_addc_u32 s19, s21, 0
	s_mul_i32 s18, s17, s18
	s_add_u32 s3, s3, s18
	s_addc_u32 s18, 0, s19
	s_add_u32 s19, s3, 1
	s_addc_u32 s20, s18, 0
	s_add_u32 s21, s3, 2
	s_mul_i32 s23, s9, s18
	s_mul_hi_u32 s24, s9, s3
	s_addc_u32 s22, s18, 0
	s_add_i32 s24, s24, s23
	s_mul_i32 s23, s9, s3
	v_mov_b32_e32 v1, s23
	v_sub_co_u32_e32 v1, vcc, s16, v1
	s_cmp_lg_u64 vcc, 0
	s_subb_u32 s16, s17, s24
	v_subrev_co_u32_e32 v2, vcc, s9, v1
	s_cmp_lg_u64 vcc, 0
	s_subb_u32 s17, s16, 0
	v_readfirstlane_b32 s23, v2
	s_cmp_ge_u32 s23, s9
	s_cselect_b32 s23, -1, 0
	s_cmp_eq_u32 s17, 0
	s_cselect_b32 s17, s23, -1
	s_cmp_lg_u32 s17, 0
	s_cselect_b32 s17, s22, s20
	v_readfirstlane_b32 s20, v1
	s_cselect_b32 s19, s21, s19
	s_cmp_ge_u32 s20, s9
	s_cselect_b32 s20, -1, 0
	s_cmp_eq_u32 s16, 0
	s_cselect_b32 s16, s20, -1
	s_cmp_lg_u32 s16, 0
	s_cselect_b32 s17, s17, s18
	s_cselect_b32 s16, s19, s3
	s_xor_b64 s[16:17], s[16:17], s[10:11]
	s_sub_u32 s20, s16, s10
	s_load_dwordx4 s[16:19], s[4:5], 0x44
	s_cbranch_execnz .LBB38_3
.LBB38_2:
	v_cvt_f32_u32_e32 v1, s9
	s_sub_i32 s0, 0, s9
	v_rcp_iflag_f32_e32 v1, v1
	v_mul_f32_e32 v1, 0x4f7ffffe, v1
	v_cvt_u32_f32_e32 v1, v1
	v_readfirstlane_b32 s1, v1
	s_mul_i32 s0, s0, s1
	s_mul_hi_u32 s0, s1, s0
	s_add_i32 s1, s1, s0
	s_mul_hi_u32 s0, s2, s1
	s_mul_i32 s3, s0, s9
	s_sub_i32 s2, s2, s3
	s_add_i32 s1, s0, 1
	s_sub_i32 s3, s2, s9
	s_cmp_ge_u32 s2, s9
	s_cselect_b32 s0, s1, s0
	s_cselect_b32 s2, s3, s2
	s_add_i32 s1, s0, 1
	s_cmp_ge_u32 s2, s9
	s_cselect_b32 s20, s1, s0
.LBB38_3:
	s_add_i32 s0, s6, 1
	s_mul_hi_i32 s3, s15, s0
	s_mov_b32 s2, 0
	s_cmp_lg_u64 s[2:3], 0
	s_mul_i32 s2, s15, s0
	s_cbranch_scc0 .LBB38_22
; %bb.4:
	v_cvt_f32_u32_e32 v1, s9
	v_cvt_f32_ubyte0_e32 v2, 0
	s_sub_u32 s10, 0, s9
	s_subb_u32 s11, 0, 0
	v_madmk_f32 v1, v2, 0x4f800000, v1
	v_rcp_f32_e32 v1, v1
	v_mul_f32_e32 v1, 0x5f7ffffc, v1
	v_mul_f32_e32 v2, 0x2f800000, v1
	v_trunc_f32_e32 v2, v2
	v_madmk_f32 v1, v2, 0xcf800000, v1
	v_cvt_u32_f32_e32 v2, v2
	v_cvt_u32_f32_e32 v1, v1
	s_waitcnt lgkmcnt(0)
	v_readfirstlane_b32 s19, v2
	v_readfirstlane_b32 s21, v1
	s_mul_i32 s22, s10, s19
	s_mul_hi_u32 s24, s10, s21
	s_mul_i32 s23, s11, s21
	s_add_i32 s22, s24, s22
	s_add_i32 s22, s22, s23
	s_mul_i32 s25, s10, s21
	s_mul_hi_u32 s23, s21, s22
	s_mul_i32 s24, s21, s22
	s_mul_hi_u32 s21, s21, s25
	s_add_u32 s21, s21, s24
	s_addc_u32 s23, 0, s23
	s_mul_hi_u32 s26, s19, s25
	s_mul_i32 s25, s19, s25
	s_add_u32 s21, s21, s25
	s_mul_hi_u32 s24, s19, s22
	s_addc_u32 s21, s23, s26
	s_addc_u32 s23, s24, 0
	s_mul_i32 s22, s19, s22
	s_add_u32 s21, s21, s22
	s_addc_u32 s22, 0, s23
	v_add_co_u32_e32 v1, vcc, s21, v1
	s_cmp_lg_u64 vcc, 0
	s_addc_u32 s19, s19, s22
	v_readfirstlane_b32 s22, v1
	s_mul_i32 s21, s10, s19
	s_mul_hi_u32 s23, s10, s22
	s_add_i32 s21, s23, s21
	s_mul_i32 s11, s11, s22
	s_add_i32 s21, s21, s11
	s_mul_i32 s10, s10, s22
	s_mul_hi_u32 s23, s19, s10
	s_mul_i32 s24, s19, s10
	s_mul_i32 s26, s22, s21
	s_mul_hi_u32 s10, s22, s10
	s_mul_hi_u32 s25, s22, s21
	s_add_u32 s10, s10, s26
	s_addc_u32 s22, 0, s25
	s_add_u32 s10, s10, s24
	s_mul_hi_u32 s11, s19, s21
	s_addc_u32 s10, s22, s23
	s_addc_u32 s11, s11, 0
	s_mul_i32 s21, s19, s21
	s_add_u32 s10, s10, s21
	s_addc_u32 s11, 0, s11
	v_add_co_u32_e32 v1, vcc, s10, v1
	s_cmp_lg_u64 vcc, 0
	s_addc_u32 s19, s19, s11
	s_ashr_i32 s10, s3, 31
	s_add_u32 s22, s2, s10
	s_mov_b32 s11, s10
	s_addc_u32 s23, s3, s10
	s_xor_b64 s[22:23], s[22:23], s[10:11]
	v_readfirstlane_b32 s21, v1
	s_mul_i32 s11, s22, s19
	s_mul_hi_u32 s24, s22, s21
	s_mul_hi_u32 s3, s22, s19
	s_add_u32 s11, s24, s11
	s_addc_u32 s3, 0, s3
	s_mul_hi_u32 s25, s23, s21
	s_mul_i32 s21, s23, s21
	s_add_u32 s11, s11, s21
	s_mul_hi_u32 s24, s23, s19
	s_addc_u32 s3, s3, s25
	s_addc_u32 s11, s24, 0
	s_mul_i32 s19, s23, s19
	s_add_u32 s3, s3, s19
	s_addc_u32 s11, 0, s11
	s_mul_i32 s11, s9, s11
	s_mul_hi_u32 s24, s9, s3
	s_add_i32 s24, s24, s11
	s_mul_i32 s11, s9, s3
	v_mov_b32_e32 v1, s11
	s_add_u32 s19, s3, 1
	s_add_u32 s21, s3, 2
	v_sub_co_u32_e32 v1, vcc, s22, v1
	s_cmp_lg_u64 vcc, 0
	s_subb_u32 s11, s23, s24
	v_subrev_co_u32_e32 v2, vcc, s9, v1
	s_cmp_lg_u64 vcc, 0
	s_subb_u32 s22, s11, 0
	v_cmp_le_u32_e32 vcc, s9, v2
	s_cmp_eq_u32 s22, 0
	v_cndmask_b32_e64 v2, 0, -1, vcc
	s_cselect_b64 vcc, -1, 0
	v_cndmask_b32_e32 v2, -1, v2, vcc
	v_mov_b32_e32 v3, s19
	v_mov_b32_e32 v4, s21
	v_cmp_ne_u32_e32 vcc, 0, v2
	v_cndmask_b32_e32 v2, v3, v4, vcc
	v_cmp_le_u32_e32 vcc, s9, v1
	s_cmp_eq_u32 s11, 0
	v_cndmask_b32_e64 v1, 0, -1, vcc
	s_cselect_b64 vcc, -1, 0
	v_cndmask_b32_e32 v1, -1, v1, vcc
	v_mov_b32_e32 v3, s3
	v_cmp_ne_u32_e32 vcc, 0, v1
	v_cndmask_b32_e32 v1, v3, v2, vcc
	v_xor_b32_e32 v1, s10, v1
	v_subrev_co_u32_e32 v2, vcc, s10, v1
	s_cbranch_execnz .LBB38_6
.LBB38_5:
	v_cvt_f32_u32_e32 v1, s9
	s_sub_i32 s0, 0, s9
	s_mov_b32 s1, 0
	v_rcp_iflag_f32_e32 v1, v1
	v_mul_f32_e32 v1, 0x4f7ffffe, v1
	v_cvt_u32_f32_e32 v1, v1
	v_readfirstlane_b32 s3, v1
	s_mul_i32 s0, s0, s3
	s_mul_hi_u32 s0, s3, s0
	s_add_i32 s3, s3, s0
	s_mul_hi_u32 s0, s2, s3
	s_mul_i32 s10, s0, s9
	s_sub_i32 s2, s2, s10
	s_add_i32 s3, s0, 1
	s_sub_i32 s10, s2, s9
	s_cmp_ge_u32 s2, s9
	s_cselect_b32 s0, s3, s0
	s_cselect_b32 s2, s10, s2
	s_add_i32 s3, s0, 1
	s_cmp_ge_u32 s2, s9
	s_cselect_b32 s0, s3, s0
	v_pk_mov_b32 v[2:3], s[0:1], s[0:1] op_sel:[0,1]
.LBB38_6:
	s_waitcnt lgkmcnt(0)
	s_mul_hi_u32 s0, s20, s16
	s_add_i32 s0, s0, s20
	v_mul_hi_u32 v1, v2, s16
	s_lshr_b32 s19, s0, s17
	v_add_u32_e32 v1, v1, v2
	s_mul_i32 s0, s19, s18
	v_lshrrev_b32_e32 v1, s17, v1
	s_cmp_eq_u32 s0, s20
	v_cmp_eq_u32_e64 s[0:1], s19, v1
	v_mul_lo_u32 v1, v1, s18
	v_cmp_eq_u32_e32 vcc, s20, v2
	s_cselect_b64 s[10:11], -1, 0
	v_cmp_ne_u32_e64 s[2:3], v1, v2
	s_and_b64 s[0:1], s[0:1], s[2:3]
	s_or_b64 s[2:3], vcc, s[10:11]
	s_or_b64 s[0:1], s[2:3], s[0:1]
	s_and_b64 vcc, exec, s[0:1]
	s_cbranch_vccnz .LBB38_24
; %bb.7:
	s_load_dwordx8 s[24:31], s[4:5], 0x20
	s_load_dword s0, s[4:5], 0x40
	s_mov_b32 s10, 0
	s_waitcnt lgkmcnt(0)
	s_mul_hi_u32 s1, s20, s24
	s_add_i32 s1, s1, s20
	s_lshr_b32 s11, s1, s25
	s_mul_i32 s1, s11, s26
	s_sub_i32 s1, s20, s1
	s_mul_hi_u32 s2, s1, s27
	s_add_i32 s2, s1, s2
	s_lshr_b32 s24, s2, s28
	s_mul_i32 s2, s24, s29
	s_sub_i32 s1, s1, s2
	;; [unrolled: 5-line block ×3, first 2 shown]
	s_mul_hi_u32 s1, s0, s16
	s_add_i32 s0, s0, s1
	s_lshr_b32 s26, s0, s17
	s_lshl_b32 s0, s26, 1
	s_lshl_b32 s25, s2, 1
	s_add_i32 s0, s0, s7
	s_cmp_lt_i32 s0, s12
	s_cselect_b64 s[0:1], -1, 0
	s_add_i32 s2, s25, s8
	s_cmp_lt_i32 s2, s14
	s_cselect_b64 s[2:3], -1, 0
	s_and_b64 s[0:1], s[0:1], s[2:3]
	s_andn2_b64 vcc, exec, s[0:1]
	s_cbranch_vccnz .LBB38_24
; %bb.8:
	s_load_dwordx4 s[0:3], s[4:5], 0x0
	s_lshl_b32 s21, s7, 1
	s_lshl_b32 s4, s9, 4
	s_mov_b32 s5, s10
	s_add_i32 s21, s21, s8
	s_lshl_b64 s[4:5], s[4:5], 2
	s_waitcnt lgkmcnt(0)
	s_add_u32 s22, s2, s4
	s_mul_i32 s4, s11, s12
	s_addc_u32 s23, s3, s5
	s_add_i32 s4, s4, s7
	s_mul_i32 s4, s4, s13
	s_mul_i32 s24, s24, s14
	s_add_i32 s4, s4, s8
	s_add_i32 s4, s4, s24
	s_mul_i32 s5, s13, s26
	s_add_i32 s4, s4, s25
	s_lshl_b32 s5, s5, 9
	s_lshl_b32 s4, s4, 8
	s_add_i32 s5, s5, s4
	v_or_b32_e32 v2, s5, v0
	v_ashrrev_i32_e32 v3, 31, v2
	v_lshlrev_b64 v[2:3], 2, v[2:3]
	v_mov_b32_e32 v1, s1
	v_add_co_u32_e32 v2, vcc, s0, v2
	v_addc_co_u32_e32 v3, vcc, v1, v3, vcc
	global_load_dword v5, v[2:3], off
	v_lshl_or_b32 v4, s21, 8, v0
	v_cvt_f32_u32_e32 v0, s9
	v_cvt_f32_ubyte0_e32 v1, 0
	s_lshl_b32 s0, s6, 2
	s_add_i32 s0, s21, s0
	v_mac_f32_e32 v0, 0x4f800000, v1
	v_rcp_f32_e32 v0, v0
	v_cvt_f32_u32_e32 v1, s9
	s_ashr_i32 s1, s0, 31
	s_lshl_b64 s[0:1], s[0:1], 3
	v_mul_f32_e32 v0, 0x5f7ffffc, v0
	v_rcp_iflag_f32_e32 v1, v1
	s_add_u32 s0, s2, s0
	v_mul_f32_e32 v9, 0x2f800000, v0
	s_addc_u32 s1, s3, s1
	v_trunc_f32_e32 v10, v9
	s_load_dwordx2 s[0:1], s[0:1], 0x0
	v_mac_f32_e32 v0, 0xcf800000, v10
	v_cvt_u32_f32_e32 v9, v0
	v_mul_f32_e32 v0, 0x4f7ffffe, v1
	v_cvt_u32_f32_e32 v10, v10
	v_cvt_u32_f32_e32 v11, v0
	s_add_i32 s8, s6, -1
	s_waitcnt lgkmcnt(0)
	v_mov_b32_e32 v6, s1
	v_mov_b32_e32 v7, s0
	;; [unrolled: 1-line block ×3, first 2 shown]
	s_mov_b32 s6, 0x3fb8aa3b
	s_mov_b32 s7, 0xc2ce8ed0
	;; [unrolled: 1-line block ×4, first 2 shown]
	v_mov_b32_e32 v12, 0x7f800000
	s_mul_hi_i32 s11, s8, s15
	s_cmp_lg_u64 s[10:11], 0
	s_mul_i32 s4, s8, s15
	s_cbranch_scc0 .LBB38_15
.LBB38_9:
	s_sub_u32 s0, 0, s9
	v_readfirstlane_b32 s5, v9
	v_readfirstlane_b32 s24, v10
	s_subb_u32 s1, 0, 0
	s_mul_hi_u32 s20, s0, s5
	s_mul_i32 s25, s0, s24
	s_mul_i32 s14, s1, s5
	s_add_i32 s20, s20, s25
	s_add_i32 s20, s20, s14
	s_mul_i32 s26, s0, s5
	s_mul_hi_u32 s14, s5, s20
	s_mul_i32 s25, s5, s20
	s_mul_hi_u32 s5, s5, s26
	s_add_u32 s5, s5, s25
	s_addc_u32 s14, 0, s14
	s_mul_hi_u32 s27, s24, s26
	s_mul_i32 s26, s24, s26
	s_add_u32 s5, s5, s26
	s_mul_hi_u32 s25, s24, s20
	s_addc_u32 s5, s14, s27
	s_addc_u32 s14, s25, 0
	s_mul_i32 s20, s24, s20
	s_add_u32 s5, s5, s20
	s_addc_u32 s14, 0, s14
	v_add_co_u32_e32 v0, vcc, s5, v9
	s_cmp_lg_u64 vcc, 0
	s_addc_u32 s5, s24, s14
	v_readfirstlane_b32 s20, v0
	s_mul_i32 s14, s0, s5
	s_mul_hi_u32 s24, s0, s20
	s_add_i32 s14, s24, s14
	s_mul_i32 s1, s1, s20
	s_add_i32 s14, s14, s1
	s_mul_i32 s0, s0, s20
	s_mul_hi_u32 s24, s5, s0
	s_mul_i32 s25, s5, s0
	s_mul_i32 s27, s20, s14
	s_mul_hi_u32 s0, s20, s0
	s_mul_hi_u32 s26, s20, s14
	s_add_u32 s0, s0, s27
	s_addc_u32 s20, 0, s26
	s_add_u32 s0, s0, s25
	s_mul_hi_u32 s1, s5, s14
	s_addc_u32 s0, s20, s24
	s_addc_u32 s1, s1, 0
	s_mul_i32 s14, s5, s14
	s_add_u32 s0, s0, s14
	s_addc_u32 s1, 0, s1
	v_add_co_u32_e32 v0, vcc, s0, v0
	s_cmp_lg_u64 vcc, 0
	s_addc_u32 s5, s5, s1
	s_ashr_i32 s0, s11, 31
	s_add_u32 s24, s4, s0
	s_mov_b32 s1, s0
	s_addc_u32 s25, s11, s0
	s_xor_b64 s[24:25], s[24:25], s[0:1]
	v_readfirstlane_b32 s14, v0
	s_mul_i32 s11, s24, s5
	s_mul_hi_u32 s20, s24, s14
	s_mul_hi_u32 s1, s24, s5
	s_add_u32 s11, s20, s11
	s_addc_u32 s1, 0, s1
	s_mul_hi_u32 s26, s25, s14
	s_mul_i32 s14, s25, s14
	s_add_u32 s11, s11, s14
	s_mul_hi_u32 s20, s25, s5
	s_addc_u32 s1, s1, s26
	s_addc_u32 s11, s20, 0
	s_mul_i32 s5, s25, s5
	s_add_u32 s1, s1, s5
	s_addc_u32 s5, 0, s11
	s_mul_i32 s5, s9, s5
	s_mul_hi_u32 s20, s9, s1
	s_add_i32 s20, s20, s5
	s_mul_i32 s5, s9, s1
	v_mov_b32_e32 v0, s5
	s_add_u32 s11, s1, 1
	s_add_u32 s14, s1, 2
	v_sub_co_u32_e32 v0, vcc, s24, v0
	s_cmp_lg_u64 vcc, 0
	s_subb_u32 s5, s25, s20
	v_subrev_co_u32_e32 v1, vcc, s9, v0
	s_cmp_lg_u64 vcc, 0
	s_subb_u32 s20, s5, 0
	v_cmp_le_u32_e32 vcc, s9, v1
	s_cmp_eq_u32 s20, 0
	v_cndmask_b32_e64 v1, 0, -1, vcc
	s_cselect_b64 vcc, -1, 0
	v_cndmask_b32_e32 v1, -1, v1, vcc
	v_mov_b32_e32 v13, s11
	v_mov_b32_e32 v14, s14
	v_cmp_ne_u32_e32 vcc, 0, v1
	v_cndmask_b32_e32 v1, v13, v14, vcc
	v_cmp_le_u32_e32 vcc, s9, v0
	s_cmp_eq_u32 s5, 0
	v_cndmask_b32_e64 v0, 0, -1, vcc
	s_cselect_b64 vcc, -1, 0
	v_cndmask_b32_e32 v0, -1, v0, vcc
	v_mov_b32_e32 v13, s1
	v_cmp_ne_u32_e32 vcc, 0, v0
	v_cndmask_b32_e32 v0, v13, v1, vcc
	v_xor_b32_e32 v0, s0, v0
	v_subrev_co_u32_e32 v0, vcc, s0, v0
	s_cbranch_execnz .LBB38_11
.LBB38_10:
	s_sub_i32 s0, 0, s9
	v_mul_lo_u32 v0, s0, v11
	v_mul_hi_u32 v0, v11, v0
	v_add_u32_e32 v0, v11, v0
	v_mul_hi_u32 v0, s4, v0
	v_mul_lo_u32 v13, v0, s9
	v_sub_u32_e32 v13, s4, v13
	v_add_u32_e32 v1, 1, v0
	v_subrev_u32_e32 v14, s9, v13
	v_cmp_le_u32_e32 vcc, s9, v13
	v_cndmask_b32_e32 v13, v13, v14, vcc
	v_cndmask_b32_e32 v0, v0, v1, vcc
	v_add_u32_e32 v1, 1, v0
	v_cmp_le_u32_e32 vcc, s9, v13
	v_cndmask_b32_e32 v0, v0, v1, vcc
.LBB38_11:
	v_cmp_ne_u32_e32 vcc, v8, v0
	s_cbranch_vccz .LBB38_14
; %bb.12:
	s_add_i32 s0, s8, s9
	s_lshl_b32 s0, s0, 2
	v_mul_hi_u32 v1, v0, s16
	s_add_i32 s0, s0, s21
	s_mov_b32 s1, s10
	v_add_u32_e32 v1, v1, v0
	s_lshl_b64 s[0:1], s[0:1], 3
	v_lshrrev_b32_e32 v1, s17, v1
	s_add_u32 s4, s2, s0
	v_mul_lo_u32 v13, v1, s18
	s_addc_u32 s5, s3, s1
	v_cmp_eq_u32_e32 vcc, v13, v0
	v_cmp_gt_u32_e64 s[0:1], s19, v1
	s_or_b64 s[0:1], s[0:1], vcc
	s_and_b64 vcc, exec, s[0:1]
	s_cbranch_vccnz .LBB38_16
; %bb.13:
	s_add_i32 s11, s8, -1
	s_mov_b64 s[0:1], 0
	s_branch .LBB38_17
.LBB38_14:
                                        ; implicit-def: $sgpr0_sgpr1
                                        ; implicit-def: $vgpr14
                                        ; implicit-def: $vgpr1
                                        ; implicit-def: $vgpr13
                                        ; implicit-def: $sgpr11
                                        ; implicit-def: $vgpr0
	s_branch .LBB38_18
.LBB38_15:
                                        ; implicit-def: $vgpr0_vgpr1
	s_branch .LBB38_10
.LBB38_16:
	s_mov_b64 s[0:1], -1
	s_mov_b32 s11, s8
	v_mov_b32_e32 v0, v8
.LBB38_17:
	v_lshl_add_u32 v14, s8, 10, v4
	v_ashrrev_i32_e32 v15, 31, v14
	v_lshlrev_b64 v[14:15], 2, v[14:15]
	v_mov_b32_e32 v1, s23
	v_add_co_u32_e32 v14, vcc, s22, v14
	v_addc_co_u32_e32 v15, vcc, v1, v15, vcc
	global_load_dword v14, v[14:15], off
	s_load_dwordx2 s[4:5], s[4:5], 0x0
	v_max_f32_e32 v1, v7, v7
	s_waitcnt lgkmcnt(0)
	v_max_f32_e64 v13, s4, s4
	v_max_f32_e32 v1, v1, v13
	v_sub_f32_e32 v13, v7, v1
	v_sub_f32_e32 v15, s4, v1
	v_mul_f32_e32 v16, 0x3fb8aa3b, v13
	v_mul_f32_e32 v17, 0x3fb8aa3b, v15
	v_fma_f32 v18, v13, s6, -v16
	v_rndne_f32_e32 v19, v16
	v_fma_f32 v20, v15, s6, -v17
	v_rndne_f32_e32 v21, v17
	v_fmac_f32_e32 v18, 0x32a5705f, v13
	v_sub_f32_e32 v16, v16, v19
	v_fmac_f32_e32 v20, 0x32a5705f, v15
	v_sub_f32_e32 v17, v17, v21
	v_add_f32_e32 v16, v16, v18
	v_cvt_i32_f32_e32 v19, v19
	v_add_f32_e32 v17, v17, v20
	v_exp_f32_e32 v16, v16
	v_cvt_i32_f32_e32 v21, v21
	v_exp_f32_e32 v17, v17
	v_cmp_ngt_f32_e32 vcc, s7, v13
	v_ldexp_f32 v16, v16, v19
	v_cndmask_b32_e32 v16, 0, v16, vcc
	v_ldexp_f32 v17, v17, v21
	v_cmp_ngt_f32_e32 vcc, s7, v15
	v_cndmask_b32_e32 v17, 0, v17, vcc
	v_cmp_nlt_f32_e32 vcc, s12, v13
	v_cndmask_b32_e32 v16, v12, v16, vcc
	v_cmp_nlt_f32_e32 vcc, s12, v15
	v_cndmask_b32_e32 v17, v12, v17, vcc
	v_cmp_le_f32_e32 vcc, s13, v13
	v_cndmask_b32_e32 v16, 0, v16, vcc
	v_cmp_le_f32_e32 vcc, s13, v15
	v_cndmask_b32_e32 v15, 0, v17, vcc
	v_mul_f32_e32 v13, s5, v15
	v_fmac_f32_e32 v13, v6, v16
	s_waitcnt vmcnt(0)
	v_mul_f32_e32 v14, v14, v15
	v_fmac_f32_e32 v14, v5, v16
	s_cbranch_execnz .LBB38_19
.LBB38_18:
	s_add_i32 s11, s8, -1
	s_mov_b64 s[0:1], 0
	v_mov_b32_e32 v0, v8
	v_mov_b32_e32 v13, v6
	;; [unrolled: 1-line block ×3, first 2 shown]
	s_waitcnt vmcnt(0)
	v_mov_b32_e32 v14, v5
.LBB38_19:
	s_andn2_b64 vcc, exec, s[0:1]
	s_cbranch_vccz .LBB38_23
; %bb.20:
	v_mov_b32_e32 v8, v0
	s_mov_b32 s8, s11
	v_mov_b32_e32 v6, v13
	v_mov_b32_e32 v7, v1
	s_waitcnt vmcnt(0)
	v_mov_b32_e32 v5, v14
	s_mul_hi_i32 s11, s8, s15
	s_cmp_lg_u64 s[10:11], 0
	s_mul_i32 s4, s8, s15
	s_cbranch_scc1 .LBB38_9
	s_branch .LBB38_15
.LBB38_21:
                                        ; implicit-def: $sgpr20_sgpr21
	s_load_dwordx4 s[16:19], s[4:5], 0x44
	s_branch .LBB38_2
.LBB38_22:
                                        ; implicit-def: $vgpr2_vgpr3
	s_branch .LBB38_5
.LBB38_23:
	v_div_scale_f32 v0, s[0:1], v13, v13, v14
	v_rcp_f32_e32 v1, v0
	v_div_scale_f32 v4, vcc, v14, v13, v14
	s_waitcnt vmcnt(0)
	v_fma_f32 v5, -v0, v1, 1.0
	v_fmac_f32_e32 v1, v5, v1
	v_mul_f32_e32 v5, v4, v1
	v_fma_f32 v6, -v0, v5, v4
	v_fmac_f32_e32 v5, v6, v1
	v_fma_f32 v0, -v0, v5, v4
	v_div_fmas_f32 v0, v0, v1, v5
	v_div_fixup_f32 v0, v0, v13, v14
	global_store_dword v[2:3], v0, off
.LBB38_24:
	s_endpgm
	.section	.rodata,"a",@progbits
	.p2align	6, 0x0
	.amdhsa_kernel _ZL33flash_attn_stream_k_fixup_generalILi256ELi2ELi2EEvPfPK15HIP_vector_typeIfLj2EEiiiiS1_IjLj3EES5_S5_S5_
		.amdhsa_group_segment_fixed_size 0
		.amdhsa_private_segment_fixed_size 0
		.amdhsa_kernarg_size 336
		.amdhsa_user_sgpr_count 6
		.amdhsa_user_sgpr_private_segment_buffer 1
		.amdhsa_user_sgpr_dispatch_ptr 0
		.amdhsa_user_sgpr_queue_ptr 0
		.amdhsa_user_sgpr_kernarg_segment_ptr 1
		.amdhsa_user_sgpr_dispatch_id 0
		.amdhsa_user_sgpr_flat_scratch_init 0
		.amdhsa_user_sgpr_kernarg_preload_length 0
		.amdhsa_user_sgpr_kernarg_preload_offset 0
		.amdhsa_user_sgpr_private_segment_size 0
		.amdhsa_uses_dynamic_stack 0
		.amdhsa_system_sgpr_private_segment_wavefront_offset 0
		.amdhsa_system_sgpr_workgroup_id_x 1
		.amdhsa_system_sgpr_workgroup_id_y 1
		.amdhsa_system_sgpr_workgroup_id_z 1
		.amdhsa_system_sgpr_workgroup_info 0
		.amdhsa_system_vgpr_workitem_id 0
		.amdhsa_next_free_vgpr 22
		.amdhsa_next_free_sgpr 32
		.amdhsa_accum_offset 24
		.amdhsa_reserve_vcc 1
		.amdhsa_reserve_flat_scratch 0
		.amdhsa_float_round_mode_32 0
		.amdhsa_float_round_mode_16_64 0
		.amdhsa_float_denorm_mode_32 3
		.amdhsa_float_denorm_mode_16_64 3
		.amdhsa_dx10_clamp 1
		.amdhsa_ieee_mode 1
		.amdhsa_fp16_overflow 0
		.amdhsa_tg_split 0
		.amdhsa_exception_fp_ieee_invalid_op 0
		.amdhsa_exception_fp_denorm_src 0
		.amdhsa_exception_fp_ieee_div_zero 0
		.amdhsa_exception_fp_ieee_overflow 0
		.amdhsa_exception_fp_ieee_underflow 0
		.amdhsa_exception_fp_ieee_inexact 0
		.amdhsa_exception_int_div_zero 0
	.end_amdhsa_kernel
	.section	.text._ZL33flash_attn_stream_k_fixup_generalILi256ELi2ELi2EEvPfPK15HIP_vector_typeIfLj2EEiiiiS1_IjLj3EES5_S5_S5_,"axG",@progbits,_ZL33flash_attn_stream_k_fixup_generalILi256ELi2ELi2EEvPfPK15HIP_vector_typeIfLj2EEiiiiS1_IjLj3EES5_S5_S5_,comdat
.Lfunc_end38:
	.size	_ZL33flash_attn_stream_k_fixup_generalILi256ELi2ELi2EEvPfPK15HIP_vector_typeIfLj2EEiiiiS1_IjLj3EES5_S5_S5_, .Lfunc_end38-_ZL33flash_attn_stream_k_fixup_generalILi256ELi2ELi2EEvPfPK15HIP_vector_typeIfLj2EEiiiiS1_IjLj3EES5_S5_S5_
                                        ; -- End function
	.section	.AMDGPU.csdata,"",@progbits
; Kernel info:
; codeLenInByte = 2824
; NumSgprs: 36
; NumVgprs: 22
; NumAgprs: 0
; TotalNumVgprs: 22
; ScratchSize: 0
; MemoryBound: 0
; FloatMode: 240
; IeeeMode: 1
; LDSByteSize: 0 bytes/workgroup (compile time only)
; SGPRBlocks: 4
; VGPRBlocks: 2
; NumSGPRsForWavesPerEU: 36
; NumVGPRsForWavesPerEU: 22
; AccumOffset: 24
; Occupancy: 8
; WaveLimiterHint : 0
; COMPUTE_PGM_RSRC2:SCRATCH_EN: 0
; COMPUTE_PGM_RSRC2:USER_SGPR: 6
; COMPUTE_PGM_RSRC2:TRAP_HANDLER: 0
; COMPUTE_PGM_RSRC2:TGID_X_EN: 1
; COMPUTE_PGM_RSRC2:TGID_Y_EN: 1
; COMPUTE_PGM_RSRC2:TGID_Z_EN: 1
; COMPUTE_PGM_RSRC2:TIDIG_COMP_CNT: 0
; COMPUTE_PGM_RSRC3_GFX90A:ACCUM_OFFSET: 5
; COMPUTE_PGM_RSRC3_GFX90A:TG_SPLIT: 0
	.section	.text._ZL15flash_attn_tileILi256ELi256ELi1ELi2ELb0EEvPKcS1_S1_S1_S1_PKiPfP15HIP_vector_typeIfLj2EEffffjfiS5_IjLj3EEiiiiiiiiiiiliiliiiiil,"axG",@progbits,_ZL15flash_attn_tileILi256ELi256ELi1ELi2ELb0EEvPKcS1_S1_S1_S1_PKiPfP15HIP_vector_typeIfLj2EEffffjfiS5_IjLj3EEiiiiiiiiiiiliiliiiiil,comdat
	.globl	_ZL15flash_attn_tileILi256ELi256ELi1ELi2ELb0EEvPKcS1_S1_S1_S1_PKiPfP15HIP_vector_typeIfLj2EEffffjfiS5_IjLj3EEiiiiiiiiiiiliiliiiiil ; -- Begin function _ZL15flash_attn_tileILi256ELi256ELi1ELi2ELb0EEvPKcS1_S1_S1_S1_PKiPfP15HIP_vector_typeIfLj2EEffffjfiS5_IjLj3EEiiiiiiiiiiiliiliiiiil
	.p2align	8
	.type	_ZL15flash_attn_tileILi256ELi256ELi1ELi2ELb0EEvPKcS1_S1_S1_S1_PKiPfP15HIP_vector_typeIfLj2EEffffjfiS5_IjLj3EEiiiiiiiiiiiliiliiiiil,@function
_ZL15flash_attn_tileILi256ELi256ELi1ELi2ELb0EEvPKcS1_S1_S1_S1_PKiPfP15HIP_vector_typeIfLj2EEffffjfiS5_IjLj3EEiiiiiiiiiiiliiliiiiil: ; @_ZL15flash_attn_tileILi256ELi256ELi1ELi2ELb0EEvPKcS1_S1_S1_S1_PKiPfP15HIP_vector_typeIfLj2EEffffjfiS5_IjLj3EEiiiiiiiiiiiliiliiiiil
; %bb.0:
	s_load_dwordx4 s[24:27], s[4:5], 0x5c
	s_load_dwordx2 s[2:3], s[4:5], 0x80
	s_load_dwordx2 s[30:31], s[4:5], 0xb8
	s_mov_b64 s[28:29], 0
	s_waitcnt lgkmcnt(0)
	s_lshr_b32 s0, s27, 31
	s_add_i32 s0, s27, s0
	s_ashr_i32 s0, s0, 1
	v_cvt_f32_u32_e32 v1, s0
	s_sub_i32 s1, 0, s0
	v_rcp_iflag_f32_e32 v1, v1
	v_mul_f32_e32 v1, 0x4f7ffffe, v1
	v_cvt_u32_f32_e32 v1, v1
	v_readfirstlane_b32 s9, v1
	s_mul_i32 s1, s1, s9
	s_mul_hi_u32 s1, s9, s1
	s_add_i32 s9, s9, s1
	s_mul_hi_u32 s1, s8, s9
	s_mul_i32 s9, s1, s0
	s_sub_i32 s9, s8, s9
	s_add_i32 s10, s1, 1
	s_sub_i32 s11, s9, s0
	s_cmp_ge_u32 s9, s0
	s_cselect_b32 s1, s10, s1
	s_cselect_b32 s9, s11, s9
	s_add_i32 s10, s1, 1
	s_cmp_ge_u32 s9, s0
	s_cselect_b32 s33, s10, s1
	s_abs_i32 s1, s3
	v_cvt_f32_u32_e32 v1, s1
	s_sub_i32 s9, 0, s1
	s_lshl_b32 s0, s8, 1
	s_abs_i32 s8, s27
	v_rcp_iflag_f32_e32 v1, v1
	s_xor_b32 s3, s27, s3
	s_ashr_i32 s3, s3, 31
	v_mul_f32_e32 v1, 0x4f7ffffe, v1
	v_cvt_u32_f32_e32 v1, v1
	v_readfirstlane_b32 s10, v1
	s_mul_i32 s9, s9, s10
	s_mul_hi_u32 s9, s10, s9
	s_add_i32 s10, s10, s9
	s_mul_hi_u32 s9, s8, s10
	s_mul_i32 s10, s9, s1
	s_sub_i32 s8, s8, s10
	s_add_i32 s11, s9, 1
	s_sub_i32 s10, s8, s1
	s_cmp_ge_u32 s8, s1
	s_cselect_b32 s9, s11, s9
	s_cselect_b32 s8, s10, s8
	s_add_i32 s10, s9, 1
	s_cmp_ge_u32 s8, s1
	s_cselect_b32 s1, s10, s9
	s_xor_b32 s1, s1, s3
	s_sub_i32 s35, s1, s3
	s_abs_i32 s34, s35
	v_cvt_f32_u32_e32 v1, s34
	s_load_dwordx16 s[8:23], s[4:5], 0x0
	s_mul_i32 s1, s33, s27
	v_rcp_iflag_f32_e32 v1, v1
	s_waitcnt lgkmcnt(0)
	s_cmp_eq_u64 s[14:15], 0
	v_mul_f32_e32 v1, 0x4f7ffffe, v1
	v_cvt_u32_f32_e32 v1, v1
	v_readfirstlane_b32 s36, v1
	s_cbranch_scc1 .LBB39_2
; %bb.1:
	s_abs_i32 s3, s30
	v_cvt_f32_u32_e32 v1, s3
	s_sub_i32 s38, 0, s3
	s_abs_i32 s37, s33
	s_ashr_i32 s30, s33, 31
	v_rcp_iflag_f32_e32 v1, v1
	s_load_dwordx2 s[28:29], s[4:5], 0xc8
	v_mul_f32_e32 v1, 0x4f7ffffe, v1
	v_cvt_u32_f32_e32 v1, v1
	v_readfirstlane_b32 s39, v1
	s_mul_i32 s38, s38, s39
	s_mul_hi_u32 s38, s39, s38
	s_add_i32 s39, s39, s38
	s_mul_hi_u32 s38, s37, s39
	s_mul_i32 s38, s38, s3
	s_sub_i32 s37, s37, s38
	s_sub_i32 s38, s37, s3
	s_cmp_ge_u32 s37, s3
	s_cselect_b32 s37, s38, s37
	s_sub_i32 s38, s37, s3
	s_cmp_ge_u32 s37, s3
	s_cselect_b32 s3, s38, s37
	s_xor_b32 s3, s3, s30
	s_sub_i32 s3, s3, s30
	s_ashr_i32 s30, s3, 31
	s_waitcnt lgkmcnt(0)
	s_mul_i32 s29, s3, s29
	s_mul_hi_u32 s37, s3, s28
	s_add_i32 s29, s37, s29
	s_mul_i32 s30, s30, s28
	s_add_i32 s29, s29, s30
	s_mul_i32 s3, s3, s28
	s_add_u32 s28, s14, s3
	s_addc_u32 s29, s15, s29
.LBB39_2:
	v_bfe_u32 v34, v0, 10, 10
	v_lshlrev_b32_e32 v35, 7, v34
	v_and_b32_e32 v5, 0x3ff, v0
	v_lshrrev_b32_e32 v32, 3, v34
	v_and_b32_e32 v1, 0x180, v35
	v_lshlrev_b32_e32 v4, 2, v5
	s_sub_i32 s14, s0, s1
	v_add_u32_e32 v0, v1, v4
	s_movk_i32 s0, 0x100
	v_add_u32_e32 v6, s6, v32
	v_bfe_u32 v33, v34, 2, 1
	v_cmp_gt_u32_e32 vcc, s0, v0
	v_mul_hi_u32 v8, s24, v6
	v_lshlrev_b32_e32 v36, 2, v4
	s_and_saveexec_b64 s[0:1], vcc
	s_cbranch_execz .LBB39_4
; %bb.3:
	s_load_dwordx4 s[40:43], s[4:5], 0x70
	v_lshlrev_b32_e32 v9, 6, v34
	v_and_b32_e32 v9, 0xc0, v9
	s_waitcnt lgkmcnt(0)
	s_mul_i32 s3, s33, s42
	s_ashr_i32 s24, s3, 31
	s_mul_i32 s15, s14, s41
	s_add_u32 s3, s8, s3
	s_addc_u32 s8, s9, s24
	s_ashr_i32 s9, s15, 31
	s_add_u32 s3, s3, s15
	v_mov_b32_e32 v0, s41
	s_addc_u32 s15, s8, s9
	s_ashr_i32 s8, s41, 31
	v_alignbit_b32 v0, s8, v0, 2
	v_mul_lo_u32 v2, v0, v33
	v_add_u32_e32 v0, v6, v8
	v_lshrrev_b32_e32 v0, s25, v0
	v_mul_lo_u32 v0, v0, s26
	v_sub_u32_e32 v7, v6, v0
	s_ashr_i32 s24, s40, 31
	v_mov_b32_e32 v0, s40
	s_lshr_b32 s8, s8, 2
	v_alignbit_b32 v0, s24, v0, 2
	v_mul_lo_u32 v3, s8, v33
	v_mad_u64_u32 v[10:11], s[8:9], v0, v7, 0
	v_mov_b32_e32 v0, v11
	s_lshr_b32 s8, s24, 2
	v_mad_u64_u32 v[12:13], s[8:9], s8, v7, v[0:1]
	v_lshlrev_b64 v[2:3], 2, v[2:3]
	v_mov_b32_e32 v11, v12
	v_mov_b32_e32 v0, s15
	v_add_co_u32_e32 v7, vcc, s3, v2
	v_addc_co_u32_e32 v0, vcc, v0, v3, vcc
	v_lshlrev_b64 v[2:3], 2, v[10:11]
	v_add_co_u32_e32 v2, vcc, v7, v2
	v_addc_co_u32_e32 v0, vcc, v0, v3, vcc
	v_lshlrev_b32_e32 v1, 2, v1
	v_add_co_u32_e32 v1, vcc, v2, v1
	v_addc_co_u32_e32 v2, vcc, 0, v0, vcc
	v_add_co_u32_e32 v0, vcc, v1, v36
	v_addc_co_u32_e32 v1, vcc, 0, v2, vcc
	global_load_dwordx4 v[0:3], v[0:1], off
	s_load_dword s8, s[4:5], 0x40
	v_lshrrev_b32_e32 v7, 2, v34
	v_lshlrev_b32_e32 v7, 7, v7
	s_waitcnt vmcnt(0) lgkmcnt(0)
	v_pk_mul_f32 v[0:1], v[0:1], s[8:9] op_sel_hi:[1,0]
	v_pk_mul_f32 v[2:3], v[2:3], s[8:9] op_sel_hi:[1,0]
	v_cvt_f16_f32_e32 v10, v1
	v_cvt_f16_f32_e32 v1, v3
	;; [unrolled: 1-line block ×4, first 2 shown]
	v_lshl_add_u32 v3, v5, 1, v9
	v_add_lshl_u32 v3, v3, v7, 2
	v_pack_b32_f16 v1, v2, v1
	v_pack_b32_f16 v0, v0, v10
	ds_write_b64 v3, v[0:1] offset:18432
.LBB39_4:
	s_or_b64 exec, exec, s[0:1]
	s_cmp_eq_u64 s[18:19], 0
	s_waitcnt lgkmcnt(0)
	s_barrier
	s_cbranch_scc1 .LBB39_6
; %bb.5:
	s_load_dword s0, s[4:5], 0xd0
	s_mov_b32 s1, 0
	s_waitcnt lgkmcnt(0)
	s_mul_i32 s0, s0, s33
	s_add_i32 s0, s0, s6
	s_lshl_b64 s[0:1], s[0:1], 2
	s_add_u32 s0, s18, s0
	s_addc_u32 s1, s19, s1
	s_load_dword s2, s[0:1], 0x0
.LBB39_6:
	s_lshl_b32 s3, s7, 7
	s_waitcnt lgkmcnt(0)
	s_cmp_lt_i32 s3, s2
	v_mbcnt_lo_u32_b32 v16, -1, 0
	v_and_b32_e32 v38, 3, v34
	s_cbranch_scc1 .LBB39_8
; %bb.7:
	v_mbcnt_hi_u32_b32 v7, -1, v16
	v_and_b32_e32 v0, 0x60, v7
	s_mov_b32 s8, 0
	v_add_u32_e32 v39, 32, v0
	v_xor_b32_e32 v44, 16, v7
	v_xor_b32_e32 v43, 8, v7
	;; [unrolled: 1-line block ×5, first 2 shown]
	v_and_b32_e32 v9, 3, v34
	s_mov_b64 s[0:1], 0
	s_mov_b32 s9, 0xfeffffff
	s_branch .LBB39_9
.LBB39_8:
	s_mov_b64 s[0:1], -1
                                        ; implicit-def: $sgpr9
                                        ; implicit-def: $sgpr8
                                        ; implicit-def: $vgpr7
                                        ; implicit-def: $vgpr39
                                        ; implicit-def: $vgpr44
                                        ; implicit-def: $vgpr43
                                        ; implicit-def: $vgpr42
                                        ; implicit-def: $vgpr41
                                        ; implicit-def: $vgpr40
                                        ; implicit-def: $vgpr9
.LBB39_9:
	s_andn2_b64 vcc, exec, s[0:1]
	v_mov_b32_e32 v24, s9
	v_mov_b32_e32 v57, s8
	;; [unrolled: 1-line block ×3, first 2 shown]
	v_lshlrev_b32_e32 v37, 2, v34
	v_cmp_eq_u32_e64 s[0:1], 0, v5
	v_mov_b32_e32 v2, s8
	v_mov_b32_e32 v0, s8
	;; [unrolled: 1-line block ×3, first 2 shown]
	s_cbranch_vccnz .LBB39_16
; %bb.10:
	s_sub_i32 s8, 0, s34
	s_mul_i32 s8, s8, s36
	s_mul_hi_u32 s8, s36, s8
	s_add_i32 s15, s36, s8
	s_load_dwordx2 s[8:9], s[4:5], 0x8c
	s_load_dwordx4 s[36:39], s[4:5], 0x98
	s_abs_i32 s19, s14
	s_mul_hi_u32 s24, s19, s15
	s_ashr_i32 s30, s14, 31
	s_waitcnt lgkmcnt(0)
	s_ashr_i32 s18, s8, 2
	s_ashr_i32 s15, s38, 2
	;; [unrolled: 1-line block ×4, first 2 shown]
	s_mul_i32 s37, s33, s37
	s_mul_hi_u32 s38, s33, s36
	s_add_i32 s37, s38, s37
	s_mul_i32 s38, s31, s36
	s_ashr_i32 s35, s35, 31
	s_add_i32 s37, s37, s38
	s_mul_i32 s36, s33, s36
	s_add_u32 s10, s10, s36
	s_addc_u32 s11, s11, s37
	s_xor_b32 s30, s30, s35
	s_mul_i32 s35, s24, s34
	s_sub_i32 s19, s19, s35
	s_add_i32 s35, s24, 1
	s_sub_i32 s36, s19, s34
	s_cmp_ge_u32 s19, s34
	s_cselect_b32 s24, s35, s24
	s_cselect_b32 s19, s36, s19
	s_add_i32 s35, s24, 1
	s_cmp_ge_u32 s19, s34
	s_load_dwordx2 s[40:41], s[4:5], 0xa8
	s_cselect_b32 s19, s35, s24
	s_xor_b32 s19, s19, s30
	s_sub_i32 s30, s19, s30
	s_mul_i32 s9, s30, s9
	s_ashr_i32 s24, s9, 31
	s_add_u32 s19, s10, s9
	s_waitcnt lgkmcnt(0)
	s_mul_i32 s9, s33, s41
	s_mul_hi_u32 s10, s33, s40
	s_addc_u32 s24, s11, s24
	s_add_i32 s9, s10, s9
	s_mul_i32 s31, s31, s40
	s_add_i32 s9, s9, s31
	s_mul_i32 s10, s33, s40
	s_add_u32 s10, s12, s10
	s_mul_i32 s30, s30, s39
	v_lshlrev_b32_e32 v7, 5, v34
	s_addc_u32 s9, s13, s9
	s_ashr_i32 s11, s30, 31
	v_lshrrev_b32_e32 v0, 3, v5
	v_and_b32_e32 v9, 0x60, v7
	s_add_u32 s12, s10, s30
	v_add_u32_e32 v2, v0, v37
	v_and_b32_e32 v0, 28, v4
	v_add_u32_e32 v18, v9, v5
	v_and_b32_e32 v9, 0x7f80, v7
	v_mov_b32_e32 v7, 0x4800
	s_addc_u32 s13, s9, s11
	v_lshlrev_b32_e32 v3, 2, v0
	s_movk_i32 s9, 0x90
	v_lshl_add_u32 v50, v9, 2, v7
	v_add_u32_e32 v7, v6, v8
	v_mad_u32_u24 v45, v2, s9, v3
	v_mul_lo_u32 v2, s18, v2
	s_lshl_b32 s9, s18, 5
	v_lshrrev_b32_e32 v7, s25, v7
	v_add_u32_e32 v10, s9, v2
	v_mul_lo_u32 v7, v7, s26
	v_add_u32_e32 v12, s9, v10
	v_sub_u32_e32 v6, v6, v7
	v_add_u32_e32 v14, s9, v12
	v_mad_u64_u32 v[6:7], s[8:9], v6, s8, v[18:19]
	v_and_b32_e32 v7, 3, v5
	s_movk_i32 s8, 0x3fc
	v_and_or_b32 v7, v34, s8, v7
	v_mov_b32_e32 v8, 0x4e00
	v_lshl_add_u32 v52, v7, 2, v8
	v_mov_b32_e32 v7, 0x4c00
	v_lshl_add_u32 v7, v9, 1, v7
	v_mul_u32_u24_e32 v49, 0x90, v18
	v_lshl_add_u32 v53, v18, 1, v7
	v_mul_lo_u32 v18, s15, v34
	s_lshl_b32 s8, s15, 3
	v_add_u32_e32 v20, s8, v18
	v_add_u32_e32 v22, s8, v20
	;; [unrolled: 1-line block ×3, first 2 shown]
	v_lshlrev_b32_e32 v60, 9, v38
	v_lshl_or_b32 v61, v38, 1, v7
	v_mbcnt_hi_u32_b32 v7, -1, v16
	v_mov_b32_e32 v1, 0
	v_ashrrev_i32_e32 v3, 31, v2
	v_ashrrev_i32_e32 v11, 31, v10
	;; [unrolled: 1-line block ×4, first 2 shown]
	v_lshl_add_u32 v54, v34, 9, v36
	v_ashrrev_i32_e32 v19, 31, v18
	v_ashrrev_i32_e32 v21, 31, v20
	v_ashrrev_i32_e32 v23, 31, v22
	v_ashrrev_i32_e32 v25, 31, v24
	v_lshlrev_b32_e32 v59, 3, v5
	v_or_b32_e32 v26, 0x800, v60
	v_or_b32_e32 v27, 0x1000, v60
	;; [unrolled: 1-line block ×7, first 2 shown]
	s_add_u32 s8, s4, 0xd0
	v_lshlrev_b32_e32 v62, 2, v0
	v_and_b32_e32 v0, 0x60, v7
	v_add_u32_e32 v46, 0x1200, v45
	v_add_u32_e32 v47, 0x2400, v45
	;; [unrolled: 1-line block ×7, first 2 shown]
	s_addc_u32 s9, s5, 0
	v_mov_b32_e32 v73, 0xfeffffff
	v_lshlrev_b64 v[8:9], 2, v[2:3]
	v_lshlrev_b64 v[10:11], 2, v[10:11]
	v_lshlrev_b64 v[12:13], 2, v[12:13]
	v_lshlrev_b64 v[14:15], 2, v[14:15]
	v_mov_b32_e32 v63, s29
	v_add_u32_e32 v39, 32, v0
	v_xor_b32_e32 v44, 16, v7
	v_xor_b32_e32 v43, 8, v7
	;; [unrolled: 1-line block ×5, first 2 shown]
	s_mov_b32 s25, 0x3fb8aa3b
	s_mov_b32 s29, 0xc2ce8ed0
	;; [unrolled: 1-line block ×3, first 2 shown]
	v_lshlrev_b64 v[16:17], 2, v[18:19]
	v_lshlrev_b32_e32 v64, 2, v4
	v_lshlrev_b64 v[18:19], 2, v[20:21]
	v_lshlrev_b64 v[20:21], 2, v[22:23]
	v_lshlrev_b64 v[22:23], 2, v[24:25]
	v_add_u32_e32 v65, v59, v26
	v_add_u32_e32 v66, v59, v27
	;; [unrolled: 1-line block ×7, first 2 shown]
	v_mov_b32_e32 v72, 0x7f800000
	v_mov_b32_e32 v0, v1
	;; [unrolled: 1-line block ×5, first 2 shown]
.LBB39_11:                              ; =>This Inner Loop Header: Depth=1
	s_mul_hi_i32 s11, s3, s18
	s_mul_i32 s10, s3, s18
	s_lshl_b64 s[10:11], s[10:11], 2
	s_add_u32 s10, s19, s10
	s_addc_u32 s11, s24, s11
	v_mov_b32_e32 v24, s11
	v_add_co_u32_e32 v25, vcc, s10, v8
	v_addc_co_u32_e32 v26, vcc, v24, v9, vcc
	v_add_co_u32_e32 v24, vcc, v25, v62
	v_addc_co_u32_e32 v25, vcc, 0, v26, vcc
	v_mov_b32_e32 v26, s11
	v_add_co_u32_e32 v27, vcc, s10, v10
	v_addc_co_u32_e32 v28, vcc, v26, v11, vcc
	v_add_co_u32_e32 v26, vcc, v27, v62
	v_addc_co_u32_e32 v27, vcc, 0, v28, vcc
	;; [unrolled: 5-line block ×3, first 2 shown]
	v_mov_b32_e32 v30, s11
	v_add_co_u32_e32 v31, vcc, s10, v14
	v_addc_co_u32_e32 v82, vcc, v30, v15, vcc
	v_add_co_u32_e32 v30, vcc, v31, v62
	global_load_dwordx4 v[74:77], v[24:25], off
	global_load_dwordx4 v[78:81], v[26:27], off
	v_addc_co_u32_e32 v31, vcc, 0, v82, vcc
	global_load_dwordx4 v[82:85], v[28:29], off
	global_load_dwordx4 v[86:89], v[30:31], off
	s_waitcnt vmcnt(3)
	ds_write_b128 v45, v[74:77]
	s_waitcnt vmcnt(2)
	ds_write_b128 v46, v[78:81]
	;; [unrolled: 2-line block ×4, first 2 shown]
	s_waitcnt lgkmcnt(0)
	s_barrier
	ds_read_b128 v[76:79], v49
	ds_read_b128 v[80:83], v50
	v_mov_b32_e32 v74, 0
	s_waitcnt lgkmcnt(0)
	;;#ASMSTART
	v_dot2_f32_f16 v74, v76, v80, v74
	;;#ASMEND
	;;#ASMSTART
	v_dot2_f32_f16 v74, v77, v81, v74
	;;#ASMEND
	;;#ASMSTART
	v_dot2_f32_f16 v74, v78, v82, v74
	;;#ASMEND
	;;#ASMSTART
	v_dot2_f32_f16 v74, v79, v83, v74
	;;#ASMEND
	ds_read_b128 v[76:79], v49 offset:16
	ds_read_b128 v[80:83], v50 offset:16
	s_waitcnt lgkmcnt(0)
	;;#ASMSTART
	v_dot2_f32_f16 v74, v76, v80, v74
	;;#ASMEND
	;;#ASMSTART
	v_dot2_f32_f16 v74, v77, v81, v74
	;;#ASMEND
	;;#ASMSTART
	v_dot2_f32_f16 v74, v78, v82, v74
	;;#ASMEND
	;;#ASMSTART
	v_dot2_f32_f16 v74, v79, v83, v74
	;;#ASMEND
	ds_read_b128 v[76:79], v49 offset:32
	ds_read_b128 v[80:83], v50 offset:32
	;; [unrolled: 15-line block ×7, first 2 shown]
	s_waitcnt lgkmcnt(0)
	;;#ASMSTART
	v_dot2_f32_f16 v74, v76, v80, v74
	;;#ASMEND
	;;#ASMSTART
	v_dot2_f32_f16 v74, v77, v81, v74
	;;#ASMEND
	;; [unrolled: 3-line block ×4, first 2 shown]
	s_barrier
	global_load_dwordx4 v[76:79], v[24:25], off offset:128
	global_load_dwordx4 v[80:83], v[26:27], off offset:128
	global_load_dwordx4 v[84:87], v[28:29], off offset:128
	global_load_dwordx4 v[88:91], v[30:31], off offset:128
	s_waitcnt vmcnt(3)
	ds_write_b128 v45, v[76:79]
	s_waitcnt vmcnt(2)
	ds_write_b128 v46, v[80:83]
	;; [unrolled: 2-line block ×4, first 2 shown]
	s_waitcnt lgkmcnt(0)
	s_barrier
	ds_read_b128 v[76:79], v49
	ds_read_b128 v[80:83], v50 offset:128
	s_waitcnt lgkmcnt(0)
	;;#ASMSTART
	v_dot2_f32_f16 v74, v76, v80, v74
	;;#ASMEND
	;;#ASMSTART
	v_dot2_f32_f16 v74, v77, v81, v74
	;;#ASMEND
	;;#ASMSTART
	v_dot2_f32_f16 v74, v78, v82, v74
	;;#ASMEND
	;;#ASMSTART
	v_dot2_f32_f16 v74, v79, v83, v74
	;;#ASMEND
	ds_read_b128 v[76:79], v49 offset:16
	ds_read_b128 v[80:83], v50 offset:144
	s_waitcnt lgkmcnt(0)
	;;#ASMSTART
	v_dot2_f32_f16 v74, v76, v80, v74
	;;#ASMEND
	;;#ASMSTART
	v_dot2_f32_f16 v74, v77, v81, v74
	;;#ASMEND
	;;#ASMSTART
	v_dot2_f32_f16 v74, v78, v82, v74
	;;#ASMEND
	;;#ASMSTART
	v_dot2_f32_f16 v74, v79, v83, v74
	;;#ASMEND
	ds_read_b128 v[76:79], v49 offset:32
	;; [unrolled: 15-line block ×7, first 2 shown]
	ds_read_b128 v[80:83], v50 offset:240
	s_waitcnt lgkmcnt(0)
	;;#ASMSTART
	v_dot2_f32_f16 v74, v76, v80, v74
	;;#ASMEND
	;;#ASMSTART
	v_dot2_f32_f16 v74, v77, v81, v74
	;;#ASMEND
	;; [unrolled: 3-line block ×4, first 2 shown]
	s_barrier
	global_load_dwordx4 v[76:79], v[24:25], off offset:256
	global_load_dwordx4 v[80:83], v[26:27], off offset:256
	;; [unrolled: 1-line block ×4, first 2 shown]
	s_waitcnt vmcnt(3)
	ds_write_b128 v45, v[76:79]
	s_waitcnt vmcnt(2)
	ds_write_b128 v46, v[80:83]
	;; [unrolled: 2-line block ×4, first 2 shown]
	s_waitcnt lgkmcnt(0)
	s_barrier
	ds_read_b128 v[76:79], v49
	ds_read_b128 v[80:83], v50 offset:256
	s_waitcnt lgkmcnt(0)
	;;#ASMSTART
	v_dot2_f32_f16 v74, v76, v80, v74
	;;#ASMEND
	;;#ASMSTART
	v_dot2_f32_f16 v74, v77, v81, v74
	;;#ASMEND
	;;#ASMSTART
	v_dot2_f32_f16 v74, v78, v82, v74
	;;#ASMEND
	;;#ASMSTART
	v_dot2_f32_f16 v74, v79, v83, v74
	;;#ASMEND
	ds_read_b128 v[76:79], v49 offset:16
	ds_read_b128 v[80:83], v50 offset:272
	s_waitcnt lgkmcnt(0)
	;;#ASMSTART
	v_dot2_f32_f16 v74, v76, v80, v74
	;;#ASMEND
	;;#ASMSTART
	v_dot2_f32_f16 v74, v77, v81, v74
	;;#ASMEND
	;;#ASMSTART
	v_dot2_f32_f16 v74, v78, v82, v74
	;;#ASMEND
	;;#ASMSTART
	v_dot2_f32_f16 v74, v79, v83, v74
	;;#ASMEND
	ds_read_b128 v[76:79], v49 offset:32
	;; [unrolled: 15-line block ×7, first 2 shown]
	ds_read_b128 v[80:83], v50 offset:368
	s_waitcnt lgkmcnt(0)
	;;#ASMSTART
	v_dot2_f32_f16 v74, v76, v80, v74
	;;#ASMEND
	;;#ASMSTART
	v_dot2_f32_f16 v74, v77, v81, v74
	;;#ASMEND
	;; [unrolled: 3-line block ×4, first 2 shown]
	s_barrier
	global_load_dwordx4 v[76:79], v[24:25], off offset:384
	global_load_dwordx4 v[80:83], v[26:27], off offset:384
	;; [unrolled: 1-line block ×4, first 2 shown]
	s_waitcnt vmcnt(3)
	ds_write_b128 v45, v[76:79]
	s_waitcnt vmcnt(2)
	ds_write_b128 v46, v[80:83]
	;; [unrolled: 2-line block ×4, first 2 shown]
	s_waitcnt lgkmcnt(0)
	s_barrier
	ds_read_b128 v[24:27], v49
	ds_read_b128 v[28:31], v50 offset:384
	s_waitcnt lgkmcnt(0)
	;;#ASMSTART
	v_dot2_f32_f16 v74, v24, v28, v74
	;;#ASMEND
	;;#ASMSTART
	v_dot2_f32_f16 v74, v25, v29, v74
	;;#ASMEND
	;;#ASMSTART
	v_dot2_f32_f16 v74, v26, v30, v74
	;;#ASMEND
	;;#ASMSTART
	v_dot2_f32_f16 v74, v27, v31, v74
	;;#ASMEND
	ds_read_b128 v[24:27], v49 offset:16
	ds_read_b128 v[28:31], v50 offset:400
	s_waitcnt lgkmcnt(0)
	;;#ASMSTART
	v_dot2_f32_f16 v74, v24, v28, v74
	;;#ASMEND
	;;#ASMSTART
	v_dot2_f32_f16 v74, v25, v29, v74
	;;#ASMEND
	;;#ASMSTART
	v_dot2_f32_f16 v74, v26, v30, v74
	;;#ASMEND
	;;#ASMSTART
	v_dot2_f32_f16 v74, v27, v31, v74
	;;#ASMEND
	ds_read_b128 v[24:27], v49 offset:32
	;; [unrolled: 15-line block ×7, first 2 shown]
	ds_read_b128 v[28:31], v50 offset:496
	v_add_u32_e32 v76, s3, v6
	v_ashrrev_i32_e32 v77, 31, v76
	v_lshlrev_b64 v[76:77], 1, v[76:77]
	s_waitcnt lgkmcnt(0)
	;;#ASMSTART
	v_dot2_f32_f16 v74, v24, v28, v74
	;;#ASMEND
	v_add_co_u32_e32 v76, vcc, s28, v76
	;;#ASMSTART
	v_dot2_f32_f16 v74, v25, v29, v74
	;;#ASMEND
	v_addc_co_u32_e32 v77, vcc, v63, v77, vcc
	;;#ASMSTART
	v_dot2_f32_f16 v74, v26, v30, v74
	;;#ASMEND
	;;#ASMSTART
	v_dot2_f32_f16 v74, v27, v31, v74
	;;#ASMEND
	flat_load_ushort v24, v[76:77]
	v_cmp_lt_i32_e32 vcc, v44, v39
	v_cndmask_b32_e32 v25, v7, v44, vcc
	v_lshlrev_b32_e32 v27, 2, v25
	v_max_f32_e32 v26, v73, v73
	v_cmp_lt_i32_e32 vcc, v43, v39
	s_waitcnt vmcnt(0) lgkmcnt(0)
	v_cvt_f32_f16_e32 v24, v24
	v_add_f32_e32 v25, v74, v24
	v_add_f32_e32 v24, 0x40051340, v25
	v_max_f32_e32 v24, v26, v24
	ds_bpermute_b32 v26, v27, v24
	v_cndmask_b32_e32 v27, v7, v43, vcc
	v_lshlrev_b32_e32 v27, 2, v27
	v_cmp_lt_i32_e32 vcc, v42, v39
	s_waitcnt lgkmcnt(0)
	v_max_f32_e32 v26, v26, v26
	v_max_f32_e32 v24, v24, v26
	ds_bpermute_b32 v26, v27, v24
	v_cndmask_b32_e32 v27, v7, v42, vcc
	v_lshlrev_b32_e32 v27, 2, v27
	v_cmp_lt_i32_e32 vcc, v41, v39
	s_waitcnt lgkmcnt(0)
	v_max_f32_e32 v26, v26, v26
	;; [unrolled: 7-line block ×3, first 2 shown]
	v_max_f32_e32 v24, v24, v26
	ds_bpermute_b32 v26, v27, v24
	v_cndmask_b32_e32 v27, v7, v40, vcc
	s_waitcnt lgkmcnt(0)
	v_max_f32_e32 v26, v26, v26
	v_max_f32_e32 v24, v24, v26
	v_lshlrev_b32_e32 v26, 2, v27
	ds_bpermute_b32 v26, v26, v24
	s_and_saveexec_b64 s[10:11], s[0:1]
	s_cbranch_execz .LBB39_13
; %bb.12:                               ;   in Loop: Header=BB39_11 Depth=1
	s_waitcnt lgkmcnt(0)
	v_max_f32_e32 v26, v26, v26
	v_max_f32_e32 v24, v24, v24
	;; [unrolled: 1-line block ×3, first 2 shown]
	ds_write_b32 v51, v24
.LBB39_13:                              ;   in Loop: Header=BB39_11 Depth=1
	s_or_b64 exec, exec, s[10:11]
	s_waitcnt lgkmcnt(0)
	s_barrier
	ds_read_b32 v24, v52
	v_and_b32_e32 v26, 0x7c, v7
	v_add_u32_e32 v26, 4, v26
	v_cmp_lt_i32_e32 vcc, v41, v26
	v_cndmask_b32_e32 v27, v7, v41, vcc
	v_lshlrev_b32_e32 v27, 2, v27
	s_waitcnt lgkmcnt(0)
	ds_bpermute_b32 v27, v27, v24
	v_cmp_lt_i32_e32 vcc, v40, v26
	v_max_f32_e32 v24, v24, v24
	v_cndmask_b32_e32 v26, v7, v40, vcc
	v_lshlrev_b32_e32 v26, 2, v26
	s_waitcnt lgkmcnt(0)
	v_max_f32_e32 v27, v27, v27
	v_max_f32_e32 v24, v24, v27
	ds_bpermute_b32 v26, v26, v24
	s_mul_hi_i32 s11, s3, s15
	s_mul_i32 s10, s3, s15
	s_lshl_b64 s[10:11], s[10:11], 2
	s_add_u32 s10, s12, s10
	s_waitcnt lgkmcnt(0)
	v_max_f32_e32 v26, v26, v26
	v_max_f32_e32 v24, v24, v26
	v_sub_f32_e32 v26, v73, v24
	v_mul_f32_e32 v27, 0x3fb8aa3b, v26
	v_fma_f32 v28, v26, s25, -v27
	v_rndne_f32_e32 v29, v27
	v_fmac_f32_e32 v28, 0x32a5705f, v26
	v_sub_f32_e32 v27, v27, v29
	v_add_f32_e32 v27, v27, v28
	v_exp_f32_e32 v27, v27
	v_cvt_i32_f32_e32 v28, v29
	v_cmp_ngt_f32_e32 vcc, s29, v26
	v_sub_f32_e32 v25, v25, v24
	s_addc_u32 s11, s13, s11
	v_ldexp_f32 v27, v27, v28
	v_cndmask_b32_e32 v27, 0, v27, vcc
	v_cmp_nlt_f32_e32 vcc, s30, v26
	v_cndmask_b32_e32 v26, v72, v27, vcc
	v_mul_f32_e32 v27, 0x3fb8aa3b, v25
	v_fma_f32 v28, v25, s25, -v27
	v_rndne_f32_e32 v29, v27
	v_fmac_f32_e32 v28, 0x32a5705f, v25
	v_sub_f32_e32 v27, v27, v29
	v_add_f32_e32 v27, v27, v28
	v_exp_f32_e32 v27, v27
	v_cvt_i32_f32_e32 v28, v29
	v_cvt_f16_f32_e32 v30, v26
	v_cmp_ngt_f32_e32 vcc, s29, v25
	v_ldexp_f32 v27, v27, v28
	v_cndmask_b32_e32 v27, 0, v27, vcc
	v_cmp_nlt_f32_e32 vcc, s30, v25
	v_cndmask_b32_e32 v25, v72, v27, vcc
	v_pk_mul_f16 v31, v2, v30 op_sel_hi:[1,0]
	v_cvt_f16_f32_e32 v2, v25
	v_pk_mul_f16 v73, v30, v3 op_sel_hi:[0,1]
	v_mov_b32_e32 v3, s11
	v_fma_f32 v57, v57, v26, v25
	ds_write_b16 v53, v2
	v_add_co_u32_e32 v2, vcc, s10, v16
	v_addc_co_u32_e32 v3, vcc, v3, v17, vcc
	v_add_co_u32_e32 v2, vcc, v2, v64
	v_addc_co_u32_e32 v3, vcc, 0, v3, vcc
	global_load_dwordx4 v[26:29], v[2:3], off
	v_add_co_u32_e32 v2, vcc, s10, v18
	v_mov_b32_e32 v3, s11
	v_addc_co_u32_e32 v3, vcc, v3, v19, vcc
	v_add_co_u32_e32 v2, vcc, v2, v64
	v_addc_co_u32_e32 v3, vcc, 0, v3, vcc
	s_waitcnt vmcnt(0)
	ds_write_b128 v54, v[26:29]
	global_load_dwordx4 v[26:29], v[2:3], off
	v_add_co_u32_e32 v2, vcc, s10, v20
	v_mov_b32_e32 v3, s11
	v_addc_co_u32_e32 v3, vcc, v3, v21, vcc
	v_add_co_u32_e32 v2, vcc, v2, v64
	v_addc_co_u32_e32 v3, vcc, 0, v3, vcc
	s_waitcnt vmcnt(0)
	ds_write_b128 v55, v[26:29]
	global_load_dwordx4 v[26:29], v[2:3], off
	v_add_co_u32_e32 v2, vcc, s10, v22
	v_mov_b32_e32 v3, s11
	v_addc_co_u32_e32 v3, vcc, v3, v23, vcc
	v_add_co_u32_e32 v2, vcc, v2, v64
	v_addc_co_u32_e32 v3, vcc, 0, v3, vcc
	s_or_b32 s10, s3, 32
	s_mul_hi_i32 s11, s10, s15
	s_mul_i32 s10, s10, s15
	s_lshl_b64 s[10:11], s[10:11], 2
	s_add_u32 s10, s12, s10
	s_addc_u32 s11, s13, s11
	s_waitcnt vmcnt(0)
	ds_write_b128 v56, v[26:29]
	global_load_dwordx4 v[26:29], v[2:3], off
	v_add_u32_e32 v2, v59, v60
	s_waitcnt vmcnt(0)
	ds_write_b128 v58, v[26:29]
	s_waitcnt lgkmcnt(0)
	s_barrier
	ds_read2_b64 v[26:29], v2 offset1:32
	ds_read_u16 v3, v61
	ds_read_u16 v25, v61 offset:8
	ds_read_u16 v74, v61 offset:16
	;; [unrolled: 1-line block ×7, first 2 shown]
	s_waitcnt lgkmcnt(7)
	v_pk_mul_f16 v26, v26, v3 op_sel_hi:[1,0]
	v_pk_fma_f16 v0, v0, v30, v26 op_sel_hi:[1,0,1]
	v_pk_mul_f16 v26, v27, v3 op_sel_hi:[1,0]
	v_pk_fma_f16 v1, v1, v30, v26 op_sel_hi:[1,0,1]
	v_pk_fma_f16 v30, v28, v3, v31 op_sel_hi:[1,0,1]
	v_pk_fma_f16 v3, v29, v3, v73 op_sel_hi:[1,0,1]
	ds_read2_b64 v[26:29], v65 offset1:32
	s_waitcnt lgkmcnt(0)
	v_pk_fma_f16 v0, v26, v25, v0 op_sel_hi:[1,0,1]
	v_pk_fma_f16 v1, v27, v25, v1 op_sel_hi:[1,0,1]
	v_pk_fma_f16 v30, v28, v25, v30 op_sel_hi:[1,0,1]
	v_pk_fma_f16 v3, v29, v25, v3 op_sel_hi:[1,0,1]
	ds_read2_b64 v[26:29], v66 offset1:32
	s_waitcnt lgkmcnt(0)
	v_pk_fma_f16 v0, v26, v74, v0 op_sel_hi:[1,0,1]
	v_pk_fma_f16 v1, v27, v74, v1 op_sel_hi:[1,0,1]
	v_pk_fma_f16 v25, v28, v74, v30 op_sel_hi:[1,0,1]
	v_pk_fma_f16 v3, v29, v74, v3 op_sel_hi:[1,0,1]
	ds_read2_b64 v[26:29], v67 offset1:32
	s_waitcnt lgkmcnt(0)
	v_pk_fma_f16 v0, v26, v75, v0 op_sel_hi:[1,0,1]
	v_pk_fma_f16 v1, v27, v75, v1 op_sel_hi:[1,0,1]
	v_pk_fma_f16 v25, v28, v75, v25 op_sel_hi:[1,0,1]
	v_pk_fma_f16 v3, v29, v75, v3 op_sel_hi:[1,0,1]
	ds_read2_b64 v[26:29], v68 offset1:32
	s_waitcnt lgkmcnt(0)
	v_pk_fma_f16 v0, v26, v76, v0 op_sel_hi:[1,0,1]
	v_pk_fma_f16 v1, v27, v76, v1 op_sel_hi:[1,0,1]
	v_pk_fma_f16 v25, v28, v76, v25 op_sel_hi:[1,0,1]
	v_pk_fma_f16 v3, v29, v76, v3 op_sel_hi:[1,0,1]
	ds_read2_b64 v[26:29], v69 offset1:32
	s_waitcnt lgkmcnt(0)
	v_pk_fma_f16 v0, v26, v77, v0 op_sel_hi:[1,0,1]
	v_pk_fma_f16 v1, v27, v77, v1 op_sel_hi:[1,0,1]
	v_pk_fma_f16 v25, v28, v77, v25 op_sel_hi:[1,0,1]
	v_pk_fma_f16 v3, v29, v77, v3 op_sel_hi:[1,0,1]
	ds_read2_b64 v[26:29], v70 offset1:32
	s_waitcnt lgkmcnt(0)
	v_pk_fma_f16 v0, v26, v78, v0 op_sel_hi:[1,0,1]
	v_pk_fma_f16 v1, v27, v78, v1 op_sel_hi:[1,0,1]
	v_pk_fma_f16 v25, v28, v78, v25 op_sel_hi:[1,0,1]
	;; [unrolled: 1-line block ×3, first 2 shown]
	ds_read2_b64 v[26:29], v71 offset1:32
	s_waitcnt lgkmcnt(0)
	s_barrier
	v_pk_fma_f16 v30, v26, v79, v0 op_sel_hi:[1,0,1]
	v_pk_fma_f16 v31, v27, v79, v1 op_sel_hi:[1,0,1]
	v_add_co_u32_e32 v0, vcc, s10, v16
	v_mov_b32_e32 v1, s11
	v_addc_co_u32_e32 v1, vcc, v1, v17, vcc
	v_add_co_u32_e32 v0, vcc, v0, v64
	v_addc_co_u32_e32 v1, vcc, 0, v1, vcc
	v_pk_fma_f16 v25, v28, v79, v25 op_sel_hi:[1,0,1]
	v_pk_fma_f16 v3, v29, v79, v3 op_sel_hi:[1,0,1]
	global_load_dwordx4 v[26:29], v[0:1], off
	v_add_co_u32_e32 v0, vcc, s10, v18
	v_mov_b32_e32 v1, s11
	v_addc_co_u32_e32 v1, vcc, v1, v19, vcc
	v_add_co_u32_e32 v0, vcc, v0, v64
	v_addc_co_u32_e32 v1, vcc, 0, v1, vcc
	s_waitcnt vmcnt(0)
	ds_write_b128 v54, v[26:29]
	global_load_dwordx4 v[26:29], v[0:1], off
	v_add_co_u32_e32 v0, vcc, s10, v20
	v_mov_b32_e32 v1, s11
	v_addc_co_u32_e32 v1, vcc, v1, v21, vcc
	v_add_co_u32_e32 v0, vcc, v0, v64
	v_addc_co_u32_e32 v1, vcc, 0, v1, vcc
	s_waitcnt vmcnt(0)
	ds_write_b128 v55, v[26:29]
	global_load_dwordx4 v[26:29], v[0:1], off
	v_add_co_u32_e32 v0, vcc, s10, v22
	v_mov_b32_e32 v1, s11
	v_addc_co_u32_e32 v1, vcc, v1, v23, vcc
	v_add_co_u32_e32 v0, vcc, v0, v64
	v_addc_co_u32_e32 v1, vcc, 0, v1, vcc
	s_or_b32 s10, s3, 64
	s_mul_hi_i32 s11, s10, s15
	s_mul_i32 s10, s10, s15
	s_lshl_b64 s[10:11], s[10:11], 2
	s_add_u32 s10, s12, s10
	s_addc_u32 s11, s13, s11
	s_waitcnt vmcnt(0)
	ds_write_b128 v56, v[26:29]
	global_load_dwordx4 v[26:29], v[0:1], off
	s_waitcnt vmcnt(0)
	ds_write_b128 v58, v[26:29]
	s_waitcnt lgkmcnt(0)
	s_barrier
	ds_read2_b64 v[26:29], v2 offset1:32
	ds_read_u16 v0, v61 offset:64
	ds_read_u16 v1, v61 offset:72
	;; [unrolled: 1-line block ×8, first 2 shown]
	s_waitcnt lgkmcnt(7)
	v_pk_fma_f16 v30, v26, v0, v30 op_sel_hi:[1,0,1]
	v_pk_fma_f16 v31, v27, v0, v31 op_sel_hi:[1,0,1]
	v_pk_fma_f16 v25, v28, v0, v25 op_sel_hi:[1,0,1]
	v_pk_fma_f16 v0, v29, v0, v3 op_sel_hi:[1,0,1]
	ds_read2_b64 v[26:29], v65 offset1:32
	s_waitcnt lgkmcnt(0)
	v_pk_fma_f16 v3, v26, v1, v30 op_sel_hi:[1,0,1]
	v_pk_fma_f16 v30, v27, v1, v31 op_sel_hi:[1,0,1]
	v_pk_fma_f16 v25, v28, v1, v25 op_sel_hi:[1,0,1]
	v_pk_fma_f16 v0, v29, v1, v0 op_sel_hi:[1,0,1]
	ds_read2_b64 v[26:29], v66 offset1:32
	;; [unrolled: 6-line block ×7, first 2 shown]
	s_waitcnt lgkmcnt(0)
	s_barrier
	v_pk_fma_f16 v30, v26, v78, v1 op_sel_hi:[1,0,1]
	v_pk_fma_f16 v31, v29, v78, v0 op_sel_hi:[1,0,1]
	v_add_co_u32_e32 v0, vcc, s10, v16
	v_mov_b32_e32 v1, s11
	v_addc_co_u32_e32 v1, vcc, v1, v17, vcc
	v_add_co_u32_e32 v0, vcc, v0, v64
	v_addc_co_u32_e32 v1, vcc, 0, v1, vcc
	v_pk_fma_f16 v3, v27, v78, v3 op_sel_hi:[1,0,1]
	v_pk_fma_f16 v25, v28, v78, v25 op_sel_hi:[1,0,1]
	global_load_dwordx4 v[26:29], v[0:1], off
	v_add_co_u32_e32 v0, vcc, s10, v18
	v_mov_b32_e32 v1, s11
	v_addc_co_u32_e32 v1, vcc, v1, v19, vcc
	v_add_co_u32_e32 v0, vcc, v0, v64
	v_addc_co_u32_e32 v1, vcc, 0, v1, vcc
	s_waitcnt vmcnt(0)
	ds_write_b128 v54, v[26:29]
	global_load_dwordx4 v[26:29], v[0:1], off
	v_add_co_u32_e32 v0, vcc, s10, v20
	v_mov_b32_e32 v1, s11
	v_addc_co_u32_e32 v1, vcc, v1, v21, vcc
	v_add_co_u32_e32 v0, vcc, v0, v64
	v_addc_co_u32_e32 v1, vcc, 0, v1, vcc
	s_waitcnt vmcnt(0)
	ds_write_b128 v55, v[26:29]
	global_load_dwordx4 v[26:29], v[0:1], off
	v_add_co_u32_e32 v0, vcc, s10, v22
	v_mov_b32_e32 v1, s11
	v_addc_co_u32_e32 v1, vcc, v1, v23, vcc
	v_add_co_u32_e32 v0, vcc, v0, v64
	v_addc_co_u32_e32 v1, vcc, 0, v1, vcc
	s_or_b32 s10, s3, 0x60
	s_mul_hi_i32 s11, s10, s15
	s_mul_i32 s10, s10, s15
	s_lshl_b64 s[10:11], s[10:11], 2
	s_add_u32 s10, s12, s10
	s_addc_u32 s11, s13, s11
	s_waitcnt vmcnt(0)
	ds_write_b128 v56, v[26:29]
	global_load_dwordx4 v[26:29], v[0:1], off
	s_waitcnt vmcnt(0)
	ds_write_b128 v58, v[26:29]
	s_waitcnt lgkmcnt(0)
	s_barrier
	ds_read2_b64 v[26:29], v2 offset1:32
	ds_read_u16 v0, v61 offset:128
	ds_read_u16 v1, v61 offset:136
	ds_read_u16 v73, v61 offset:144
	ds_read_u16 v74, v61 offset:152
	ds_read_u16 v75, v61 offset:160
	ds_read_u16 v76, v61 offset:168
	ds_read_u16 v77, v61 offset:176
	ds_read_u16 v78, v61 offset:184
	s_waitcnt lgkmcnt(7)
	v_pk_fma_f16 v30, v26, v0, v30 op_sel_hi:[1,0,1]
	v_pk_fma_f16 v3, v27, v0, v3 op_sel_hi:[1,0,1]
	v_pk_fma_f16 v25, v28, v0, v25 op_sel_hi:[1,0,1]
	v_pk_fma_f16 v0, v29, v0, v31 op_sel_hi:[1,0,1]
	ds_read2_b64 v[26:29], v65 offset1:32
	s_waitcnt lgkmcnt(0)
	v_pk_fma_f16 v30, v26, v1, v30 op_sel_hi:[1,0,1]
	v_pk_fma_f16 v3, v27, v1, v3 op_sel_hi:[1,0,1]
	v_pk_fma_f16 v25, v28, v1, v25 op_sel_hi:[1,0,1]
	v_pk_fma_f16 v0, v29, v1, v0 op_sel_hi:[1,0,1]
	ds_read2_b64 v[26:29], v66 offset1:32
	;; [unrolled: 6-line block ×7, first 2 shown]
	s_waitcnt lgkmcnt(0)
	s_barrier
	v_pk_fma_f16 v30, v26, v78, v1 op_sel_hi:[1,0,1]
	v_pk_fma_f16 v73, v29, v78, v0 op_sel_hi:[1,0,1]
	v_add_co_u32_e32 v0, vcc, s10, v16
	v_mov_b32_e32 v1, s11
	v_addc_co_u32_e32 v1, vcc, v1, v17, vcc
	v_add_co_u32_e32 v0, vcc, v0, v64
	v_addc_co_u32_e32 v1, vcc, 0, v1, vcc
	v_pk_fma_f16 v31, v27, v78, v3 op_sel_hi:[1,0,1]
	v_pk_fma_f16 v25, v28, v78, v25 op_sel_hi:[1,0,1]
	global_load_dwordx4 v[26:29], v[0:1], off
	v_add_co_u32_e32 v0, vcc, s10, v18
	v_mov_b32_e32 v1, s11
	v_addc_co_u32_e32 v1, vcc, v1, v19, vcc
	v_add_co_u32_e32 v0, vcc, v0, v64
	v_addc_co_u32_e32 v1, vcc, 0, v1, vcc
	s_waitcnt vmcnt(0)
	ds_write_b128 v54, v[26:29]
	global_load_dwordx4 v[26:29], v[0:1], off
	v_add_co_u32_e32 v0, vcc, s10, v20
	v_mov_b32_e32 v1, s11
	v_addc_co_u32_e32 v1, vcc, v1, v21, vcc
	v_add_co_u32_e32 v0, vcc, v0, v64
	v_addc_co_u32_e32 v1, vcc, 0, v1, vcc
	s_waitcnt vmcnt(0)
	ds_write_b128 v55, v[26:29]
	global_load_dwordx4 v[26:29], v[0:1], off
	v_add_co_u32_e32 v0, vcc, s10, v22
	v_mov_b32_e32 v1, s11
	v_addc_co_u32_e32 v1, vcc, v1, v23, vcc
	v_add_co_u32_e32 v0, vcc, v0, v64
	v_addc_co_u32_e32 v1, vcc, 0, v1, vcc
	s_waitcnt vmcnt(0)
	ds_write_b128 v56, v[26:29]
	global_load_dwordx4 v[26:29], v[0:1], off
	s_waitcnt vmcnt(0)
	ds_write_b128 v58, v[26:29]
	s_waitcnt lgkmcnt(0)
	s_barrier
	ds_read2_b64 v[0:3], v2 offset1:32
	ds_read_u16 v26, v61 offset:192
	ds_read_u16 v27, v61 offset:200
	;; [unrolled: 1-line block ×8, first 2 shown]
	s_waitcnt lgkmcnt(7)
	v_pk_fma_f16 v30, v0, v26, v30 op_sel_hi:[1,0,1]
	v_pk_fma_f16 v31, v1, v26, v31 op_sel_hi:[1,0,1]
	v_pk_fma_f16 v25, v2, v26, v25 op_sel_hi:[1,0,1]
	v_pk_fma_f16 v26, v3, v26, v73 op_sel_hi:[1,0,1]
	ds_read2_b64 v[0:3], v65 offset1:32
	s_waitcnt lgkmcnt(0)
	v_pk_fma_f16 v30, v0, v27, v30 op_sel_hi:[1,0,1]
	v_pk_fma_f16 v31, v1, v27, v31 op_sel_hi:[1,0,1]
	v_pk_fma_f16 v25, v2, v27, v25 op_sel_hi:[1,0,1]
	v_pk_fma_f16 v26, v3, v27, v26 op_sel_hi:[1,0,1]
	ds_read2_b64 v[0:3], v66 offset1:32
	;; [unrolled: 6-line block ×7, first 2 shown]
	s_waitcnt lgkmcnt(0)
	s_barrier
	s_load_dword s10, s[8:9], 0x4
	v_pk_fma_f16 v0, v0, v77, v27 op_sel_hi:[1,0,1]
	v_pk_fma_f16 v1, v1, v77, v28 op_sel_hi:[1,0,1]
	;; [unrolled: 1-line block ×4, first 2 shown]
	s_waitcnt lgkmcnt(0)
	s_lshl_b32 s10, s10, 7
	s_add_i32 s3, s10, s3
	s_cmp_lt_i32 s3, s2
	s_cbranch_scc0 .LBB39_15
; %bb.14:                               ;   in Loop: Header=BB39_11 Depth=1
	v_mov_b32_e32 v73, v24
	s_branch .LBB39_11
.LBB39_15:
	v_mov_b32_e32 v9, v38
.LBB39_16:
	v_cmp_lt_i32_e32 vcc, v44, v39
	v_cndmask_b32_e32 v6, v7, v44, vcc
	v_lshlrev_b32_e32 v6, 2, v6
	ds_bpermute_b32 v6, v6, v57
	v_cmp_lt_i32_e32 vcc, v43, v39
	v_cndmask_b32_e32 v8, v7, v43, vcc
	v_lshlrev_b32_e32 v8, 2, v8
	v_cmp_lt_i32_e32 vcc, v42, v39
	s_waitcnt lgkmcnt(0)
	v_add_f32_e32 v6, v57, v6
	ds_bpermute_b32 v8, v8, v6
	v_cndmask_b32_e32 v10, v7, v42, vcc
	v_lshlrev_b32_e32 v10, 2, v10
	v_cmp_lt_i32_e32 vcc, v41, v39
	v_cmp_ne_u32_e64 s[0:1], 0, v9
	s_waitcnt lgkmcnt(0)
	v_add_f32_e32 v6, v6, v8
	ds_bpermute_b32 v8, v10, v6
	v_cndmask_b32_e32 v10, v7, v41, vcc
	v_lshlrev_b32_e32 v10, 2, v10
	v_cmp_lt_i32_e32 vcc, v40, v39
	v_cndmask_b32_e32 v7, v7, v40, vcc
	s_waitcnt lgkmcnt(0)
	v_add_f32_e32 v6, v6, v8
	ds_bpermute_b32 v8, v10, v6
	v_lshlrev_b32_e32 v7, 2, v7
	v_cmp_eq_u32_e32 vcc, 0, v9
	s_waitcnt lgkmcnt(0)
	v_add_f32_e32 v6, v6, v8
	ds_bpermute_b32 v7, v7, v6
	s_waitcnt lgkmcnt(0)
	v_add_f32_e32 v25, v6, v7
	s_and_saveexec_b64 s[2:3], s[0:1]
	s_xor_b64 s[2:3], exec, s[2:3]
	s_cbranch_execnz .LBB39_20
; %bb.17:
	s_andn2_saveexec_b64 s[0:1], s[2:3]
	s_cbranch_execnz .LBB39_23
.LBB39_18:
	s_or_b64 exec, exec, s[0:1]
	s_and_saveexec_b64 s[0:1], vcc
	s_cbranch_execnz .LBB39_24
.LBB39_19:
	s_endpgm
.LBB39_20:
	v_lshl_add_u32 v6, v35, 2, v36
	v_cmp_eq_u32_e64 s[0:1], 0, v5
	ds_write_b128 v6, v[0:3]
	s_and_saveexec_b64 s[8:9], s[0:1]
	s_cbranch_execz .LBB39_22
; %bb.21:
	ds_write_b32 v37, v25 offset:18432
.LBB39_22:
	s_or_b64 exec, exec, s[8:9]
                                        ; implicit-def: $vgpr34
                                        ; implicit-def: $vgpr37
	s_andn2_saveexec_b64 s[0:1], s[2:3]
	s_cbranch_execz .LBB39_18
.LBB39_23:
	v_lshlrev_b32_e32 v6, 9, v34
	v_lshl_add_u32 v16, v4, 2, v6
	s_waitcnt lgkmcnt(0)
	s_barrier
	ds_read_b128 v[6:9], v16 offset:512
	ds_read_b128 v[10:13], v16 offset:1024
	s_waitcnt lgkmcnt(1)
	v_pk_add_f16 v6, v6, v0
	v_add_u32_e32 v0, 0x4804, v37
	ds_read2_b32 v[14:15], v0 offset1:1
	v_pk_add_f16 v7, v7, v1
	v_pk_add_f16 v8, v8, v2
	;; [unrolled: 1-line block ×3, first 2 shown]
	s_waitcnt lgkmcnt(1)
	v_pk_add_f16 v7, v11, v7
	ds_read_b32 v11, v37 offset:18444
	ds_read_b128 v[0:3], v16 offset:1536
	s_waitcnt lgkmcnt(2)
	v_add_f32_e32 v14, v25, v14
	v_pk_add_f16 v6, v10, v6
	v_pk_add_f16 v8, v12, v8
	;; [unrolled: 1-line block ×3, first 2 shown]
	v_add_f32_e32 v10, v14, v15
	s_waitcnt lgkmcnt(0)
	v_pk_add_f16 v0, v0, v6
	v_pk_add_f16 v1, v1, v7
	;; [unrolled: 1-line block ×4, first 2 shown]
	v_add_f32_e32 v25, v10, v11
	s_or_b64 exec, exec, s[0:1]
	s_and_saveexec_b64 s[0:1], vcc
	s_cbranch_execz .LBB39_19
.LBB39_24:
	s_cmp_eq_u64 s[16:17], 0
	s_cselect_b64 s[0:1], -1, 0
	s_cmp_lg_u32 s7, 0
	s_cselect_b64 s[2:3], -1, 0
	s_or_b64 s[0:1], s[2:3], s[0:1]
	v_add_u32_e32 v6, s14, v33
	s_and_b64 vcc, exec, s[0:1]
	s_cbranch_vccnz .LBB39_26
; %bb.25:
	v_ashrrev_i32_e32 v7, 31, v6
	v_lshlrev_b64 v[8:9], 2, v[6:7]
	v_mov_b32_e32 v7, s17
	v_add_co_u32_e32 v8, vcc, s16, v8
	v_addc_co_u32_e32 v9, vcc, v7, v9, vcc
	global_load_dword v7, v[8:9], off
	v_max_f32_e32 v8, v24, v24
	s_mov_b32 s0, 0x3fb8aa3b
	s_mov_b32 s1, 0xc2ce8ed0
	s_waitcnt vmcnt(0)
	v_max_f32_e32 v9, v7, v7
	v_max_f32_e32 v8, v8, v9
	v_sub_f32_e32 v9, v24, v8
	v_sub_f32_e32 v7, v7, v8
	v_mul_f32_e32 v10, 0x3fb8aa3b, v9
	v_mul_f32_e32 v11, 0x3fb8aa3b, v7
	v_fma_f32 v12, v9, s0, -v10
	v_rndne_f32_e32 v13, v10
	v_fma_f32 v14, v7, s0, -v11
	v_rndne_f32_e32 v15, v11
	v_fmac_f32_e32 v12, 0x32a5705f, v9
	v_sub_f32_e32 v10, v10, v13
	v_fmac_f32_e32 v14, 0x32a5705f, v7
	v_sub_f32_e32 v11, v11, v15
	v_add_f32_e32 v10, v10, v12
	v_cvt_i32_f32_e32 v13, v13
	v_add_f32_e32 v11, v11, v14
	v_exp_f32_e32 v10, v10
	v_cvt_i32_f32_e32 v15, v15
	v_exp_f32_e32 v11, v11
	v_cmp_ngt_f32_e32 vcc, s1, v9
	v_ldexp_f32 v10, v10, v13
	s_mov_b32 s0, 0x42b17218
	v_ldexp_f32 v11, v11, v15
	v_cndmask_b32_e32 v10, 0, v10, vcc
	v_cmp_ngt_f32_e32 vcc, s1, v7
	v_mov_b32_e32 v12, 0x7f800000
	v_cndmask_b32_e32 v11, 0, v11, vcc
	v_cmp_nlt_f32_e32 vcc, s0, v9
	v_cndmask_b32_e32 v10, v12, v10, vcc
	v_cvt_f16_f32_e32 v13, v10
	v_cmp_nlt_f32_e32 vcc, s0, v7
	v_cndmask_b32_e32 v9, v12, v11, vcc
	v_fmac_f32_e32 v9, v25, v10
	v_pk_mul_f16 v0, v13, v0 op_sel_hi:[0,1]
	v_pk_mul_f16 v1, v13, v1 op_sel_hi:[0,1]
	;; [unrolled: 1-line block ×4, first 2 shown]
	v_pk_mov_b32 v[24:25], v[8:9], v[8:9] op_sel:[0,1]
	s_branch .LBB39_27
.LBB39_26:
	v_mov_b32_e32 v9, v25
.LBB39_27:
	v_div_scale_f32 v7, s[0:1], v9, v9, 1.0
	v_rcp_f32_e32 v8, v7
	s_load_dword s4, s[4:5], 0xd4
	s_mul_i32 s2, s33, s26
	v_cvt_f32_f16_sdwa v17, v1 dst_sel:DWORD dst_unused:UNUSED_PAD src0_sel:WORD_1
	v_fma_f32 v10, -v7, v8, 1.0
	v_fmac_f32_e32 v8, v10, v8
	v_div_scale_f32 v10, vcc, 1.0, v9, 1.0
	v_mul_f32_e32 v11, v10, v8
	v_fma_f32 v12, -v7, v11, v10
	v_fmac_f32_e32 v11, v12, v8
	v_fma_f32 v7, -v7, v11, v10
	s_waitcnt lgkmcnt(0)
	s_cmp_lg_u32 s4, 1
	v_div_fmas_f32 v7, v7, v8, v11
	v_div_fixup_f32 v7, v7, v9, 1.0
	s_cselect_b64 s[0:1], -1, 0
	s_add_i32 s2, s2, s6
	v_cndmask_b32_e64 v12, v7, 1.0, s[0:1]
	v_add_u32_e32 v7, s2, v32
	v_mad_u64_u32 v[6:7], s[2:3], v7, s27, v[6:7]
	v_mul_lo_u32 v6, s4, v6
	v_add_u32_e32 v6, s7, v6
	v_cvt_f32_f16_sdwa v11, v0 dst_sel:DWORD dst_unused:UNUSED_PAD src0_sel:WORD_1
	v_cvt_f32_f16_e32 v10, v0
	v_cvt_f32_f16_e32 v16, v1
	v_lshl_add_u32 v14, v6, 8, v4
	v_mov_b32_e32 v15, 0
	v_lshlrev_b64 v[8:9], 2, v[14:15]
	v_mov_b32_e32 v4, s21
	v_add_co_u32_e32 v0, vcc, s20, v8
	v_addc_co_u32_e32 v1, vcc, v4, v9, vcc
	v_pk_mul_f32 v[8:9], v[12:13], v[10:11] op_sel_hi:[0,1]
	v_pk_mul_f32 v[10:11], v[12:13], v[16:17] op_sel_hi:[0,1]
	v_add_u32_e32 v14, 0x80, v14
	global_store_dwordx4 v[0:1], v[8:11], off
	v_lshlrev_b64 v[0:1], 2, v[14:15]
	v_cvt_f32_f16_sdwa v9, v2 dst_sel:DWORD dst_unused:UNUSED_PAD src0_sel:WORD_1
	v_cvt_f32_f16_e32 v8, v2
	v_cvt_f32_f16_sdwa v11, v3 dst_sel:DWORD dst_unused:UNUSED_PAD src0_sel:WORD_1
	v_cvt_f32_f16_e32 v10, v3
	v_add_co_u32_e32 v14, vcc, s20, v0
	v_addc_co_u32_e32 v15, vcc, v4, v1, vcc
	v_cmp_eq_u32_e32 vcc, 0, v5
	v_pk_mul_f32 v[0:1], v[12:13], v[8:9] op_sel_hi:[0,1]
	v_pk_mul_f32 v[2:3], v[12:13], v[10:11] op_sel_hi:[0,1]
	s_and_b64 s[0:1], vcc, s[0:1]
	global_store_dwordx4 v[14:15], v[0:3], off
	s_and_b64 exec, exec, s[0:1]
	s_cbranch_execz .LBB39_19
; %bb.28:
	v_ashrrev_i32_e32 v7, 31, v6
	v_lshlrev_b64 v[0:1], 3, v[6:7]
	v_mov_b32_e32 v2, s23
	v_add_co_u32_e32 v0, vcc, s22, v0
	v_addc_co_u32_e32 v1, vcc, v2, v1, vcc
	global_store_dwordx2 v[0:1], v[24:25], off
	s_endpgm
	.section	.rodata,"a",@progbits
	.p2align	6, 0x0
	.amdhsa_kernel _ZL15flash_attn_tileILi256ELi256ELi1ELi2ELb0EEvPKcS1_S1_S1_S1_PKiPfP15HIP_vector_typeIfLj2EEffffjfiS5_IjLj3EEiiiiiiiiiiiliiliiiiil
		.amdhsa_group_segment_fixed_size 20000
		.amdhsa_private_segment_fixed_size 0
		.amdhsa_kernarg_size 464
		.amdhsa_user_sgpr_count 6
		.amdhsa_user_sgpr_private_segment_buffer 1
		.amdhsa_user_sgpr_dispatch_ptr 0
		.amdhsa_user_sgpr_queue_ptr 0
		.amdhsa_user_sgpr_kernarg_segment_ptr 1
		.amdhsa_user_sgpr_dispatch_id 0
		.amdhsa_user_sgpr_flat_scratch_init 0
		.amdhsa_user_sgpr_kernarg_preload_length 0
		.amdhsa_user_sgpr_kernarg_preload_offset 0
		.amdhsa_user_sgpr_private_segment_size 0
		.amdhsa_uses_dynamic_stack 0
		.amdhsa_system_sgpr_private_segment_wavefront_offset 0
		.amdhsa_system_sgpr_workgroup_id_x 1
		.amdhsa_system_sgpr_workgroup_id_y 1
		.amdhsa_system_sgpr_workgroup_id_z 1
		.amdhsa_system_sgpr_workgroup_info 0
		.amdhsa_system_vgpr_workitem_id 1
		.amdhsa_next_free_vgpr 92
		.amdhsa_next_free_sgpr 44
		.amdhsa_accum_offset 92
		.amdhsa_reserve_vcc 1
		.amdhsa_reserve_flat_scratch 0
		.amdhsa_float_round_mode_32 0
		.amdhsa_float_round_mode_16_64 0
		.amdhsa_float_denorm_mode_32 3
		.amdhsa_float_denorm_mode_16_64 3
		.amdhsa_dx10_clamp 1
		.amdhsa_ieee_mode 1
		.amdhsa_fp16_overflow 0
		.amdhsa_tg_split 0
		.amdhsa_exception_fp_ieee_invalid_op 0
		.amdhsa_exception_fp_denorm_src 0
		.amdhsa_exception_fp_ieee_div_zero 0
		.amdhsa_exception_fp_ieee_overflow 0
		.amdhsa_exception_fp_ieee_underflow 0
		.amdhsa_exception_fp_ieee_inexact 0
		.amdhsa_exception_int_div_zero 0
	.end_amdhsa_kernel
	.section	.text._ZL15flash_attn_tileILi256ELi256ELi1ELi2ELb0EEvPKcS1_S1_S1_S1_PKiPfP15HIP_vector_typeIfLj2EEffffjfiS5_IjLj3EEiiiiiiiiiiiliiliiiiil,"axG",@progbits,_ZL15flash_attn_tileILi256ELi256ELi1ELi2ELb0EEvPKcS1_S1_S1_S1_PKiPfP15HIP_vector_typeIfLj2EEffffjfiS5_IjLj3EEiiiiiiiiiiiliiliiiiil,comdat
.Lfunc_end39:
	.size	_ZL15flash_attn_tileILi256ELi256ELi1ELi2ELb0EEvPKcS1_S1_S1_S1_PKiPfP15HIP_vector_typeIfLj2EEffffjfiS5_IjLj3EEiiiiiiiiiiiliiliiiiil, .Lfunc_end39-_ZL15flash_attn_tileILi256ELi256ELi1ELi2ELb0EEvPKcS1_S1_S1_S1_PKiPfP15HIP_vector_typeIfLj2EEffffjfiS5_IjLj3EEiiiiiiiiiiiliiliiiiil
                                        ; -- End function
	.section	.AMDGPU.csdata,"",@progbits
; Kernel info:
; codeLenInByte = 8116
; NumSgprs: 48
; NumVgprs: 92
; NumAgprs: 0
; TotalNumVgprs: 92
; ScratchSize: 0
; MemoryBound: 0
; FloatMode: 240
; IeeeMode: 1
; LDSByteSize: 20000 bytes/workgroup (compile time only)
; SGPRBlocks: 5
; VGPRBlocks: 11
; NumSGPRsForWavesPerEU: 48
; NumVGPRsForWavesPerEU: 92
; AccumOffset: 92
; Occupancy: 3
; WaveLimiterHint : 1
; COMPUTE_PGM_RSRC2:SCRATCH_EN: 0
; COMPUTE_PGM_RSRC2:USER_SGPR: 6
; COMPUTE_PGM_RSRC2:TRAP_HANDLER: 0
; COMPUTE_PGM_RSRC2:TGID_X_EN: 1
; COMPUTE_PGM_RSRC2:TGID_Y_EN: 1
; COMPUTE_PGM_RSRC2:TGID_Z_EN: 1
; COMPUTE_PGM_RSRC2:TIDIG_COMP_CNT: 1
; COMPUTE_PGM_RSRC3_GFX90A:ACCUM_OFFSET: 22
; COMPUTE_PGM_RSRC3_GFX90A:TG_SPLIT: 0
	.section	.text._ZL33flash_attn_stream_k_fixup_uniformILi256ELi1ELi2EEvPfPK15HIP_vector_typeIfLj2EEiiiiiiS1_IjLj3EES5_S5_,"axG",@progbits,_ZL33flash_attn_stream_k_fixup_uniformILi256ELi1ELi2EEvPfPK15HIP_vector_typeIfLj2EEiiiiiiS1_IjLj3EES5_S5_,comdat
	.globl	_ZL33flash_attn_stream_k_fixup_uniformILi256ELi1ELi2EEvPfPK15HIP_vector_typeIfLj2EEiiiiiiS1_IjLj3EES5_S5_ ; -- Begin function _ZL33flash_attn_stream_k_fixup_uniformILi256ELi1ELi2EEvPfPK15HIP_vector_typeIfLj2EEiiiiiiS1_IjLj3EES5_S5_
	.p2align	8
	.type	_ZL33flash_attn_stream_k_fixup_uniformILi256ELi1ELi2EEvPfPK15HIP_vector_typeIfLj2EEiiiiiiS1_IjLj3EES5_S5_,@function
_ZL33flash_attn_stream_k_fixup_uniformILi256ELi1ELi2EEvPfPK15HIP_vector_typeIfLj2EEiiiiiiS1_IjLj3EES5_S5_: ; @_ZL33flash_attn_stream_k_fixup_uniformILi256ELi1ELi2EEvPfPK15HIP_vector_typeIfLj2EEiiiiiiS1_IjLj3EES5_S5_
; %bb.0:
	s_load_dwordx8 s[12:19], s[4:5], 0x1c
	s_load_dwordx2 s[10:11], s[4:5], 0x10
	s_load_dwordx4 s[0:3], s[4:5], 0x3c
	s_waitcnt lgkmcnt(0)
	s_mul_hi_u32 s9, s15, s6
	s_add_i32 s9, s6, s9
	s_lshr_b32 s9, s9, s16
	s_mul_i32 s15, s9, s17
	s_sub_i32 s16, s6, s15
	s_mul_hi_u32 s15, s16, s18
	s_add_i32 s15, s16, s15
	s_lshr_b32 s15, s15, s19
	s_mul_i32 s0, s15, s0
	s_sub_i32 s0, s16, s0
	;; [unrolled: 5-line block ×3, first 2 shown]
	s_lshl_b32 s17, s1, 1
	s_add_i32 s16, s16, s7
	s_cmp_lt_i32 s16, s10
	s_cselect_b64 s[0:1], -1, 0
	s_add_i32 s17, s17, s8
	s_cmp_lt_i32 s17, s13
	s_cselect_b64 s[2:3], -1, 0
	s_and_b64 s[0:1], s[0:1], s[2:3]
	s_andn2_b64 vcc, exec, s[0:1]
	s_cbranch_vccnz .LBB40_6
; %bb.1:
	s_mul_i32 s9, s9, s10
	s_load_dwordx4 s[0:3], s[4:5], 0x0
	s_mul_i32 s15, s15, s13
	s_add_i32 s4, s16, s9
	s_mul_i32 s4, s4, s11
	s_add_i32 s5, s17, s15
	s_add_i32 s5, s5, s4
	v_lshl_or_b32 v2, s5, 8, v0
	v_ashrrev_i32_e32 v3, 31, v2
	v_lshlrev_b64 v[2:3], 2, v[2:3]
	s_waitcnt lgkmcnt(0)
	v_mov_b32_e32 v1, s1
	v_add_co_u32_e32 v2, vcc, s0, v2
	v_addc_co_u32_e32 v3, vcc, v1, v3, vcc
	global_load_dword v8, v[2:3], off
	s_mul_i32 s9, s6, s14
	s_add_i32 s4, s9, s14
	s_add_i32 s0, s7, s4
	s_lshl_b32 s0, s0, 1
	s_add_i32 s0, s0, s8
	s_add_i32 s0, s0, -2
	s_ashr_i32 s1, s0, 31
	s_lshl_b64 s[0:1], s[0:1], 3
	s_add_u32 s0, s2, s0
	s_addc_u32 s1, s3, s1
	s_load_dword s5, s[0:1], 0x4
	s_add_i32 s10, s4, -2
	s_cmp_lt_i32 s10, s9
	s_cbranch_scc1 .LBB40_4
; %bb.2:
	s_lshl_b32 s10, s12, 3
	s_ashr_i32 s11, s10, 31
	s_lshl_b64 s[10:11], s[10:11], 2
	s_add_u32 s10, s2, s10
	s_addc_u32 s13, s3, s11
	s_load_dword s0, s[0:1], 0x0
	s_add_i32 s6, s6, 1
	s_lshl_b32 s1, s8, 8
	s_add_i32 s12, s7, s12
	s_mul_i32 s6, s14, s6
	s_lshl_b32 s7, s7, 9
	s_add_i32 s12, s12, s4
	s_lshl_b32 s6, s6, 9
	s_add_i32 s1, s1, s7
	s_add_i32 s11, s4, -1
	s_lshl_b32 s4, s12, 1
	s_add_i32 s1, s1, s6
	s_add_i32 s4, s8, s4
	v_or_b32_e32 v0, s1, v0
	s_add_i32 s4, s4, -4
	v_add_u32_e32 v0, 0xfffffc00, v0
	s_waitcnt lgkmcnt(0)
	v_mov_b32_e32 v7, s5
	v_mov_b32_e32 v6, s0
	;; [unrolled: 1-line block ×3, first 2 shown]
	s_mov_b32 s6, 0x3fb8aa3b
	s_mov_b32 s7, 0xc2ce8ed0
	s_mov_b32 s8, 0x42b17218
	v_mov_b32_e32 v5, 0x7f800000
	s_mov_b32 s12, 0xc1a00000
.LBB40_3:                               ; =>This Inner Loop Header: Depth=1
	v_ashrrev_i32_e32 v1, 31, v0
	v_lshlrev_b64 v[10:11], 2, v[0:1]
	v_add_co_u32_e32 v10, vcc, s10, v10
	v_addc_co_u32_e32 v11, vcc, v4, v11, vcc
	global_load_dword v1, v[10:11], off
	s_ashr_i32 s5, s4, 31
	s_lshl_b64 s[0:1], s[4:5], 3
	s_add_u32 s0, s2, s0
	s_addc_u32 s1, s3, s1
	s_load_dwordx2 s[14:15], s[0:1], 0x0
	s_waitcnt vmcnt(1)
	v_mov_b32_e32 v9, v8
	v_max_f32_e32 v8, v6, v6
	v_mov_b32_e32 v10, v7
	s_add_i32 s11, s11, -1
	s_waitcnt lgkmcnt(0)
	v_max_f32_e64 v7, s14, s14
	v_max_f32_e32 v7, v8, v7
	v_sub_f32_e32 v11, s14, v7
	v_sub_f32_e32 v8, v6, v7
	v_mul_f32_e32 v12, 0x3fb8aa3b, v11
	v_mov_b32_e32 v6, v7
	v_mul_f32_e32 v7, 0x3fb8aa3b, v8
	v_fma_f32 v15, v11, s6, -v12
	v_rndne_f32_e32 v16, v12
	v_fma_f32 v13, v8, s6, -v7
	v_rndne_f32_e32 v14, v7
	v_fmac_f32_e32 v15, 0x32a5705f, v11
	v_sub_f32_e32 v12, v12, v16
	v_fmac_f32_e32 v13, 0x32a5705f, v8
	v_sub_f32_e32 v7, v7, v14
	v_add_f32_e32 v12, v12, v15
	v_cvt_i32_f32_e32 v16, v16
	v_add_f32_e32 v7, v7, v13
	v_exp_f32_e32 v12, v12
	v_cvt_i32_f32_e32 v14, v14
	v_exp_f32_e32 v7, v7
	v_cmp_ngt_f32_e32 vcc, s7, v11
	v_ldexp_f32 v12, v12, v16
	v_cmp_ngt_f32_e64 s[0:1], s7, v8
	v_ldexp_f32 v7, v7, v14
	v_cndmask_b32_e32 v12, 0, v12, vcc
	v_cmp_nlt_f32_e32 vcc, s8, v11
	v_cndmask_b32_e64 v7, 0, v7, s[0:1]
	v_cmp_nlt_f32_e64 s[0:1], s8, v8
	v_cndmask_b32_e32 v12, v5, v12, vcc
	v_cmp_le_f32_e32 vcc, s12, v11
	v_cndmask_b32_e64 v7, v5, v7, s[0:1]
	v_cmp_le_f32_e64 s[0:1], s12, v8
	v_cndmask_b32_e32 v8, 0, v12, vcc
	s_add_i32 s4, s4, -2
	v_cndmask_b32_e64 v11, 0, v7, s[0:1]
	v_mul_f32_e32 v7, s15, v8
	v_add_u32_e32 v0, 0xfffffe00, v0
	s_cmp_le_i32 s11, s9
	v_fmac_f32_e32 v7, v10, v11
	s_waitcnt vmcnt(0)
	v_mul_f32_e32 v8, v1, v8
	v_fmac_f32_e32 v8, v9, v11
	s_cbranch_scc0 .LBB40_3
	s_branch .LBB40_5
.LBB40_4:
	s_waitcnt lgkmcnt(0)
	v_mov_b32_e32 v7, s5
.LBB40_5:
	s_waitcnt vmcnt(0)
	v_div_scale_f32 v0, s[0:1], v7, v7, v8
	v_rcp_f32_e32 v1, v0
	v_div_scale_f32 v4, vcc, v8, v7, v8
	v_fma_f32 v5, -v0, v1, 1.0
	v_fmac_f32_e32 v1, v5, v1
	v_mul_f32_e32 v5, v4, v1
	v_fma_f32 v6, -v0, v5, v4
	v_fmac_f32_e32 v5, v6, v1
	v_fma_f32 v0, -v0, v5, v4
	v_div_fmas_f32 v0, v0, v1, v5
	v_div_fixup_f32 v0, v0, v7, v8
	global_store_dword v[2:3], v0, off
.LBB40_6:
	s_endpgm
	.section	.rodata,"a",@progbits
	.p2align	6, 0x0
	.amdhsa_kernel _ZL33flash_attn_stream_k_fixup_uniformILi256ELi1ELi2EEvPfPK15HIP_vector_typeIfLj2EEiiiiiiS1_IjLj3EES5_S5_
		.amdhsa_group_segment_fixed_size 0
		.amdhsa_private_segment_fixed_size 0
		.amdhsa_kernarg_size 76
		.amdhsa_user_sgpr_count 6
		.amdhsa_user_sgpr_private_segment_buffer 1
		.amdhsa_user_sgpr_dispatch_ptr 0
		.amdhsa_user_sgpr_queue_ptr 0
		.amdhsa_user_sgpr_kernarg_segment_ptr 1
		.amdhsa_user_sgpr_dispatch_id 0
		.amdhsa_user_sgpr_flat_scratch_init 0
		.amdhsa_user_sgpr_kernarg_preload_length 0
		.amdhsa_user_sgpr_kernarg_preload_offset 0
		.amdhsa_user_sgpr_private_segment_size 0
		.amdhsa_uses_dynamic_stack 0
		.amdhsa_system_sgpr_private_segment_wavefront_offset 0
		.amdhsa_system_sgpr_workgroup_id_x 1
		.amdhsa_system_sgpr_workgroup_id_y 1
		.amdhsa_system_sgpr_workgroup_id_z 1
		.amdhsa_system_sgpr_workgroup_info 0
		.amdhsa_system_vgpr_workitem_id 0
		.amdhsa_next_free_vgpr 17
		.amdhsa_next_free_sgpr 20
		.amdhsa_accum_offset 20
		.amdhsa_reserve_vcc 1
		.amdhsa_reserve_flat_scratch 0
		.amdhsa_float_round_mode_32 0
		.amdhsa_float_round_mode_16_64 0
		.amdhsa_float_denorm_mode_32 3
		.amdhsa_float_denorm_mode_16_64 3
		.amdhsa_dx10_clamp 1
		.amdhsa_ieee_mode 1
		.amdhsa_fp16_overflow 0
		.amdhsa_tg_split 0
		.amdhsa_exception_fp_ieee_invalid_op 0
		.amdhsa_exception_fp_denorm_src 0
		.amdhsa_exception_fp_ieee_div_zero 0
		.amdhsa_exception_fp_ieee_overflow 0
		.amdhsa_exception_fp_ieee_underflow 0
		.amdhsa_exception_fp_ieee_inexact 0
		.amdhsa_exception_int_div_zero 0
	.end_amdhsa_kernel
	.section	.text._ZL33flash_attn_stream_k_fixup_uniformILi256ELi1ELi2EEvPfPK15HIP_vector_typeIfLj2EEiiiiiiS1_IjLj3EES5_S5_,"axG",@progbits,_ZL33flash_attn_stream_k_fixup_uniformILi256ELi1ELi2EEvPfPK15HIP_vector_typeIfLj2EEiiiiiiS1_IjLj3EES5_S5_,comdat
.Lfunc_end40:
	.size	_ZL33flash_attn_stream_k_fixup_uniformILi256ELi1ELi2EEvPfPK15HIP_vector_typeIfLj2EEiiiiiiS1_IjLj3EES5_S5_, .Lfunc_end40-_ZL33flash_attn_stream_k_fixup_uniformILi256ELi1ELi2EEvPfPK15HIP_vector_typeIfLj2EEiiiiiiS1_IjLj3EES5_S5_
                                        ; -- End function
	.section	.AMDGPU.csdata,"",@progbits
; Kernel info:
; codeLenInByte = 828
; NumSgprs: 24
; NumVgprs: 17
; NumAgprs: 0
; TotalNumVgprs: 17
; ScratchSize: 0
; MemoryBound: 0
; FloatMode: 240
; IeeeMode: 1
; LDSByteSize: 0 bytes/workgroup (compile time only)
; SGPRBlocks: 2
; VGPRBlocks: 2
; NumSGPRsForWavesPerEU: 24
; NumVGPRsForWavesPerEU: 17
; AccumOffset: 20
; Occupancy: 8
; WaveLimiterHint : 0
; COMPUTE_PGM_RSRC2:SCRATCH_EN: 0
; COMPUTE_PGM_RSRC2:USER_SGPR: 6
; COMPUTE_PGM_RSRC2:TRAP_HANDLER: 0
; COMPUTE_PGM_RSRC2:TGID_X_EN: 1
; COMPUTE_PGM_RSRC2:TGID_Y_EN: 1
; COMPUTE_PGM_RSRC2:TGID_Z_EN: 1
; COMPUTE_PGM_RSRC2:TIDIG_COMP_CNT: 0
; COMPUTE_PGM_RSRC3_GFX90A:ACCUM_OFFSET: 4
; COMPUTE_PGM_RSRC3_GFX90A:TG_SPLIT: 0
	.section	.text._ZL33flash_attn_stream_k_fixup_generalILi256ELi1ELi2EEvPfPK15HIP_vector_typeIfLj2EEiiiiS1_IjLj3EES5_S5_S5_,"axG",@progbits,_ZL33flash_attn_stream_k_fixup_generalILi256ELi1ELi2EEvPfPK15HIP_vector_typeIfLj2EEiiiiS1_IjLj3EES5_S5_S5_,comdat
	.globl	_ZL33flash_attn_stream_k_fixup_generalILi256ELi1ELi2EEvPfPK15HIP_vector_typeIfLj2EEiiiiS1_IjLj3EES5_S5_S5_ ; -- Begin function _ZL33flash_attn_stream_k_fixup_generalILi256ELi1ELi2EEvPfPK15HIP_vector_typeIfLj2EEiiiiS1_IjLj3EES5_S5_S5_
	.p2align	8
	.type	_ZL33flash_attn_stream_k_fixup_generalILi256ELi1ELi2EEvPfPK15HIP_vector_typeIfLj2EEiiiiS1_IjLj3EES5_S5_S5_,@function
_ZL33flash_attn_stream_k_fixup_generalILi256ELi1ELi2EEvPfPK15HIP_vector_typeIfLj2EEiiiiS1_IjLj3EES5_S5_S5_: ; @_ZL33flash_attn_stream_k_fixup_generalILi256ELi1ELi2EEvPfPK15HIP_vector_typeIfLj2EEiiiiS1_IjLj3EES5_S5_S5_
; %bb.0:
	s_load_dwordx4 s[12:15], s[4:5], 0x10
	s_load_dword s9, s[4:5], 0x50
	s_mov_b32 s2, 0
	s_waitcnt lgkmcnt(0)
	s_mul_hi_i32 s3, s15, s6
	s_cmp_lg_u64 s[2:3], 0
	s_mul_i32 s2, s15, s6
	s_cbranch_scc0 .LBB41_21
; %bb.1:
	v_cvt_f32_u32_e32 v1, s9
	v_cvt_f32_ubyte0_e32 v2, 0
	s_sub_u32 s10, 0, s9
	s_subb_u32 s11, 0, 0
	v_madmk_f32 v1, v2, 0x4f800000, v1
	v_rcp_f32_e32 v1, v1
	v_mul_f32_e32 v1, 0x5f7ffffc, v1
	v_mul_f32_e32 v2, 0x2f800000, v1
	v_trunc_f32_e32 v2, v2
	v_madmk_f32 v1, v2, 0xcf800000, v1
	v_cvt_u32_f32_e32 v2, v2
	v_cvt_u32_f32_e32 v1, v1
	v_readfirstlane_b32 s16, v2
	v_readfirstlane_b32 s17, v1
	s_mul_i32 s18, s10, s16
	s_mul_hi_u32 s20, s10, s17
	s_mul_i32 s19, s11, s17
	s_add_i32 s18, s20, s18
	s_add_i32 s18, s18, s19
	s_mul_i32 s21, s10, s17
	s_mul_hi_u32 s19, s17, s18
	s_mul_i32 s20, s17, s18
	s_mul_hi_u32 s17, s17, s21
	s_add_u32 s17, s17, s20
	s_addc_u32 s19, 0, s19
	s_mul_hi_u32 s22, s16, s21
	s_mul_i32 s21, s16, s21
	s_add_u32 s17, s17, s21
	s_mul_hi_u32 s20, s16, s18
	s_addc_u32 s17, s19, s22
	s_addc_u32 s19, s20, 0
	s_mul_i32 s18, s16, s18
	s_add_u32 s17, s17, s18
	s_addc_u32 s18, 0, s19
	v_add_co_u32_e32 v1, vcc, s17, v1
	s_cmp_lg_u64 vcc, 0
	s_addc_u32 s16, s16, s18
	v_readfirstlane_b32 s18, v1
	s_mul_i32 s17, s10, s16
	s_mul_hi_u32 s19, s10, s18
	s_add_i32 s17, s19, s17
	s_mul_i32 s11, s11, s18
	s_add_i32 s17, s17, s11
	s_mul_i32 s10, s10, s18
	s_mul_hi_u32 s19, s16, s10
	s_mul_i32 s20, s16, s10
	s_mul_i32 s22, s18, s17
	s_mul_hi_u32 s10, s18, s10
	s_mul_hi_u32 s21, s18, s17
	s_add_u32 s10, s10, s22
	s_addc_u32 s18, 0, s21
	s_add_u32 s10, s10, s20
	s_mul_hi_u32 s11, s16, s17
	s_addc_u32 s10, s18, s19
	s_addc_u32 s11, s11, 0
	s_mul_i32 s17, s16, s17
	s_add_u32 s10, s10, s17
	s_addc_u32 s11, 0, s11
	v_add_co_u32_e32 v1, vcc, s10, v1
	s_cmp_lg_u64 vcc, 0
	s_addc_u32 s18, s16, s11
	s_ashr_i32 s10, s3, 31
	s_add_u32 s16, s2, s10
	s_mov_b32 s11, s10
	s_addc_u32 s17, s3, s10
	s_xor_b64 s[16:17], s[16:17], s[10:11]
	v_readfirstlane_b32 s20, v1
	s_mul_i32 s19, s16, s18
	s_mul_hi_u32 s21, s16, s20
	s_mul_hi_u32 s3, s16, s18
	s_add_u32 s19, s21, s19
	s_addc_u32 s3, 0, s3
	s_mul_hi_u32 s22, s17, s20
	s_mul_i32 s20, s17, s20
	s_add_u32 s19, s19, s20
	s_mul_hi_u32 s21, s17, s18
	s_addc_u32 s3, s3, s22
	s_addc_u32 s19, s21, 0
	s_mul_i32 s18, s17, s18
	s_add_u32 s3, s3, s18
	s_addc_u32 s18, 0, s19
	s_add_u32 s19, s3, 1
	s_addc_u32 s20, s18, 0
	s_add_u32 s21, s3, 2
	s_mul_i32 s23, s9, s18
	s_mul_hi_u32 s24, s9, s3
	s_addc_u32 s22, s18, 0
	s_add_i32 s24, s24, s23
	s_mul_i32 s23, s9, s3
	v_mov_b32_e32 v1, s23
	v_sub_co_u32_e32 v1, vcc, s16, v1
	s_cmp_lg_u64 vcc, 0
	s_subb_u32 s16, s17, s24
	v_subrev_co_u32_e32 v2, vcc, s9, v1
	s_cmp_lg_u64 vcc, 0
	s_subb_u32 s17, s16, 0
	v_readfirstlane_b32 s23, v2
	s_cmp_ge_u32 s23, s9
	s_cselect_b32 s23, -1, 0
	s_cmp_eq_u32 s17, 0
	s_cselect_b32 s17, s23, -1
	s_cmp_lg_u32 s17, 0
	s_cselect_b32 s17, s22, s20
	v_readfirstlane_b32 s20, v1
	s_cselect_b32 s19, s21, s19
	s_cmp_ge_u32 s20, s9
	s_cselect_b32 s20, -1, 0
	s_cmp_eq_u32 s16, 0
	s_cselect_b32 s16, s20, -1
	s_cmp_lg_u32 s16, 0
	s_cselect_b32 s17, s17, s18
	s_cselect_b32 s16, s19, s3
	s_xor_b64 s[16:17], s[16:17], s[10:11]
	s_sub_u32 s20, s16, s10
	s_load_dwordx4 s[16:19], s[4:5], 0x44
	s_cbranch_execnz .LBB41_3
.LBB41_2:
	v_cvt_f32_u32_e32 v1, s9
	s_sub_i32 s0, 0, s9
	v_rcp_iflag_f32_e32 v1, v1
	v_mul_f32_e32 v1, 0x4f7ffffe, v1
	v_cvt_u32_f32_e32 v1, v1
	v_readfirstlane_b32 s1, v1
	s_mul_i32 s0, s0, s1
	s_mul_hi_u32 s0, s1, s0
	s_add_i32 s1, s1, s0
	s_mul_hi_u32 s0, s2, s1
	s_mul_i32 s3, s0, s9
	s_sub_i32 s2, s2, s3
	s_add_i32 s1, s0, 1
	s_sub_i32 s3, s2, s9
	s_cmp_ge_u32 s2, s9
	s_cselect_b32 s0, s1, s0
	s_cselect_b32 s2, s3, s2
	s_add_i32 s1, s0, 1
	s_cmp_ge_u32 s2, s9
	s_cselect_b32 s20, s1, s0
.LBB41_3:
	s_add_i32 s0, s6, 1
	s_mul_hi_i32 s3, s15, s0
	s_mov_b32 s2, 0
	s_cmp_lg_u64 s[2:3], 0
	s_mul_i32 s2, s15, s0
	s_cbranch_scc0 .LBB41_22
; %bb.4:
	v_cvt_f32_u32_e32 v1, s9
	v_cvt_f32_ubyte0_e32 v2, 0
	s_sub_u32 s10, 0, s9
	s_subb_u32 s11, 0, 0
	v_madmk_f32 v1, v2, 0x4f800000, v1
	v_rcp_f32_e32 v1, v1
	v_mul_f32_e32 v1, 0x5f7ffffc, v1
	v_mul_f32_e32 v2, 0x2f800000, v1
	v_trunc_f32_e32 v2, v2
	v_madmk_f32 v1, v2, 0xcf800000, v1
	v_cvt_u32_f32_e32 v2, v2
	v_cvt_u32_f32_e32 v1, v1
	s_waitcnt lgkmcnt(0)
	v_readfirstlane_b32 s19, v2
	v_readfirstlane_b32 s21, v1
	s_mul_i32 s22, s10, s19
	s_mul_hi_u32 s24, s10, s21
	s_mul_i32 s23, s11, s21
	s_add_i32 s22, s24, s22
	s_add_i32 s22, s22, s23
	s_mul_i32 s25, s10, s21
	s_mul_hi_u32 s23, s21, s22
	s_mul_i32 s24, s21, s22
	s_mul_hi_u32 s21, s21, s25
	s_add_u32 s21, s21, s24
	s_addc_u32 s23, 0, s23
	s_mul_hi_u32 s26, s19, s25
	s_mul_i32 s25, s19, s25
	s_add_u32 s21, s21, s25
	s_mul_hi_u32 s24, s19, s22
	s_addc_u32 s21, s23, s26
	s_addc_u32 s23, s24, 0
	s_mul_i32 s22, s19, s22
	s_add_u32 s21, s21, s22
	s_addc_u32 s22, 0, s23
	v_add_co_u32_e32 v1, vcc, s21, v1
	s_cmp_lg_u64 vcc, 0
	s_addc_u32 s19, s19, s22
	v_readfirstlane_b32 s22, v1
	s_mul_i32 s21, s10, s19
	s_mul_hi_u32 s23, s10, s22
	s_add_i32 s21, s23, s21
	s_mul_i32 s11, s11, s22
	s_add_i32 s21, s21, s11
	s_mul_i32 s10, s10, s22
	s_mul_hi_u32 s23, s19, s10
	s_mul_i32 s24, s19, s10
	s_mul_i32 s26, s22, s21
	s_mul_hi_u32 s10, s22, s10
	s_mul_hi_u32 s25, s22, s21
	s_add_u32 s10, s10, s26
	s_addc_u32 s22, 0, s25
	s_add_u32 s10, s10, s24
	s_mul_hi_u32 s11, s19, s21
	s_addc_u32 s10, s22, s23
	s_addc_u32 s11, s11, 0
	s_mul_i32 s21, s19, s21
	s_add_u32 s10, s10, s21
	s_addc_u32 s11, 0, s11
	v_add_co_u32_e32 v1, vcc, s10, v1
	s_cmp_lg_u64 vcc, 0
	s_addc_u32 s19, s19, s11
	s_ashr_i32 s10, s3, 31
	s_add_u32 s22, s2, s10
	s_mov_b32 s11, s10
	s_addc_u32 s23, s3, s10
	s_xor_b64 s[22:23], s[22:23], s[10:11]
	v_readfirstlane_b32 s21, v1
	s_mul_i32 s11, s22, s19
	s_mul_hi_u32 s24, s22, s21
	s_mul_hi_u32 s3, s22, s19
	s_add_u32 s11, s24, s11
	s_addc_u32 s3, 0, s3
	s_mul_hi_u32 s25, s23, s21
	s_mul_i32 s21, s23, s21
	s_add_u32 s11, s11, s21
	s_mul_hi_u32 s24, s23, s19
	s_addc_u32 s3, s3, s25
	s_addc_u32 s11, s24, 0
	s_mul_i32 s19, s23, s19
	s_add_u32 s3, s3, s19
	s_addc_u32 s11, 0, s11
	s_mul_i32 s11, s9, s11
	s_mul_hi_u32 s24, s9, s3
	s_add_i32 s24, s24, s11
	s_mul_i32 s11, s9, s3
	v_mov_b32_e32 v1, s11
	s_add_u32 s19, s3, 1
	s_add_u32 s21, s3, 2
	v_sub_co_u32_e32 v1, vcc, s22, v1
	s_cmp_lg_u64 vcc, 0
	s_subb_u32 s11, s23, s24
	v_subrev_co_u32_e32 v2, vcc, s9, v1
	s_cmp_lg_u64 vcc, 0
	s_subb_u32 s22, s11, 0
	v_cmp_le_u32_e32 vcc, s9, v2
	s_cmp_eq_u32 s22, 0
	v_cndmask_b32_e64 v2, 0, -1, vcc
	s_cselect_b64 vcc, -1, 0
	v_cndmask_b32_e32 v2, -1, v2, vcc
	v_mov_b32_e32 v3, s19
	v_mov_b32_e32 v4, s21
	v_cmp_ne_u32_e32 vcc, 0, v2
	v_cndmask_b32_e32 v2, v3, v4, vcc
	v_cmp_le_u32_e32 vcc, s9, v1
	s_cmp_eq_u32 s11, 0
	v_cndmask_b32_e64 v1, 0, -1, vcc
	s_cselect_b64 vcc, -1, 0
	v_cndmask_b32_e32 v1, -1, v1, vcc
	v_mov_b32_e32 v3, s3
	v_cmp_ne_u32_e32 vcc, 0, v1
	v_cndmask_b32_e32 v1, v3, v2, vcc
	v_xor_b32_e32 v1, s10, v1
	v_subrev_co_u32_e32 v2, vcc, s10, v1
	s_cbranch_execnz .LBB41_6
.LBB41_5:
	v_cvt_f32_u32_e32 v1, s9
	s_sub_i32 s0, 0, s9
	s_mov_b32 s1, 0
	v_rcp_iflag_f32_e32 v1, v1
	v_mul_f32_e32 v1, 0x4f7ffffe, v1
	v_cvt_u32_f32_e32 v1, v1
	v_readfirstlane_b32 s3, v1
	s_mul_i32 s0, s0, s3
	s_mul_hi_u32 s0, s3, s0
	s_add_i32 s3, s3, s0
	s_mul_hi_u32 s0, s2, s3
	s_mul_i32 s10, s0, s9
	s_sub_i32 s2, s2, s10
	s_add_i32 s3, s0, 1
	s_sub_i32 s10, s2, s9
	s_cmp_ge_u32 s2, s9
	s_cselect_b32 s0, s3, s0
	s_cselect_b32 s2, s10, s2
	s_add_i32 s3, s0, 1
	s_cmp_ge_u32 s2, s9
	s_cselect_b32 s0, s3, s0
	v_pk_mov_b32 v[2:3], s[0:1], s[0:1] op_sel:[0,1]
.LBB41_6:
	s_waitcnt lgkmcnt(0)
	s_mul_hi_u32 s0, s20, s16
	s_add_i32 s0, s0, s20
	v_mul_hi_u32 v1, v2, s16
	s_lshr_b32 s19, s0, s17
	v_add_u32_e32 v1, v1, v2
	s_mul_i32 s0, s19, s18
	v_lshrrev_b32_e32 v1, s17, v1
	s_cmp_eq_u32 s0, s20
	v_cmp_eq_u32_e64 s[0:1], s19, v1
	v_mul_lo_u32 v1, v1, s18
	v_cmp_eq_u32_e32 vcc, s20, v2
	s_cselect_b64 s[10:11], -1, 0
	v_cmp_ne_u32_e64 s[2:3], v1, v2
	s_and_b64 s[0:1], s[0:1], s[2:3]
	s_or_b64 s[2:3], vcc, s[10:11]
	s_or_b64 s[0:1], s[2:3], s[0:1]
	s_and_b64 vcc, exec, s[0:1]
	s_cbranch_vccnz .LBB41_24
; %bb.7:
	s_load_dwordx8 s[24:31], s[4:5], 0x20
	s_load_dword s0, s[4:5], 0x40
	s_mov_b32 s10, 0
	s_waitcnt lgkmcnt(0)
	s_mul_hi_u32 s1, s20, s24
	s_add_i32 s1, s1, s20
	s_lshr_b32 s11, s1, s25
	s_mul_i32 s1, s11, s26
	s_sub_i32 s1, s20, s1
	s_mul_hi_u32 s2, s1, s27
	s_add_i32 s2, s1, s2
	s_lshr_b32 s21, s2, s28
	s_mul_i32 s2, s21, s29
	s_sub_i32 s1, s1, s2
	;; [unrolled: 5-line block ×3, first 2 shown]
	s_mul_hi_u32 s1, s0, s16
	s_add_i32 s0, s0, s1
	s_lshr_b32 s22, s0, s17
	s_lshl_b32 s23, s2, 1
	s_add_i32 s22, s22, s7
	s_cmp_lt_i32 s22, s12
	s_cselect_b64 s[0:1], -1, 0
	s_add_i32 s23, s23, s8
	s_cmp_lt_i32 s23, s14
	s_cselect_b64 s[2:3], -1, 0
	s_and_b64 s[0:1], s[0:1], s[2:3]
	s_andn2_b64 vcc, exec, s[0:1]
	s_cbranch_vccnz .LBB41_24
; %bb.8:
	s_load_dwordx4 s[0:3], s[4:5], 0x0
	s_lshl_b32 s4, s9, 3
	s_mov_b32 s5, s10
	s_lshl_b64 s[4:5], s[4:5], 2
	s_mul_i32 s24, s21, s14
	s_waitcnt lgkmcnt(0)
	s_add_u32 s14, s2, s4
	s_mul_i32 s11, s11, s12
	s_addc_u32 s21, s3, s5
	s_add_i32 s4, s22, s11
	s_mul_i32 s4, s4, s13
	s_add_i32 s5, s23, s24
	s_add_i32 s5, s5, s4
	v_lshl_or_b32 v2, s5, 8, v0
	v_ashrrev_i32_e32 v3, 31, v2
	v_lshlrev_b64 v[2:3], 2, v[2:3]
	v_mov_b32_e32 v1, s1
	v_add_co_u32_e32 v2, vcc, s0, v2
	v_addc_co_u32_e32 v3, vcc, v1, v3, vcc
	global_load_dword v5, v[2:3], off
	v_lshl_or_b32 v4, s8, 8, v0
	v_cvt_f32_u32_e32 v0, s9
	v_cvt_f32_ubyte0_e32 v1, 0
	s_add_i32 s0, s7, s6
	s_lshl_b32 s0, s0, 1
	v_mac_f32_e32 v0, 0x4f800000, v1
	v_rcp_f32_e32 v0, v0
	v_cvt_f32_u32_e32 v1, s9
	s_add_i32 s0, s0, s8
	s_ashr_i32 s1, s0, 31
	s_lshl_b64 s[0:1], s[0:1], 3
	v_mul_f32_e32 v0, 0x5f7ffffc, v0
	v_rcp_iflag_f32_e32 v1, v1
	s_add_u32 s0, s2, s0
	v_mul_f32_e32 v9, 0x2f800000, v0
	s_addc_u32 s1, s3, s1
	v_trunc_f32_e32 v10, v9
	s_load_dwordx2 s[0:1], s[0:1], 0x0
	v_mac_f32_e32 v0, 0xcf800000, v10
	v_cvt_u32_f32_e32 v9, v0
	v_mul_f32_e32 v0, 0x4f7ffffe, v1
	v_cvt_u32_f32_e32 v10, v10
	v_cvt_u32_f32_e32 v11, v0
	s_add_i32 s13, s6, -1
	s_waitcnt lgkmcnt(0)
	v_mov_b32_e32 v6, s1
	v_mov_b32_e32 v7, s0
	;; [unrolled: 1-line block ×3, first 2 shown]
	s_mov_b32 s6, 0x3fb8aa3b
	s_mov_b32 s12, 0xc2ce8ed0
	;; [unrolled: 1-line block ×4, first 2 shown]
	v_mov_b32_e32 v12, 0x7f800000
	s_mul_hi_i32 s11, s13, s15
	s_cmp_lg_u64 s[10:11], 0
	s_mul_i32 s4, s13, s15
	s_cbranch_scc0 .LBB41_15
.LBB41_9:
	s_sub_u32 s0, 0, s9
	v_readfirstlane_b32 s5, v9
	v_readfirstlane_b32 s25, v10
	s_subb_u32 s1, 0, 0
	s_mul_hi_u32 s24, s0, s5
	s_mul_i32 s26, s0, s25
	s_mul_i32 s23, s1, s5
	s_add_i32 s24, s24, s26
	s_add_i32 s24, s24, s23
	s_mul_i32 s27, s0, s5
	s_mul_hi_u32 s23, s5, s24
	s_mul_i32 s26, s5, s24
	s_mul_hi_u32 s5, s5, s27
	s_add_u32 s5, s5, s26
	s_addc_u32 s23, 0, s23
	s_mul_hi_u32 s28, s25, s27
	s_mul_i32 s27, s25, s27
	s_add_u32 s5, s5, s27
	s_mul_hi_u32 s26, s25, s24
	s_addc_u32 s5, s23, s28
	s_addc_u32 s23, s26, 0
	s_mul_i32 s24, s25, s24
	s_add_u32 s5, s5, s24
	s_addc_u32 s23, 0, s23
	v_add_co_u32_e32 v0, vcc, s5, v9
	s_cmp_lg_u64 vcc, 0
	s_addc_u32 s5, s25, s23
	v_readfirstlane_b32 s24, v0
	s_mul_i32 s23, s0, s5
	s_mul_hi_u32 s25, s0, s24
	s_add_i32 s23, s25, s23
	s_mul_i32 s1, s1, s24
	s_add_i32 s23, s23, s1
	s_mul_i32 s0, s0, s24
	s_mul_hi_u32 s25, s5, s0
	s_mul_i32 s26, s5, s0
	s_mul_i32 s28, s24, s23
	s_mul_hi_u32 s0, s24, s0
	s_mul_hi_u32 s27, s24, s23
	s_add_u32 s0, s0, s28
	s_addc_u32 s24, 0, s27
	s_add_u32 s0, s0, s26
	s_mul_hi_u32 s1, s5, s23
	s_addc_u32 s0, s24, s25
	s_addc_u32 s1, s1, 0
	s_mul_i32 s23, s5, s23
	s_add_u32 s0, s0, s23
	s_addc_u32 s1, 0, s1
	v_add_co_u32_e32 v0, vcc, s0, v0
	s_cmp_lg_u64 vcc, 0
	s_addc_u32 s5, s5, s1
	s_ashr_i32 s0, s11, 31
	s_add_u32 s24, s4, s0
	s_mov_b32 s1, s0
	s_addc_u32 s25, s11, s0
	s_xor_b64 s[24:25], s[24:25], s[0:1]
	v_readfirstlane_b32 s23, v0
	s_mul_i32 s11, s24, s5
	s_mul_hi_u32 s26, s24, s23
	s_mul_hi_u32 s1, s24, s5
	s_add_u32 s11, s26, s11
	s_addc_u32 s1, 0, s1
	s_mul_hi_u32 s27, s25, s23
	s_mul_i32 s23, s25, s23
	s_add_u32 s11, s11, s23
	s_mul_hi_u32 s26, s25, s5
	s_addc_u32 s1, s1, s27
	s_addc_u32 s11, s26, 0
	s_mul_i32 s5, s25, s5
	s_add_u32 s1, s1, s5
	s_addc_u32 s5, 0, s11
	s_mul_i32 s5, s9, s5
	s_mul_hi_u32 s26, s9, s1
	s_add_i32 s26, s26, s5
	s_mul_i32 s5, s9, s1
	v_mov_b32_e32 v0, s5
	s_add_u32 s11, s1, 1
	s_add_u32 s23, s1, 2
	v_sub_co_u32_e32 v0, vcc, s24, v0
	s_cmp_lg_u64 vcc, 0
	s_subb_u32 s5, s25, s26
	v_subrev_co_u32_e32 v1, vcc, s9, v0
	s_cmp_lg_u64 vcc, 0
	s_subb_u32 s24, s5, 0
	v_cmp_le_u32_e32 vcc, s9, v1
	s_cmp_eq_u32 s24, 0
	v_cndmask_b32_e64 v1, 0, -1, vcc
	s_cselect_b64 vcc, -1, 0
	v_cndmask_b32_e32 v1, -1, v1, vcc
	v_mov_b32_e32 v13, s11
	v_mov_b32_e32 v14, s23
	v_cmp_ne_u32_e32 vcc, 0, v1
	v_cndmask_b32_e32 v1, v13, v14, vcc
	v_cmp_le_u32_e32 vcc, s9, v0
	s_cmp_eq_u32 s5, 0
	v_cndmask_b32_e64 v0, 0, -1, vcc
	s_cselect_b64 vcc, -1, 0
	v_cndmask_b32_e32 v0, -1, v0, vcc
	v_mov_b32_e32 v13, s1
	v_cmp_ne_u32_e32 vcc, 0, v0
	v_cndmask_b32_e32 v0, v13, v1, vcc
	v_xor_b32_e32 v0, s0, v0
	v_subrev_co_u32_e32 v0, vcc, s0, v0
	s_cbranch_execnz .LBB41_11
.LBB41_10:
	s_sub_i32 s0, 0, s9
	v_mul_lo_u32 v0, s0, v11
	v_mul_hi_u32 v0, v11, v0
	v_add_u32_e32 v0, v11, v0
	v_mul_hi_u32 v0, s4, v0
	v_mul_lo_u32 v13, v0, s9
	v_sub_u32_e32 v13, s4, v13
	v_add_u32_e32 v1, 1, v0
	v_subrev_u32_e32 v14, s9, v13
	v_cmp_le_u32_e32 vcc, s9, v13
	v_cndmask_b32_e32 v13, v13, v14, vcc
	v_cndmask_b32_e32 v0, v0, v1, vcc
	v_add_u32_e32 v1, 1, v0
	v_cmp_le_u32_e32 vcc, s9, v13
	v_cndmask_b32_e32 v0, v0, v1, vcc
.LBB41_11:
	v_cmp_ne_u32_e32 vcc, v8, v0
	s_cbranch_vccz .LBB41_14
; %bb.12:
	s_add_i32 s23, s13, s7
	s_add_i32 s0, s23, s9
	s_lshl_b32 s0, s0, 1
	v_mul_hi_u32 v1, v0, s16
	s_add_i32 s0, s0, s8
	s_mov_b32 s1, s10
	v_add_u32_e32 v1, v1, v0
	s_lshl_b64 s[0:1], s[0:1], 3
	v_lshrrev_b32_e32 v1, s17, v1
	s_add_u32 s4, s2, s0
	v_mul_lo_u32 v13, v1, s18
	s_addc_u32 s5, s3, s1
	v_cmp_eq_u32_e32 vcc, v13, v0
	v_cmp_gt_u32_e64 s[0:1], s19, v1
	s_or_b64 s[0:1], s[0:1], vcc
	s_and_b64 vcc, exec, s[0:1]
	s_cbranch_vccnz .LBB41_16
; %bb.13:
	s_add_i32 s11, s13, -1
	s_mov_b64 s[0:1], 0
	s_branch .LBB41_17
.LBB41_14:
                                        ; implicit-def: $sgpr0_sgpr1
                                        ; implicit-def: $vgpr14
                                        ; implicit-def: $vgpr1
                                        ; implicit-def: $vgpr13
                                        ; implicit-def: $sgpr11
                                        ; implicit-def: $vgpr0
	s_branch .LBB41_18
.LBB41_15:
                                        ; implicit-def: $vgpr0_vgpr1
	s_branch .LBB41_10
.LBB41_16:
	s_mov_b64 s[0:1], -1
	s_mov_b32 s11, s13
	v_mov_b32_e32 v0, v8
.LBB41_17:
	v_lshl_add_u32 v14, s23, 9, v4
	v_ashrrev_i32_e32 v15, 31, v14
	v_lshlrev_b64 v[14:15], 2, v[14:15]
	v_mov_b32_e32 v1, s21
	v_add_co_u32_e32 v14, vcc, s14, v14
	v_addc_co_u32_e32 v15, vcc, v1, v15, vcc
	global_load_dword v14, v[14:15], off
	s_load_dwordx2 s[4:5], s[4:5], 0x0
	v_max_f32_e32 v1, v7, v7
	s_waitcnt lgkmcnt(0)
	v_max_f32_e64 v13, s4, s4
	v_max_f32_e32 v1, v1, v13
	v_sub_f32_e32 v13, v7, v1
	v_sub_f32_e32 v15, s4, v1
	v_mul_f32_e32 v16, 0x3fb8aa3b, v13
	v_mul_f32_e32 v17, 0x3fb8aa3b, v15
	v_fma_f32 v18, v13, s6, -v16
	v_rndne_f32_e32 v19, v16
	v_fma_f32 v20, v15, s6, -v17
	v_rndne_f32_e32 v21, v17
	v_fmac_f32_e32 v18, 0x32a5705f, v13
	v_sub_f32_e32 v16, v16, v19
	v_fmac_f32_e32 v20, 0x32a5705f, v15
	v_sub_f32_e32 v17, v17, v21
	v_add_f32_e32 v16, v16, v18
	v_cvt_i32_f32_e32 v19, v19
	v_add_f32_e32 v17, v17, v20
	v_exp_f32_e32 v16, v16
	v_cvt_i32_f32_e32 v21, v21
	v_exp_f32_e32 v17, v17
	v_cmp_ngt_f32_e32 vcc, s12, v13
	v_ldexp_f32 v16, v16, v19
	v_cndmask_b32_e32 v16, 0, v16, vcc
	v_ldexp_f32 v17, v17, v21
	v_cmp_ngt_f32_e32 vcc, s12, v15
	v_cndmask_b32_e32 v17, 0, v17, vcc
	v_cmp_nlt_f32_e32 vcc, s20, v13
	v_cndmask_b32_e32 v16, v12, v16, vcc
	v_cmp_nlt_f32_e32 vcc, s20, v15
	v_cndmask_b32_e32 v17, v12, v17, vcc
	v_cmp_le_f32_e32 vcc, s22, v13
	v_cndmask_b32_e32 v16, 0, v16, vcc
	v_cmp_le_f32_e32 vcc, s22, v15
	v_cndmask_b32_e32 v15, 0, v17, vcc
	v_mul_f32_e32 v13, s5, v15
	v_fmac_f32_e32 v13, v6, v16
	s_waitcnt vmcnt(0)
	v_mul_f32_e32 v14, v14, v15
	v_fmac_f32_e32 v14, v5, v16
	s_cbranch_execnz .LBB41_19
.LBB41_18:
	s_add_i32 s11, s13, -1
	s_mov_b64 s[0:1], 0
	v_mov_b32_e32 v0, v8
	v_mov_b32_e32 v13, v6
	;; [unrolled: 1-line block ×3, first 2 shown]
	s_waitcnt vmcnt(0)
	v_mov_b32_e32 v14, v5
.LBB41_19:
	s_andn2_b64 vcc, exec, s[0:1]
	s_cbranch_vccz .LBB41_23
; %bb.20:
	v_mov_b32_e32 v8, v0
	s_mov_b32 s13, s11
	v_mov_b32_e32 v6, v13
	v_mov_b32_e32 v7, v1
	s_waitcnt vmcnt(0)
	v_mov_b32_e32 v5, v14
	s_mul_hi_i32 s11, s13, s15
	s_cmp_lg_u64 s[10:11], 0
	s_mul_i32 s4, s13, s15
	s_cbranch_scc1 .LBB41_9
	s_branch .LBB41_15
.LBB41_21:
                                        ; implicit-def: $sgpr20_sgpr21
	s_load_dwordx4 s[16:19], s[4:5], 0x44
	s_branch .LBB41_2
.LBB41_22:
                                        ; implicit-def: $vgpr2_vgpr3
	s_branch .LBB41_5
.LBB41_23:
	v_div_scale_f32 v0, s[0:1], v13, v13, v14
	v_rcp_f32_e32 v1, v0
	v_div_scale_f32 v4, vcc, v14, v13, v14
	s_waitcnt vmcnt(0)
	v_fma_f32 v5, -v0, v1, 1.0
	v_fmac_f32_e32 v1, v5, v1
	v_mul_f32_e32 v5, v4, v1
	v_fma_f32 v6, -v0, v5, v4
	v_fmac_f32_e32 v5, v6, v1
	v_fma_f32 v0, -v0, v5, v4
	v_div_fmas_f32 v0, v0, v1, v5
	v_div_fixup_f32 v0, v0, v13, v14
	global_store_dword v[2:3], v0, off
.LBB41_24:
	s_endpgm
	.section	.rodata,"a",@progbits
	.p2align	6, 0x0
	.amdhsa_kernel _ZL33flash_attn_stream_k_fixup_generalILi256ELi1ELi2EEvPfPK15HIP_vector_typeIfLj2EEiiiiS1_IjLj3EES5_S5_S5_
		.amdhsa_group_segment_fixed_size 0
		.amdhsa_private_segment_fixed_size 0
		.amdhsa_kernarg_size 336
		.amdhsa_user_sgpr_count 6
		.amdhsa_user_sgpr_private_segment_buffer 1
		.amdhsa_user_sgpr_dispatch_ptr 0
		.amdhsa_user_sgpr_queue_ptr 0
		.amdhsa_user_sgpr_kernarg_segment_ptr 1
		.amdhsa_user_sgpr_dispatch_id 0
		.amdhsa_user_sgpr_flat_scratch_init 0
		.amdhsa_user_sgpr_kernarg_preload_length 0
		.amdhsa_user_sgpr_kernarg_preload_offset 0
		.amdhsa_user_sgpr_private_segment_size 0
		.amdhsa_uses_dynamic_stack 0
		.amdhsa_system_sgpr_private_segment_wavefront_offset 0
		.amdhsa_system_sgpr_workgroup_id_x 1
		.amdhsa_system_sgpr_workgroup_id_y 1
		.amdhsa_system_sgpr_workgroup_id_z 1
		.amdhsa_system_sgpr_workgroup_info 0
		.amdhsa_system_vgpr_workitem_id 0
		.amdhsa_next_free_vgpr 22
		.amdhsa_next_free_sgpr 32
		.amdhsa_accum_offset 24
		.amdhsa_reserve_vcc 1
		.amdhsa_reserve_flat_scratch 0
		.amdhsa_float_round_mode_32 0
		.amdhsa_float_round_mode_16_64 0
		.amdhsa_float_denorm_mode_32 3
		.amdhsa_float_denorm_mode_16_64 3
		.amdhsa_dx10_clamp 1
		.amdhsa_ieee_mode 1
		.amdhsa_fp16_overflow 0
		.amdhsa_tg_split 0
		.amdhsa_exception_fp_ieee_invalid_op 0
		.amdhsa_exception_fp_denorm_src 0
		.amdhsa_exception_fp_ieee_div_zero 0
		.amdhsa_exception_fp_ieee_overflow 0
		.amdhsa_exception_fp_ieee_underflow 0
		.amdhsa_exception_fp_ieee_inexact 0
		.amdhsa_exception_int_div_zero 0
	.end_amdhsa_kernel
	.section	.text._ZL33flash_attn_stream_k_fixup_generalILi256ELi1ELi2EEvPfPK15HIP_vector_typeIfLj2EEiiiiS1_IjLj3EES5_S5_S5_,"axG",@progbits,_ZL33flash_attn_stream_k_fixup_generalILi256ELi1ELi2EEvPfPK15HIP_vector_typeIfLj2EEiiiiS1_IjLj3EES5_S5_S5_,comdat
.Lfunc_end41:
	.size	_ZL33flash_attn_stream_k_fixup_generalILi256ELi1ELi2EEvPfPK15HIP_vector_typeIfLj2EEiiiiS1_IjLj3EES5_S5_S5_, .Lfunc_end41-_ZL33flash_attn_stream_k_fixup_generalILi256ELi1ELi2EEvPfPK15HIP_vector_typeIfLj2EEiiiiS1_IjLj3EES5_S5_S5_
                                        ; -- End function
	.section	.AMDGPU.csdata,"",@progbits
; Kernel info:
; codeLenInByte = 2804
; NumSgprs: 36
; NumVgprs: 22
; NumAgprs: 0
; TotalNumVgprs: 22
; ScratchSize: 0
; MemoryBound: 0
; FloatMode: 240
; IeeeMode: 1
; LDSByteSize: 0 bytes/workgroup (compile time only)
; SGPRBlocks: 4
; VGPRBlocks: 2
; NumSGPRsForWavesPerEU: 36
; NumVGPRsForWavesPerEU: 22
; AccumOffset: 24
; Occupancy: 8
; WaveLimiterHint : 0
; COMPUTE_PGM_RSRC2:SCRATCH_EN: 0
; COMPUTE_PGM_RSRC2:USER_SGPR: 6
; COMPUTE_PGM_RSRC2:TRAP_HANDLER: 0
; COMPUTE_PGM_RSRC2:TGID_X_EN: 1
; COMPUTE_PGM_RSRC2:TGID_Y_EN: 1
; COMPUTE_PGM_RSRC2:TGID_Z_EN: 1
; COMPUTE_PGM_RSRC2:TIDIG_COMP_CNT: 0
; COMPUTE_PGM_RSRC3_GFX90A:ACCUM_OFFSET: 5
; COMPUTE_PGM_RSRC3_GFX90A:TG_SPLIT: 0
	.section	.text._ZL15flash_attn_tileILi256ELi256ELi32ELi1ELb0EEvPKcS1_S1_S1_S1_PKiPfP15HIP_vector_typeIfLj2EEffffjfiS5_IjLj3EEiiiiiiiiiiiliiliiiiil,"axG",@progbits,_ZL15flash_attn_tileILi256ELi256ELi32ELi1ELb0EEvPKcS1_S1_S1_S1_PKiPfP15HIP_vector_typeIfLj2EEffffjfiS5_IjLj3EEiiiiiiiiiiiliiliiiiil,comdat
	.globl	_ZL15flash_attn_tileILi256ELi256ELi32ELi1ELb0EEvPKcS1_S1_S1_S1_PKiPfP15HIP_vector_typeIfLj2EEffffjfiS5_IjLj3EEiiiiiiiiiiiliiliiiiil ; -- Begin function _ZL15flash_attn_tileILi256ELi256ELi32ELi1ELb0EEvPKcS1_S1_S1_S1_PKiPfP15HIP_vector_typeIfLj2EEffffjfiS5_IjLj3EEiiiiiiiiiiiliiliiiiil
	.p2align	8
	.type	_ZL15flash_attn_tileILi256ELi256ELi32ELi1ELb0EEvPKcS1_S1_S1_S1_PKiPfP15HIP_vector_typeIfLj2EEffffjfiS5_IjLj3EEiiiiiiiiiiiliiliiiiil,@function
_ZL15flash_attn_tileILi256ELi256ELi32ELi1ELb0EEvPKcS1_S1_S1_S1_PKiPfP15HIP_vector_typeIfLj2EEffffjfiS5_IjLj3EEiiiiiiiiiiiliiliiiiil: ; @_ZL15flash_attn_tileILi256ELi256ELi32ELi1ELb0EEvPKcS1_S1_S1_S1_PKiPfP15HIP_vector_typeIfLj2EEffffjfiS5_IjLj3EEiiiiiiiiiiiliiliiiiil
; %bb.0:
	s_load_dwordx4 s[36:39], s[6:7], 0x5c
	s_load_dwordx2 s[46:47], s[6:7], 0x80
	s_add_u32 flat_scratch_lo, s8, s13
	s_addc_u32 flat_scratch_hi, s9, 0
	s_add_u32 s0, s0, s13
	s_waitcnt lgkmcnt(0)
	v_cvt_f32_u32_e32 v1, s39
	s_addc_u32 s1, s1, 0
	s_sub_i32 s8, 0, s39
	s_load_dwordx16 s[16:31], s[6:7], 0x0
	v_rcp_iflag_f32_e32 v1, v1
	s_load_dwordx2 s[48:49], s[6:7], 0xb8
	s_mov_b64 s[44:45], 0
	v_mul_f32_e32 v1, 0x4f7ffffe, v1
	v_cvt_u32_f32_e32 v1, v1
	v_readfirstlane_b32 s9, v1
	s_mul_i32 s8, s8, s9
	s_mul_hi_u32 s8, s9, s8
	s_add_i32 s9, s9, s8
	s_mul_hi_u32 s8, s12, s9
	s_mul_i32 s9, s8, s39
	s_sub_i32 s9, s12, s9
	s_add_i32 s13, s8, 1
	s_sub_i32 s14, s9, s39
	s_cmp_ge_u32 s9, s39
	s_cselect_b32 s8, s13, s8
	s_cselect_b32 s9, s14, s9
	s_add_i32 s13, s8, 1
	s_cmp_ge_u32 s9, s39
	s_cselect_b32 s33, s13, s8
	s_abs_i32 s8, s47
	v_cvt_f32_u32_e32 v1, s8
	s_mul_i32 s14, s33, s39
	s_sub_i32 s15, 0, s8
	s_sub_i32 s34, s12, s14
	v_rcp_iflag_f32_e32 v1, v1
	s_abs_i32 s13, s39
	s_xor_b32 s9, s39, s47
	s_ashr_i32 s9, s9, 31
	v_mul_f32_e32 v1, 0x4f7ffffe, v1
	v_cvt_u32_f32_e32 v1, v1
	v_readfirstlane_b32 s12, v1
	s_mul_i32 s15, s15, s12
	s_mul_hi_u32 s14, s12, s15
	s_add_i32 s12, s12, s14
	s_mul_hi_u32 s12, s13, s12
	s_mul_i32 s14, s12, s8
	s_sub_i32 s13, s13, s14
	s_add_i32 s15, s12, 1
	s_sub_i32 s14, s13, s8
	s_cmp_ge_u32 s13, s8
	s_cselect_b32 s12, s15, s12
	s_cselect_b32 s13, s14, s13
	s_add_i32 s14, s12, 1
	s_cmp_ge_u32 s13, s8
	s_cselect_b32 s8, s14, s12
	s_xor_b32 s8, s8, s9
	s_sub_i32 s51, s8, s9
	s_abs_i32 s47, s51
	v_cvt_f32_u32_e32 v1, s47
	s_sub_i32 s8, 0, s47
	s_abs_i32 s50, s34
	v_rcp_iflag_f32_e32 v1, v1
	v_mul_f32_e32 v1, 0x4f7ffffe, v1
	v_cvt_u32_f32_e32 v1, v1
	v_readfirstlane_b32 s9, v1
	s_mul_i32 s8, s8, s9
	s_mul_hi_u32 s8, s9, s8
	s_add_i32 s8, s9, s8
	s_waitcnt lgkmcnt(0)
	s_cmp_eq_u64 s[22:23], 0
	s_cbranch_scc1 .LBB42_2
; %bb.1:
	s_abs_i32 s9, s48
	v_cvt_f32_u32_e32 v1, s9
	s_sub_i32 s35, 0, s9
	s_abs_i32 s15, s33
	s_ashr_i32 s14, s33, 31
	v_rcp_iflag_f32_e32 v1, v1
	s_load_dwordx2 s[12:13], s[6:7], 0xc8
	v_mul_f32_e32 v1, 0x4f7ffffe, v1
	v_cvt_u32_f32_e32 v1, v1
	v_readfirstlane_b32 s40, v1
	s_mul_i32 s35, s35, s40
	s_mul_hi_u32 s35, s40, s35
	s_add_i32 s40, s40, s35
	s_mul_hi_u32 s35, s15, s40
	s_mul_i32 s35, s35, s9
	s_sub_i32 s15, s15, s35
	s_sub_i32 s35, s15, s9
	s_cmp_ge_u32 s15, s9
	s_cselect_b32 s15, s35, s15
	s_sub_i32 s35, s15, s9
	s_cmp_ge_u32 s15, s9
	s_cselect_b32 s9, s35, s15
	s_xor_b32 s9, s9, s14
	s_sub_i32 s9, s9, s14
	s_ashr_i32 s14, s9, 31
	s_waitcnt lgkmcnt(0)
	s_mul_i32 s13, s9, s13
	s_mul_hi_u32 s15, s9, s12
	s_add_i32 s13, s15, s13
	s_mul_i32 s14, s14, s12
	s_add_i32 s13, s13, s14
	s_mul_i32 s9, s9, s12
	s_add_u32 s44, s22, s9
	s_addc_u32 s45, s23, s13
.LBB42_2:
	s_load_dwordx4 s[40:43], s[6:7], 0x40
	s_mul_hi_u32 s48, s50, s8
	s_load_dword s8, s[6:7], 0x50
	v_mov_b32_e32 v41, 1.0
	s_waitcnt lgkmcnt(0)
	v_cmp_le_f32_e64 s[12:13], s41, 0
	s_and_b64 vcc, exec, s[12:13]
	s_cbranch_vccnz .LBB42_4
; %bb.3:
	s_sub_i32 s9, s34, s8
	s_lshl_b32 s9, s9, 1
	s_add_i32 s12, s34, 1
	s_or_b32 s13, s9, 1
	s_cmp_lt_u32 s34, s8
	s_cselect_b64 vcc, -1, 0
	s_and_b64 s[8:9], vcc, exec
	v_mov_b32_e32 v1, s43
	v_mov_b32_e32 v2, s42
	s_cselect_b32 s8, s12, s13
	v_cndmask_b32_e32 v18, v1, v2, vcc
	v_cvt_f32_i32_e32 v1, s8
	v_cmp_neq_f32_e32 vcc, 1.0, v18
	s_mov_b32 s8, 0x3f2aaaab
	s_movk_i32 s12, 0x204
	v_cndmask_b32_e32 v19, 1.0, v1, vcc
	v_cmp_eq_f32_e32 vcc, 0, v19
	v_cndmask_b32_e64 v20, |v18|, 1.0, vcc
	v_frexp_mant_f32_e32 v1, v20
	v_cmp_gt_f32_e64 s[8:9], s8, v1
	v_cndmask_b32_e64 v2, 1.0, 2.0, s[8:9]
	v_mul_f32_e32 v1, v1, v2
	v_add_f32_e32 v2, 1.0, v1
	v_rcp_f32_e32 v10, v2
	v_add_f32_e32 v3, -1.0, v2
	v_sub_f32_e32 v5, v1, v3
	v_add_f32_e32 v3, -1.0, v1
	v_mul_f32_e32 v1, v3, v10
	v_mul_f32_e32 v4, v2, v1
	v_fma_f32 v6, v1, v2, -v4
	v_fmac_f32_e32 v6, v1, v5
	v_add_f32_e32 v2, v4, v6
	v_sub_f32_e32 v5, v3, v2
	v_pk_add_f32 v[8:9], v[2:3], v[4:5] neg_lo:[0,1] neg_hi:[0,1]
	v_mov_b32_e32 v7, v2
	v_pk_add_f32 v[2:3], v[8:9], v[6:7] neg_lo:[0,1] neg_hi:[0,1]
	v_add_f32_e32 v2, v2, v3
	v_add_f32_e32 v2, v5, v2
	v_mul_f32_e32 v3, v10, v2
	v_add_f32_e32 v2, v1, v3
	v_sub_f32_e32 v1, v2, v1
	v_sub_f32_e32 v1, v3, v1
	v_mul_f32_e32 v3, v2, v2
	v_fma_f32 v5, v2, v2, -v3
	v_add_f32_e32 v4, v1, v1
	v_fmac_f32_e32 v5, v2, v4
	v_add_f32_e32 v4, v3, v5
	v_mov_b32_e32 v6, 0x3e91f4c4
	v_fmac_f32_e32 v6, 0x3e76c4e1, v4
	v_mov_b32_e32 v7, 0x3ecccdef
	v_fmac_f32_e32 v7, v4, v6
	v_sub_f32_e32 v3, v4, v3
	v_sub_f32_e32 v12, v5, v3
	v_mul_f32_e32 v3, v4, v7
	v_fma_f32 v5, v4, v7, -v3
	v_fmac_f32_e32 v5, v12, v7
	v_add_f32_e32 v6, v3, v5
	v_add_f32_e32 v7, 0x3f2aaaaa, v6
	v_sub_f32_e32 v3, v6, v3
	v_sub_f32_e32 v3, v5, v3
	v_add_f32_e32 v5, 0xbf2aaaaa, v7
	v_add_f32_e32 v3, 0x31739010, v3
	v_sub_f32_e32 v5, v6, v5
	v_pk_mul_f32 v[8:9], v[2:3], v[4:5]
	v_fma_f32 v6, v4, v2, -v8
	v_pk_add_f32 v[10:11], v[2:3], v[4:5]
	v_fmac_f32_e32 v6, v4, v1
	v_mov_b32_e32 v9, v11
	v_fmac_f32_e32 v6, v12, v2
	v_pk_add_f32 v[4:5], v[8:9], v[6:7]
	v_sub_f32_e32 v3, v4, v8
	v_sub_f32_e32 v3, v6, v3
	;; [unrolled: 1-line block ×3, first 2 shown]
	v_add_f32_e32 v9, v11, v6
	v_mov_b32_e32 v6, v5
	v_pk_mul_f32 v[6:7], v[4:5], v[6:7]
	v_cvt_f64_f32_e32 v[10:11], v20
	v_frexp_exp_i32_f64_e32 v7, v[10:11]
	v_subbrev_co_u32_e64 v7, s[8:9], 0, v7, s[8:9]
	v_cvt_f32_i32_e32 v7, v7
	v_fma_f32 v8, v4, v5, -v6
	v_fmac_f32_e32 v8, v4, v9
	s_mov_b32 s8, 0x3f317218
	v_mul_f32_e32 v4, 0x3f317218, v7
	v_fmac_f32_e32 v8, v3, v5
	v_fma_f32 v10, v7, s8, -v4
	v_fmac_f32_e32 v10, 0xb102e308, v7
	v_ldexp_f32 v11, v2, 1
	v_add_f32_e32 v5, v6, v8
	v_pk_add_f32 v[2:3], v[4:5], v[10:11]
	v_mov_b32_e32 v12, v5
	v_mov_b32_e32 v13, v3
	v_mov_b32_e32 v7, v11
	v_pk_add_f32 v[6:7], v[12:13], v[6:7] neg_lo:[0,1] neg_hi:[0,1]
	v_mov_b32_e32 v9, v5
	v_ldexp_f32 v1, v1, 1
	v_pk_add_f32 v[6:7], v[8:9], v[6:7] neg_lo:[0,1] neg_hi:[0,1]
	v_add_f32_e32 v1, v1, v6
	v_add_f32_e32 v5, v1, v7
	v_pk_add_f32 v[6:7], v[2:3], v[4:5] neg_lo:[0,1] neg_hi:[0,1]
	v_pk_add_f32 v[8:9], v[2:3], v[4:5]
	v_mov_b32_e32 v12, v6
	v_mov_b32_e32 v13, v9
	;; [unrolled: 1-line block ×3, first 2 shown]
	v_pk_add_f32 v[12:13], v[10:11], v[12:13]
	v_mov_b32_e32 v4, v13
	v_pk_add_f32 v[14:15], v[4:5], v[2:3] neg_lo:[0,1] neg_hi:[0,1]
	v_mov_b32_e32 v1, v14
	v_mov_b32_e32 v12, v9
	;; [unrolled: 1-line block ×4, first 2 shown]
	v_pk_add_f32 v[6:7], v[10:11], v[6:7] neg_lo:[0,1] neg_hi:[0,1]
	v_pk_add_f32 v[16:17], v[8:9], v[0:1] neg_lo:[0,1] neg_hi:[0,1]
	;; [unrolled: 1-line block ×3, first 2 shown]
	v_mov_b32_e32 v10, v5
	v_pk_add_f32 v[2:3], v[10:11], v[2:3] neg_lo:[0,1] neg_hi:[0,1]
	v_mov_b32_e32 v16, v6
	v_pk_add_f32 v[8:9], v[16:17], v[2:3]
	v_mov_b32_e32 v10, v9
	v_pk_add_f32 v[10:11], v[8:9], v[10:11]
	v_pk_add_f32 v[4:5], v[4:5], v[10:11]
	v_mov_b32_e32 v7, v13
	v_mov_b32_e32 v9, v4
	v_pk_add_f32 v[12:13], v[8:9], v[6:7] neg_lo:[0,1] neg_hi:[0,1]
	v_mov_b32_e32 v3, v10
	v_sub_f32_e32 v1, v8, v12
	v_pk_add_f32 v[2:3], v[2:3], v[12:13] neg_lo:[0,1] neg_hi:[0,1]
	v_sub_f32_e32 v1, v6, v1
	v_add_f32_e32 v1, v2, v1
	v_add_f32_e32 v1, v1, v3
	;; [unrolled: 1-line block ×3, first 2 shown]
	v_sub_f32_e32 v3, v2, v4
	v_sub_f32_e32 v1, v1, v3
	v_mul_f32_e32 v3, v19, v2
	v_fma_f32 v2, v19, v2, -v3
	v_fmac_f32_e32 v2, v19, v1
	v_add_f32_e32 v1, v3, v2
	v_cmp_class_f32_e64 s[8:9], v3, s12
	v_sub_f32_e32 v4, v1, v3
	v_cndmask_b32_e64 v1, v1, v3, s[8:9]
	s_mov_b32 s14, 0x42b17218
	v_mov_b32_e32 v3, 0x37000000
	v_cmp_eq_f32_e64 s[8:9], s14, v1
	v_cndmask_b32_e64 v3, 0, v3, s[8:9]
	v_sub_f32_e32 v2, v2, v4
	v_sub_f32_e32 v4, v1, v3
	s_mov_b32 s8, 0x3fb8aa3b
	v_mul_f32_e32 v5, 0x3fb8aa3b, v4
	v_fma_f32 v6, v4, s8, -v5
	v_rndne_f32_e32 v7, v5
	v_fmac_f32_e32 v6, 0x32a5705f, v4
	v_sub_f32_e32 v5, v5, v7
	v_add_f32_e32 v5, v5, v6
	v_exp_f32_e32 v5, v5
	v_cvt_i32_f32_e32 v6, v7
	s_mov_b32 s13, 0x7f800000
	v_cmp_neq_f32_e64 s[8:9], |v1|, s13
	v_cndmask_b32_e64 v1, 0, v2, s[8:9]
	s_mov_b32 s8, 0xc2ce8ed0
	v_ldexp_f32 v2, v5, v6
	v_cmp_ngt_f32_e64 s[8:9], s8, v4
	v_add_f32_e32 v1, v3, v1
	v_cndmask_b32_e64 v2, 0, v2, s[8:9]
	v_mov_b32_e32 v3, 0x7f800000
	v_cmp_nlt_f32_e64 s[8:9], s14, v4
	v_cndmask_b32_e64 v2, v3, v2, s[8:9]
	v_fma_f32 v1, v2, v1, v2
	v_cmp_class_f32_e64 s[8:9], v2, s12
	v_trunc_f32_e32 v4, v19
	v_cndmask_b32_e64 v1, v1, v2, s[8:9]
	v_cndmask_b32_e64 v2, v18, 1.0, vcc
	v_cmp_eq_f32_e32 vcc, v4, v19
	v_mul_f32_e32 v4, 0.5, v19
	v_trunc_f32_e32 v6, v4
	v_cmp_neq_f32_e64 s[8:9], v6, v4
	s_and_b64 s[8:9], vcc, s[8:9]
	v_cndmask_b32_e64 v4, 1.0, v2, s[8:9]
	s_brev_b32 s22, -2
	v_mov_b32_e32 v5, 0x7fc00000
	v_bfi_b32 v1, s22, v1, v4
	v_cndmask_b32_e32 v4, v5, v1, vcc
	v_cmp_gt_f32_e32 vcc, 0, v2
	v_cndmask_b32_e32 v1, v1, v4, vcc
	v_cmp_eq_f32_e32 vcc, s13, v20
	v_cmp_eq_f32_e64 s[12:13], 0, v2
	v_cmp_gt_f32_e64 s[14:15], 0, v19
	s_xor_b64 s[14:15], s[14:15], s[12:13]
	v_cndmask_b32_e64 v3, v3, 0, s[14:15]
	v_cndmask_b32_e64 v4, 0, v2, s[8:9]
	v_bfi_b32 v3, s22, v3, v4
	s_or_b64 vcc, vcc, s[12:13]
	v_cndmask_b32_e32 v1, v1, v3, vcc
	v_cmp_o_f32_e32 vcc, v2, v2
	v_cndmask_b32_e32 v41, v5, v1, vcc
.LBB42_4:
	s_load_dwordx4 s[12:15], s[6:7], 0x70
	s_ashr_i32 s35, s34, 31
	s_ashr_i32 s8, s51, 31
	s_lshl_b32 s22, s10, 5
	v_and_b32_e32 v34, 0x3ff, v0
	s_waitcnt lgkmcnt(0)
	s_mul_i32 s9, s33, s14
	s_ashr_i32 s14, s9, 31
	s_add_u32 s9, s16, s9
	s_mul_i32 s13, s34, s13
	s_addc_u32 s14, s17, s14
	s_ashr_i32 s15, s13, 31
	v_bfe_u32 v37, v0, 10, 10
	s_add_u32 s9, s9, s13
	s_addc_u32 s13, s14, s15
	v_lshlrev_b32_e32 v35, 2, v37
	v_lshlrev_b32_e32 v1, 4, v34
	v_mov_b32_e32 v2, s13
	v_add_co_u32_e32 v1, vcc, s9, v1
	v_add_u32_e32 v36, s22, v35
	v_addc_co_u32_e32 v28, vcc, 0, v2, vcc
	v_mul_hi_u32 v2, v36, s36
	v_add_u32_e32 v2, v36, v2
	v_lshrrev_b32_e32 v2, s37, v2
	v_mul_lo_u32 v2, v2, s38
	s_ashr_i32 s14, s12, 31
	v_sub_u32_e32 v50, v36, v2
	v_mov_b32_e32 v2, s12
	v_alignbit_b32 v38, s14, v2, 2
	v_mad_u64_u32 v[2:3], s[12:13], v38, v50, 0
	v_mov_b32_e32 v4, v3
	s_lshr_b32 s9, s14, 2
	v_mad_u64_u32 v[4:5], s[12:13], s9, v50, v[4:5]
	v_mov_b32_e32 v3, v4
	v_lshlrev_b64 v[2:3], 2, v[2:3]
	v_add_co_u32_e32 v10, vcc, v1, v2
	v_or_b32_e32 v32, 1, v35
	v_addc_co_u32_e32 v11, vcc, v28, v3, vcc
	v_add_u32_e32 v33, s22, v32
	global_load_dwordx4 v[2:5], v[10:11], off
	global_load_dwordx4 v[6:9], v[10:11], off offset:512
	v_mul_hi_u32 v10, v33, s36
	v_add_u32_e32 v10, v33, v10
	v_lshrrev_b32_e32 v10, s37, v10
	v_mul_lo_u32 v10, v10, s38
	v_sub_u32_e32 v13, v33, v10
	v_mad_u64_u32 v[10:11], s[12:13], v38, v13, 0
	v_mov_b32_e32 v12, v11
	v_mad_u64_u32 v[12:13], s[12:13], s9, v13, v[12:13]
	v_mov_b32_e32 v11, v12
	v_lshlrev_b64 v[10:11], 2, v[10:11]
	v_add_co_u32_e32 v18, vcc, v1, v10
	v_or_b32_e32 v30, 2, v35
	v_addc_co_u32_e32 v19, vcc, v28, v11, vcc
	v_add_u32_e32 v31, s22, v30
	global_load_dwordx4 v[10:13], v[18:19], off
	global_load_dwordx4 v[14:17], v[18:19], off offset:512
	v_mul_hi_u32 v18, v31, s36
	v_add_u32_e32 v18, v31, v18
	v_lshrrev_b32_e32 v18, s37, v18
	v_mul_lo_u32 v18, v18, s38
	v_sub_u32_e32 v21, v31, v18
	v_mad_u64_u32 v[18:19], s[12:13], v38, v21, 0
	v_mov_b32_e32 v20, v19
	v_mad_u64_u32 v[20:21], s[12:13], s9, v21, v[20:21]
	v_mov_b32_e32 v19, v20
	v_lshlrev_b64 v[18:19], 2, v[18:19]
	v_add_co_u32_e32 v26, vcc, v1, v18
	v_addc_co_u32_e32 v27, vcc, v28, v19, vcc
	global_load_dwordx4 v[18:21], v[26:27], off
	global_load_dwordx4 v[22:25], v[26:27], off offset:512
	v_or_b32_e32 v27, 3, v35
	v_add_u32_e32 v29, s22, v27
	v_mul_hi_u32 v26, v29, s36
	v_add_u32_e32 v26, v29, v26
	v_lshrrev_b32_e32 v26, s37, v26
	v_mul_lo_u32 v26, v26, s38
	v_sub_u32_e32 v40, v29, v26
	v_mad_u64_u32 v[38:39], s[12:13], v38, v40, 0
	v_mov_b32_e32 v26, v39
	v_mad_u64_u32 v[42:43], s[12:13], s9, v40, v[26:27]
	v_mov_b32_e32 v39, v42
	v_lshlrev_b64 v[38:39], 2, v[38:39]
	v_add_co_u32_e32 v38, vcc, v1, v38
	v_addc_co_u32_e32 v39, vcc, v28, v39, vcc
	global_load_dwordx4 v[42:45], v[38:39], off
	global_load_dwordx4 v[46:49], v[38:39], off offset:512
	v_lshlrev_b32_e32 v39, 3, v34
	v_lshl_or_b32 v52, v37, 11, v39
	v_lshlrev_b32_e32 v1, 1, v34
	v_lshlrev_b32_e32 v28, 2, v34
	s_cmp_eq_u64 s[26:27], 0
	s_waitcnt vmcnt(7)
	v_pk_mul_f32 v[2:3], v[2:3], s[40:41] op_sel_hi:[1,0]
	v_cvt_f16_f32_e32 v26, v3
	v_cvt_f16_f32_e32 v38, v2
	v_pk_mul_f32 v[2:3], v[4:5], s[40:41] op_sel_hi:[1,0]
	v_cvt_f16_f32_e32 v40, v3
	v_cvt_f16_f32_e32 v51, v2
	s_waitcnt vmcnt(6)
	v_pk_mul_f32 v[2:3], v[6:7], s[40:41] op_sel_hi:[1,0]
	v_pk_mul_f32 v[4:5], v[8:9], s[40:41] op_sel_hi:[1,0]
	v_cvt_f16_f32_e32 v6, v3
	v_cvt_f16_f32_e32 v5, v5
	;; [unrolled: 1-line block ×4, first 2 shown]
	v_pack_b32_f16 v3, v51, v40
	v_pack_b32_f16 v2, v38, v26
	;; [unrolled: 1-line block ×4, first 2 shown]
	ds_write2_b64 v52, v[2:3], v[4:5] offset1:32
	v_lshlrev_b32_e32 v4, 7, v32
	s_waitcnt vmcnt(5)
	v_pk_mul_f32 v[2:3], v[10:11], s[40:41] op_sel_hi:[1,0]
	v_cvt_f16_f32_e32 v6, v3
	v_cvt_f16_f32_e32 v7, v2
	v_pk_mul_f32 v[2:3], v[12:13], s[40:41] op_sel_hi:[1,0]
	v_cvt_f16_f32_e32 v8, v3
	v_cvt_f16_f32_e32 v9, v2
	v_add_lshl_u32 v10, v4, v1, 2
	s_waitcnt vmcnt(4)
	v_pk_mul_f32 v[2:3], v[14:15], s[40:41] op_sel_hi:[1,0]
	v_pk_mul_f32 v[4:5], v[16:17], s[40:41] op_sel_hi:[1,0]
	v_cvt_f16_f32_e32 v11, v3
	v_cvt_f16_f32_e32 v5, v5
	;; [unrolled: 1-line block ×4, first 2 shown]
	v_pack_b32_f16 v3, v9, v8
	v_pack_b32_f16 v2, v7, v6
	;; [unrolled: 1-line block ×4, first 2 shown]
	ds_write2_b64 v10, v[2:3], v[4:5] offset1:32
	s_waitcnt vmcnt(3)
	v_pk_mul_f32 v[2:3], v[18:19], s[40:41] op_sel_hi:[1,0]
	v_lshlrev_b32_e32 v4, 7, v30
	v_cvt_f16_f32_e32 v6, v3
	v_cvt_f16_f32_e32 v7, v2
	v_pk_mul_f32 v[2:3], v[20:21], s[40:41] op_sel_hi:[1,0]
	v_cvt_f16_f32_e32 v8, v3
	v_cvt_f16_f32_e32 v9, v2
	v_add_lshl_u32 v10, v4, v1, 2
	s_waitcnt vmcnt(2)
	v_pk_mul_f32 v[2:3], v[22:23], s[40:41] op_sel_hi:[1,0]
	v_pk_mul_f32 v[4:5], v[24:25], s[40:41] op_sel_hi:[1,0]
	v_cvt_f16_f32_e32 v11, v3
	v_cvt_f16_f32_e32 v5, v5
	;; [unrolled: 1-line block ×4, first 2 shown]
	v_pack_b32_f16 v3, v9, v8
	v_pack_b32_f16 v2, v7, v6
	v_pack_b32_f16 v5, v4, v5
	v_pack_b32_f16 v4, v12, v11
	ds_write2_b64 v10, v[2:3], v[4:5] offset1:32
	s_waitcnt vmcnt(1)
	v_pk_mul_f32 v[2:3], v[42:43], s[40:41] op_sel_hi:[1,0]
	v_lshlrev_b32_e32 v4, 7, v27
	v_cvt_f16_f32_e32 v6, v3
	v_cvt_f16_f32_e32 v7, v2
	v_pk_mul_f32 v[2:3], v[44:45], s[40:41] op_sel_hi:[1,0]
	v_cvt_f16_f32_e32 v8, v3
	v_cvt_f16_f32_e32 v9, v2
	v_add_lshl_u32 v1, v4, v1, 2
	s_waitcnt vmcnt(0)
	v_pk_mul_f32 v[2:3], v[46:47], s[40:41] op_sel_hi:[1,0]
	v_pk_mul_f32 v[4:5], v[48:49], s[40:41] op_sel_hi:[1,0]
	v_cvt_f16_f32_e32 v10, v3
	v_cvt_f16_f32_e32 v5, v5
	v_cvt_f16_f32_e32 v4, v4
	v_cvt_f16_f32_e32 v11, v2
	v_pack_b32_f16 v3, v9, v8
	v_pack_b32_f16 v2, v7, v6
	;; [unrolled: 1-line block ×4, first 2 shown]
	ds_write2_b64 v1, v[2:3], v[4:5] offset1:32
	s_waitcnt lgkmcnt(0)
	s_barrier
	s_cbranch_scc1 .LBB42_6
; %bb.5:
	s_load_dword s9, s[6:7], 0xd0
	s_mov_b32 s13, 0
	s_waitcnt lgkmcnt(0)
	s_mul_i32 s9, s9, s33
	s_add_i32 s12, s9, s10
	s_lshl_b64 s[12:13], s[12:13], 2
	s_add_u32 s12, s26, s12
	s_addc_u32 s13, s27, s13
	s_load_dword s46, s[12:13], 0x0
.LBB42_6:
	s_nop 0
	s_load_dwordx2 s[12:13], s[6:7], 0x8c
	s_load_dwordx4 s[40:43], s[6:7], 0x98
	s_load_dwordx2 s[16:17], s[6:7], 0xa8
	s_ashr_i32 s9, s33, 31
	s_ashr_i32 s23, s49, 1
	s_waitcnt lgkmcnt(0)
	s_ashr_i32 s14, s12, 2
	s_mul_i32 s12, s33, s41
	s_mul_hi_u32 s15, s33, s40
	s_add_i32 s12, s15, s12
	s_mul_i32 s15, s9, s40
	s_ashr_i32 s10, s42, 2
	s_add_i32 s12, s12, s15
	s_mul_i32 s15, s33, s40
	s_add_u32 s15, s18, s15
	s_mul_i32 s18, s48, s47
	s_addc_u32 s12, s19, s12
	s_sub_i32 s18, s50, s18
	s_xor_b32 s8, s35, s8
	s_add_i32 s19, s48, 1
	s_sub_i32 s26, s18, s47
	s_cmp_ge_u32 s18, s47
	s_cselect_b32 s19, s19, s48
	s_cselect_b32 s18, s26, s18
	s_add_i32 s26, s19, 1
	s_cmp_ge_u32 s18, s47
	s_cselect_b32 s18, s26, s19
	s_xor_b32 s18, s18, s8
	s_sub_i32 s8, s18, s8
	s_mul_i32 s13, s8, s13
	s_ashr_i32 s18, s13, 31
	s_add_u32 s15, s15, s13
	s_addc_u32 s19, s12, s18
	s_mul_i32 s12, s33, s17
	s_mul_hi_u32 s13, s33, s16
	s_add_i32 s12, s13, s12
	s_mul_i32 s9, s9, s16
	s_add_i32 s12, s12, s9
	s_mul_i32 s9, s33, s16
	s_add_u32 s9, s20, s9
	s_mul_i32 s8, s8, s43
	s_addc_u32 s12, s21, s12
	s_ashr_i32 s13, s8, 31
	s_add_u32 s16, s9, s8
	s_addc_u32 s17, s12, s13
	s_lshl_b32 s18, s11, 5
	s_sub_i32 s20, s46, 32
	v_mul_lo_u32 v24, s10, v37
	s_mov_b32 s40, 0xfeffffff
	s_cmp_ge_i32 s18, s20
	v_mov_b32_e32 v5, 0
	v_mov_b32_e32 v54, 0
	v_lshrrev_b32_e32 v1, 4, v34
	v_and_b32_e32 v10, 60, v28
	v_lshlrev_b32_e32 v59, 11, v37
	v_lshlrev_b32_e32 v38, 2, v28
	v_ashrrev_i32_e32 v25, 31, v24
	v_lshl_add_u32 v22, s10, 3, v24
	v_mbcnt_lo_u32_b32 v58, -1, 0
	s_cbranch_scc1 .LBB42_19
; %bb.7:
	s_movk_i32 s8, 0x110
	v_mov_b32_e32 v6, 0x4000
	v_mad_u32_u24 v21, v34, s8, v6
	v_or_b32_e32 v6, 1, v36
	v_mul_hi_u32 v7, s36, v6
	v_add_u32_e32 v7, v6, v7
	v_lshrrev_b32_e32 v7, s37, v7
	v_mul_lo_u32 v7, v7, s38
	v_sub_u32_e32 v6, v6, v7
	v_mul_lo_u32 v60, v6, s23
	v_or_b32_e32 v6, 2, v36
	v_mul_hi_u32 v7, s36, v6
	v_add_u32_e32 v7, v6, v7
	v_lshrrev_b32_e32 v7, s37, v7
	v_mul_lo_u32 v7, v7, s38
	v_sub_u32_e32 v6, v6, v7
	v_mul_lo_u32 v61, v6, s23
	v_or_b32_e32 v6, 3, v36
	v_mul_hi_u32 v7, s36, v6
	v_add_u32_e32 v7, v6, v7
	v_lshrrev_b32_e32 v7, s37, v7
	v_lshl_add_u32 v2, v37, 1, v1
	v_lshlrev_b32_e32 v3, 2, v10
	v_mul_lo_u32 v7, v7, s38
	v_mad_u32_u24 v4, v2, s8, v3
	v_mul_lo_u32 v2, s14, v2
	s_cmp_lg_u64 s[44:45], 0
	v_sub_u32_e32 v6, v6, v7
	v_add_u32_e32 v11, 0x4000, v4
	v_ashrrev_i32_e32 v3, 31, v2
	v_add_u32_e32 v20, 0x5100, v4
	v_lshl_add_u32 v4, s14, 4, v2
	v_mul_lo_u32 v62, v6, s23
	v_mov_b32_e32 v6, 0x6200
	s_cselect_b64 s[8:9], -1, 0
	v_mov_b32_e32 v40, 0
	v_ashrrev_i32_e32 v5, 31, v4
	v_lshl_add_u32 v63, v37, 8, v6
	v_lshl_add_u32 v6, v37, 9, v38
	v_ashrrev_i32_e32 v23, 31, v22
	s_add_u32 s12, s6, 0xd0
	v_lshlrev_b64 v[12:13], 2, v[2:3]
	v_cndmask_b32_e64 v2, 0, 1, s[8:9]
	v_mul_lo_u32 v26, v50, s23
	v_add_u32_e32 v64, 0x4000, v6
	v_add_u32_e32 v65, 0x5000, v6
	s_addc_u32 s13, s7, 0
	v_mov_b32_e32 v68, 0xfeffffff
	v_lshlrev_b32_e32 v66, 2, v10
	v_lshlrev_b64 v[14:15], 2, v[4:5]
	v_mbcnt_hi_u32_b32 v67, -1, v58
	s_mov_b32 s21, 0x3fb8aa3b
	s_mov_b32 s26, 0xc2ce8ed0
	;; [unrolled: 1-line block ×3, first 2 shown]
	v_lshlrev_b64 v[16:17], 2, v[24:25]
	v_lshlrev_b64 v[18:19], 2, v[22:23]
	v_cmp_ne_u32_e64 s[8:9], 1, v2
	v_mov_b32_e32 v23, 0x7f800000
	v_mov_b32_e32 v42, 0
	;; [unrolled: 1-line block ×23, first 2 shown]
.LBB42_8:                               ; =>This Inner Loop Header: Depth=1
	s_mul_hi_i32 s41, s18, s14
	s_mul_i32 s40, s18, s14
	s_lshl_b64 s[40:41], s[40:41], 2
	s_add_u32 s40, s15, s40
	s_addc_u32 s41, s19, s41
	v_mov_b32_e32 v6, s41
	v_add_co_u32_e32 v7, vcc, s40, v12
	v_addc_co_u32_e32 v8, vcc, v6, v13, vcc
	v_add_co_u32_e32 v6, vcc, v7, v66
	v_addc_co_u32_e32 v7, vcc, 0, v8, vcc
	v_mov_b32_e32 v8, s41
	v_add_co_u32_e32 v9, vcc, s40, v14
	v_addc_co_u32_e32 v72, vcc, v8, v15, vcc
	v_add_co_u32_e32 v8, vcc, v9, v66
	v_addc_co_u32_e32 v9, vcc, 0, v72, vcc
	global_load_dwordx4 v[76:79], v[6:7], off
	global_load_dwordx4 v[80:83], v[8:9], off
	v_mov_b32_e32 v75, 0
	v_mov_b32_e32 v74, 0
	;; [unrolled: 1-line block ×4, first 2 shown]
	s_and_b64 vcc, exec, s[8:9]
	s_waitcnt vmcnt(1)
	ds_write_b128 v11, v[76:79]
	s_waitcnt vmcnt(0)
	ds_write_b128 v20, v[80:83]
	s_waitcnt lgkmcnt(0)
	s_barrier
	ds_read_b128 v[76:79], v21
	ds_read_b128 v[80:83], v59
	ds_read_b128 v[84:87], v59 offset:512
	ds_read_b128 v[88:91], v59 offset:1024
	ds_read_b128 v[92:95], v59 offset:1536
	s_waitcnt lgkmcnt(3)
	;;#ASMSTART
	v_dot2_f32_f16 v75, v76, v80, v75
	;;#ASMEND
	;;#ASMSTART
	v_dot2_f32_f16 v75, v77, v81, v75
	;;#ASMEND
	;;#ASMSTART
	v_dot2_f32_f16 v75, v78, v82, v75
	;;#ASMEND
	;;#ASMSTART
	v_dot2_f32_f16 v75, v79, v83, v75
	;;#ASMEND
	s_waitcnt lgkmcnt(2)
	;;#ASMSTART
	v_dot2_f32_f16 v74, v76, v84, v74
	;;#ASMEND
	;;#ASMSTART
	v_dot2_f32_f16 v74, v77, v85, v74
	;;#ASMEND
	;;#ASMSTART
	v_dot2_f32_f16 v74, v78, v86, v74
	;;#ASMEND
	;;#ASMSTART
	v_dot2_f32_f16 v74, v79, v87, v74
	;;#ASMEND
	s_waitcnt lgkmcnt(1)
	;;#ASMSTART
	v_dot2_f32_f16 v73, v76, v88, v73
	;;#ASMEND
	;;#ASMSTART
	v_dot2_f32_f16 v73, v77, v89, v73
	;;#ASMEND
	;;#ASMSTART
	v_dot2_f32_f16 v73, v78, v90, v73
	;;#ASMEND
	;;#ASMSTART
	v_dot2_f32_f16 v73, v79, v91, v73
	;;#ASMEND
	s_waitcnt lgkmcnt(0)
	;;#ASMSTART
	v_dot2_f32_f16 v72, v76, v92, v72
	;;#ASMEND
	;;#ASMSTART
	v_dot2_f32_f16 v72, v77, v93, v72
	;;#ASMEND
	;;#ASMSTART
	v_dot2_f32_f16 v72, v78, v94, v72
	;;#ASMEND
	;;#ASMSTART
	v_dot2_f32_f16 v72, v79, v95, v72
	;;#ASMEND
	ds_read_b128 v[76:79], v21 offset:16
	ds_read_b128 v[80:83], v59 offset:16
	ds_read_b128 v[84:87], v59 offset:528
	ds_read_b128 v[88:91], v59 offset:1040
	ds_read_b128 v[92:95], v59 offset:1552
	s_waitcnt lgkmcnt(3)
	;;#ASMSTART
	v_dot2_f32_f16 v75, v76, v80, v75
	;;#ASMEND
	;;#ASMSTART
	v_dot2_f32_f16 v75, v77, v81, v75
	;;#ASMEND
	;;#ASMSTART
	v_dot2_f32_f16 v75, v78, v82, v75
	;;#ASMEND
	;;#ASMSTART
	v_dot2_f32_f16 v75, v79, v83, v75
	;;#ASMEND
	s_waitcnt lgkmcnt(2)
	;;#ASMSTART
	v_dot2_f32_f16 v74, v76, v84, v74
	;;#ASMEND
	;;#ASMSTART
	v_dot2_f32_f16 v74, v77, v85, v74
	;;#ASMEND
	;;#ASMSTART
	v_dot2_f32_f16 v74, v78, v86, v74
	;;#ASMEND
	;;#ASMSTART
	v_dot2_f32_f16 v74, v79, v87, v74
	;;#ASMEND
	s_waitcnt lgkmcnt(1)
	;;#ASMSTART
	v_dot2_f32_f16 v73, v76, v88, v73
	;;#ASMEND
	;;#ASMSTART
	v_dot2_f32_f16 v73, v77, v89, v73
	;;#ASMEND
	;;#ASMSTART
	v_dot2_f32_f16 v73, v78, v90, v73
	;;#ASMEND
	;;#ASMSTART
	v_dot2_f32_f16 v73, v79, v91, v73
	;;#ASMEND
	s_waitcnt lgkmcnt(0)
	;;#ASMSTART
	v_dot2_f32_f16 v72, v76, v92, v72
	;;#ASMEND
	;;#ASMSTART
	v_dot2_f32_f16 v72, v77, v93, v72
	;;#ASMEND
	;;#ASMSTART
	v_dot2_f32_f16 v72, v78, v94, v72
	;;#ASMEND
	;;#ASMSTART
	v_dot2_f32_f16 v72, v79, v95, v72
	;;#ASMEND
	ds_read_b128 v[76:79], v21 offset:32
	ds_read_b128 v[80:83], v59 offset:32
	;; [unrolled: 57-line block ×15, first 2 shown]
	ds_read_b128 v[84:87], v59 offset:752
	ds_read_b128 v[88:91], v59 offset:1264
	ds_read_b128 v[92:95], v59 offset:1776
	s_waitcnt lgkmcnt(3)
	;;#ASMSTART
	v_dot2_f32_f16 v75, v76, v80, v75
	;;#ASMEND
	;;#ASMSTART
	v_dot2_f32_f16 v75, v77, v81, v75
	;;#ASMEND
	;;#ASMSTART
	v_dot2_f32_f16 v75, v78, v82, v75
	;;#ASMEND
	;;#ASMSTART
	v_dot2_f32_f16 v75, v79, v83, v75
	;;#ASMEND
	s_waitcnt lgkmcnt(2)
	;;#ASMSTART
	v_dot2_f32_f16 v74, v76, v84, v74
	;;#ASMEND
	;;#ASMSTART
	v_dot2_f32_f16 v74, v77, v85, v74
	;;#ASMEND
	;;#ASMSTART
	v_dot2_f32_f16 v74, v78, v86, v74
	;;#ASMEND
	;;#ASMSTART
	v_dot2_f32_f16 v74, v79, v87, v74
	;;#ASMEND
	;; [unrolled: 13-line block ×4, first 2 shown]
	s_barrier
	global_load_dwordx4 v[76:79], v[6:7], off offset:256
	global_load_dwordx4 v[80:83], v[8:9], off offset:256
	s_waitcnt vmcnt(1)
	ds_write_b128 v11, v[76:79]
	s_waitcnt vmcnt(0)
	ds_write_b128 v20, v[80:83]
	s_waitcnt lgkmcnt(0)
	s_barrier
	ds_read_b128 v[6:9], v21
	ds_read_b128 v[76:79], v59 offset:256
	ds_read_b128 v[80:83], v59 offset:768
	ds_read_b128 v[84:87], v59 offset:1280
	ds_read_b128 v[88:91], v59 offset:1792
	s_waitcnt lgkmcnt(3)
	;;#ASMSTART
	v_dot2_f32_f16 v75, v6, v76, v75
	;;#ASMEND
	;;#ASMSTART
	v_dot2_f32_f16 v75, v7, v77, v75
	;;#ASMEND
	;;#ASMSTART
	v_dot2_f32_f16 v75, v8, v78, v75
	;;#ASMEND
	;;#ASMSTART
	v_dot2_f32_f16 v75, v9, v79, v75
	;;#ASMEND
	s_waitcnt lgkmcnt(2)
	;;#ASMSTART
	v_dot2_f32_f16 v74, v6, v80, v74
	;;#ASMEND
	;;#ASMSTART
	v_dot2_f32_f16 v74, v7, v81, v74
	;;#ASMEND
	;;#ASMSTART
	v_dot2_f32_f16 v74, v8, v82, v74
	;;#ASMEND
	;;#ASMSTART
	v_dot2_f32_f16 v74, v9, v83, v74
	;;#ASMEND
	s_waitcnt lgkmcnt(1)
	;;#ASMSTART
	v_dot2_f32_f16 v73, v6, v84, v73
	;;#ASMEND
	;;#ASMSTART
	v_dot2_f32_f16 v73, v7, v85, v73
	;;#ASMEND
	;;#ASMSTART
	v_dot2_f32_f16 v73, v8, v86, v73
	;;#ASMEND
	;;#ASMSTART
	v_dot2_f32_f16 v73, v9, v87, v73
	;;#ASMEND
	s_waitcnt lgkmcnt(0)
	;;#ASMSTART
	v_dot2_f32_f16 v72, v6, v88, v72
	;;#ASMEND
	;;#ASMSTART
	v_dot2_f32_f16 v72, v7, v89, v72
	;;#ASMEND
	;;#ASMSTART
	v_dot2_f32_f16 v72, v8, v90, v72
	;;#ASMEND
	;;#ASMSTART
	v_dot2_f32_f16 v72, v9, v91, v72
	;;#ASMEND
	ds_read_b128 v[6:9], v21 offset:16
	ds_read_b128 v[76:79], v59 offset:272
	ds_read_b128 v[80:83], v59 offset:784
	ds_read_b128 v[84:87], v59 offset:1296
	ds_read_b128 v[88:91], v59 offset:1808
	s_waitcnt lgkmcnt(3)
	;;#ASMSTART
	v_dot2_f32_f16 v75, v6, v76, v75
	;;#ASMEND
	;;#ASMSTART
	v_dot2_f32_f16 v75, v7, v77, v75
	;;#ASMEND
	;;#ASMSTART
	v_dot2_f32_f16 v75, v8, v78, v75
	;;#ASMEND
	;;#ASMSTART
	v_dot2_f32_f16 v75, v9, v79, v75
	;;#ASMEND
	s_waitcnt lgkmcnt(2)
	;;#ASMSTART
	v_dot2_f32_f16 v74, v6, v80, v74
	;;#ASMEND
	;;#ASMSTART
	v_dot2_f32_f16 v74, v7, v81, v74
	;;#ASMEND
	;;#ASMSTART
	v_dot2_f32_f16 v74, v8, v82, v74
	;;#ASMEND
	;;#ASMSTART
	v_dot2_f32_f16 v74, v9, v83, v74
	;;#ASMEND
	s_waitcnt lgkmcnt(1)
	;;#ASMSTART
	v_dot2_f32_f16 v73, v6, v84, v73
	;;#ASMEND
	;;#ASMSTART
	v_dot2_f32_f16 v73, v7, v85, v73
	;;#ASMEND
	;;#ASMSTART
	v_dot2_f32_f16 v73, v8, v86, v73
	;;#ASMEND
	;;#ASMSTART
	v_dot2_f32_f16 v73, v9, v87, v73
	;;#ASMEND
	s_waitcnt lgkmcnt(0)
	;;#ASMSTART
	v_dot2_f32_f16 v72, v6, v88, v72
	;;#ASMEND
	;;#ASMSTART
	v_dot2_f32_f16 v72, v7, v89, v72
	;;#ASMEND
	;;#ASMSTART
	v_dot2_f32_f16 v72, v8, v90, v72
	;;#ASMEND
	;;#ASMSTART
	v_dot2_f32_f16 v72, v9, v91, v72
	;;#ASMEND
	ds_read_b128 v[6:9], v21 offset:32
	;; [unrolled: 57-line block ×15, first 2 shown]
	ds_read_b128 v[76:79], v59 offset:496
	ds_read_b128 v[80:83], v59 offset:1008
	;; [unrolled: 1-line block ×4, first 2 shown]
	s_waitcnt lgkmcnt(3)
	;;#ASMSTART
	v_dot2_f32_f16 v75, v6, v76, v75
	;;#ASMEND
	;;#ASMSTART
	v_dot2_f32_f16 v75, v7, v77, v75
	;;#ASMEND
	;;#ASMSTART
	v_dot2_f32_f16 v75, v8, v78, v75
	;;#ASMEND
	;;#ASMSTART
	v_dot2_f32_f16 v75, v9, v79, v75
	;;#ASMEND
	s_waitcnt lgkmcnt(2)
	;;#ASMSTART
	v_dot2_f32_f16 v74, v6, v80, v74
	;;#ASMEND
	;;#ASMSTART
	v_dot2_f32_f16 v74, v7, v81, v74
	;;#ASMEND
	;;#ASMSTART
	v_dot2_f32_f16 v74, v8, v82, v74
	;;#ASMEND
	;;#ASMSTART
	v_dot2_f32_f16 v74, v9, v83, v74
	;;#ASMEND
	;; [unrolled: 13-line block ×3, first 2 shown]
	s_waitcnt lgkmcnt(0)
	;;#ASMSTART
	v_dot2_f32_f16 v72, v6, v88, v72
	;;#ASMEND
	;;#ASMSTART
	v_dot2_f32_f16 v72, v7, v89, v72
	;;#ASMEND
	;; [unrolled: 3-line block ×3, first 2 shown]
	v_add_u32_e32 v6, s18, v34
	v_mov_b32_e32 v8, 0
	;;#ASMSTART
	v_dot2_f32_f16 v72, v9, v91, v72
	;;#ASMEND
	s_cbranch_vccnz .LBB42_10
; %bb.9:                                ;   in Loop: Header=BB42_8 Depth=1
	v_add_u32_e32 v8, v6, v26
	v_ashrrev_i32_e32 v9, 31, v8
	v_lshlrev_b64 v[8:9], 1, v[8:9]
	v_mov_b32_e32 v7, s45
	v_add_co_u32_e32 v8, vcc, s44, v8
	v_addc_co_u32_e32 v9, vcc, v7, v9, vcc
	flat_load_ushort v7, v[8:9]
	s_waitcnt vmcnt(0) lgkmcnt(0)
	v_cvt_f32_f16_e32 v7, v7
	v_mul_f32_e32 v8, v41, v7
.LBB42_10:                              ;   in Loop: Header=BB42_8 Depth=1
	v_and_b32_e32 v7, 0x60, v67
	v_add_u32_e32 v77, 32, v7
	v_xor_b32_e32 v7, 16, v67
	v_cmp_lt_i32_e32 vcc, v7, v77
	v_add_f32_e32 v9, v75, v8
	v_cndmask_b32_e32 v7, v67, v7, vcc
	v_add_f32_e32 v8, 0x40051340, v9
	v_max_f32_e32 v75, v68, v68
	v_lshlrev_b32_e32 v7, 2, v7
	v_max_f32_e32 v8, v75, v8
	ds_bpermute_b32 v75, v7, v8
	v_xor_b32_e32 v76, 8, v67
	v_cmp_lt_i32_e32 vcc, v76, v77
	v_cndmask_b32_e32 v76, v67, v76, vcc
	v_lshlrev_b32_e32 v78, 2, v76
	s_waitcnt lgkmcnt(0)
	v_max_f32_e32 v75, v75, v75
	v_max_f32_e32 v8, v8, v75
	ds_bpermute_b32 v75, v78, v8
	v_xor_b32_e32 v76, 4, v67
	v_cmp_lt_i32_e32 vcc, v76, v77
	v_cndmask_b32_e32 v76, v67, v76, vcc
	v_lshlrev_b32_e32 v76, 2, v76
	s_waitcnt lgkmcnt(0)
	v_max_f32_e32 v75, v75, v75
	;; [unrolled: 8-line block ×4, first 2 shown]
	v_max_f32_e32 v77, v79, v77
	ds_bpermute_b32 v79, v75, v77
	s_and_b64 vcc, exec, s[8:9]
	v_mov_b32_e32 v82, 0
	v_mov_b32_e32 v80, 0
	s_cbranch_vccnz .LBB42_12
; %bb.11:                               ;   in Loop: Header=BB42_8 Depth=1
	v_add_u32_e32 v80, v6, v60
	v_ashrrev_i32_e32 v81, 31, v80
	v_lshlrev_b64 v[80:81], 1, v[80:81]
	v_mov_b32_e32 v83, s45
	v_add_co_u32_e32 v80, vcc, s44, v80
	v_addc_co_u32_e32 v81, vcc, v83, v81, vcc
	flat_load_ushort v80, v[80:81]
	s_waitcnt vmcnt(0) lgkmcnt(0)
	v_cvt_f32_f16_e32 v80, v80
	v_mul_f32_e32 v80, v41, v80
.LBB42_12:                              ;   in Loop: Header=BB42_8 Depth=1
	v_add_f32_e32 v74, v74, v80
	v_add_f32_e32 v80, 0x40051340, v74
	v_max_f32_e32 v81, v69, v69
	v_max_f32_e32 v80, v81, v80
	ds_bpermute_b32 v81, v7, v80
	s_and_b64 vcc, exec, s[8:9]
	s_waitcnt lgkmcnt(0)
	v_max_f32_e32 v81, v81, v81
	v_max_f32_e32 v80, v80, v81
	ds_bpermute_b32 v81, v78, v80
	s_waitcnt lgkmcnt(0)
	v_max_f32_e32 v81, v81, v81
	v_max_f32_e32 v80, v80, v81
	ds_bpermute_b32 v81, v76, v80
	;; [unrolled: 4-line block ×4, first 2 shown]
	s_cbranch_vccnz .LBB42_14
; %bb.13:                               ;   in Loop: Header=BB42_8 Depth=1
	v_add_u32_e32 v82, v6, v61
	v_ashrrev_i32_e32 v83, 31, v82
	v_lshlrev_b64 v[82:83], 1, v[82:83]
	v_mov_b32_e32 v84, s45
	v_add_co_u32_e32 v82, vcc, s44, v82
	v_addc_co_u32_e32 v83, vcc, v84, v83, vcc
	flat_load_ushort v82, v[82:83]
	s_waitcnt vmcnt(0) lgkmcnt(0)
	v_cvt_f32_f16_e32 v82, v82
	v_mul_f32_e32 v82, v41, v82
.LBB42_14:                              ;   in Loop: Header=BB42_8 Depth=1
	v_add_f32_e32 v73, v73, v82
	v_add_f32_e32 v82, 0x40051340, v73
	v_max_f32_e32 v83, v70, v70
	v_max_f32_e32 v82, v83, v82
	ds_bpermute_b32 v83, v7, v82
	s_and_b64 vcc, exec, s[8:9]
	s_waitcnt lgkmcnt(0)
	v_max_f32_e32 v83, v83, v83
	v_max_f32_e32 v82, v82, v83
	ds_bpermute_b32 v83, v78, v82
	s_waitcnt lgkmcnt(0)
	v_max_f32_e32 v83, v83, v83
	v_max_f32_e32 v82, v82, v83
	ds_bpermute_b32 v83, v76, v82
	s_waitcnt lgkmcnt(0)
	v_max_f32_e32 v83, v83, v83
	v_max_f32_e32 v82, v82, v83
	ds_bpermute_b32 v83, v8, v82
	s_waitcnt lgkmcnt(0)
	v_max_f32_e32 v83, v83, v83
	v_max_f32_e32 v82, v82, v83
	ds_bpermute_b32 v83, v75, v82
	s_cbranch_vccnz .LBB42_16
; %bb.15:                               ;   in Loop: Header=BB42_8 Depth=1
	v_add_u32_e32 v84, v6, v62
	v_ashrrev_i32_e32 v85, 31, v84
	v_lshlrev_b64 v[84:85], 1, v[84:85]
	v_mov_b32_e32 v6, s45
	v_add_co_u32_e32 v84, vcc, s44, v84
	v_addc_co_u32_e32 v85, vcc, v6, v85, vcc
	flat_load_ushort v6, v[84:85]
	s_waitcnt vmcnt(0) lgkmcnt(0)
	v_cvt_f32_f16_e32 v6, v6
	v_mul_f32_e32 v6, v41, v6
	s_branch .LBB42_17
.LBB42_16:                              ;   in Loop: Header=BB42_8 Depth=1
	v_mov_b32_e32 v6, 0
.LBB42_17:                              ;   in Loop: Header=BB42_8 Depth=1
	v_add_f32_e32 v72, v72, v6
	v_add_f32_e32 v6, 0x40051340, v72
	v_max_f32_e32 v84, v71, v71
	v_max_f32_e32 v6, v84, v6
	ds_bpermute_b32 v7, v7, v6
	v_max_f32_e32 v79, v79, v79
	v_max_f32_e32 v81, v81, v81
	;; [unrolled: 1-line block ×3, first 2 shown]
	s_mul_hi_i32 s41, s18, s10
	s_waitcnt lgkmcnt(0)
	v_max_f32_e32 v7, v7, v7
	v_max_f32_e32 v6, v6, v7
	ds_bpermute_b32 v7, v78, v6
	v_max_f32_e32 v78, v83, v83
	s_mul_i32 s40, s18, s10
	s_lshl_b64 s[40:41], s[40:41], 2
	s_add_u32 s40, s16, s40
	s_waitcnt lgkmcnt(0)
	v_max_f32_e32 v7, v7, v7
	v_max_f32_e32 v6, v6, v7
	ds_bpermute_b32 v7, v76, v6
	v_max_f32_e32 v76, v82, v82
	s_addc_u32 s41, s17, s41
	s_waitcnt lgkmcnt(0)
	s_barrier
	v_max_f32_e32 v7, v7, v7
	v_max_f32_e32 v82, v6, v7
	ds_bpermute_b32 v83, v8, v82
	v_max_f32_e32 v8, v76, v78
	v_max_f32_e32 v6, v77, v77
	;; [unrolled: 1-line block ×3, first 2 shown]
	v_sub_f32_e32 v78, v9, v6
	s_waitcnt lgkmcnt(0)
	v_max_f32_e32 v76, v83, v83
	v_max_f32_e32 v76, v82, v76
	ds_bpermute_b32 v75, v75, v76
	v_mul_f32_e32 v77, 0x3fb8aa3b, v78
	v_max_f32_e32 v7, v80, v81
	v_rndne_f32_e32 v80, v77
	v_sub_f32_e32 v74, v74, v7
	s_waitcnt lgkmcnt(0)
	v_max_f32_e32 v9, v75, v75
	v_max_f32_e32 v9, v76, v9
	v_sub_f32_e32 v72, v72, v9
	v_mul_f32_e32 v75, 0x3fb8aa3b, v72
	v_fma_f32 v76, v72, s21, -v75
	v_rndne_f32_e32 v79, v75
	v_fmac_f32_e32 v76, 0x32a5705f, v72
	v_sub_f32_e32 v75, v75, v79
	v_add_f32_e32 v75, v75, v76
	v_cvt_i32_f32_e32 v79, v79
	v_exp_f32_e32 v75, v75
	v_fma_f32 v76, v78, s21, -v77
	v_fmac_f32_e32 v76, 0x32a5705f, v78
	v_sub_f32_e32 v77, v77, v80
	v_add_f32_e32 v76, v77, v76
	v_ldexp_f32 v75, v75, v79
	v_exp_f32_e32 v76, v76
	v_cvt_i32_f32_e32 v79, v80
	v_cmp_ngt_f32_e32 vcc, s26, v72
	v_cndmask_b32_e32 v75, 0, v75, vcc
	v_cmp_nlt_f32_e32 vcc, s27, v72
	v_cndmask_b32_e32 v77, v23, v75, vcc
	v_mul_f32_e32 v75, 0x3fb8aa3b, v74
	v_ldexp_f32 v72, v76, v79
	v_fma_f32 v76, v74, s21, -v75
	v_rndne_f32_e32 v79, v75
	v_fmac_f32_e32 v76, 0x32a5705f, v74
	v_sub_f32_e32 v75, v75, v79
	v_add_f32_e32 v75, v75, v76
	v_exp_f32_e32 v75, v75
	v_cvt_i32_f32_e32 v76, v79
	v_cmp_ngt_f32_e32 vcc, s26, v78
	v_sub_f32_e32 v73, v73, v8
	v_cndmask_b32_e32 v72, 0, v72, vcc
	v_cmp_nlt_f32_e32 vcc, s27, v78
	v_cndmask_b32_e32 v78, v23, v72, vcc
	v_ldexp_f32 v72, v75, v76
	v_mul_f32_e32 v75, 0x3fb8aa3b, v73
	v_fma_f32 v76, v73, s21, -v75
	v_rndne_f32_e32 v79, v75
	v_fmac_f32_e32 v76, 0x32a5705f, v73
	v_sub_f32_e32 v75, v75, v79
	v_add_f32_e32 v75, v75, v76
	v_exp_f32_e32 v75, v75
	v_cvt_i32_f32_e32 v76, v79
	v_cmp_ngt_f32_e32 vcc, s26, v74
	v_cndmask_b32_e32 v72, 0, v72, vcc
	v_cmp_nlt_f32_e32 vcc, s27, v74
	v_cndmask_b32_e32 v79, v23, v72, vcc
	v_ldexp_f32 v72, v75, v76
	v_cmp_ngt_f32_e32 vcc, s26, v73
	v_cndmask_b32_e32 v72, 0, v72, vcc
	v_cmp_nlt_f32_e32 vcc, s27, v73
	v_cndmask_b32_e32 v76, v23, v72, vcc
	v_sub_f32_e32 v86, v68, v6
	v_sub_f32_e32 v87, v69, v7
	v_mov_b32_e32 v68, s41
	v_add_co_u32_e32 v69, vcc, s40, v16
	v_addc_co_u32_e32 v68, vcc, v68, v17, vcc
	v_add_co_u32_e32 v80, vcc, v69, v38
	v_addc_co_u32_e32 v81, vcc, 0, v68, vcc
	v_mov_b32_e32 v68, s41
	v_add_co_u32_e32 v69, vcc, s40, v18
	v_addc_co_u32_e32 v68, vcc, v68, v19, vcc
	v_add_co_u32_e32 v82, vcc, v69, v38
	v_sub_f32_e32 v84, v71, v9
	v_sub_f32_e32 v85, v70, v8
	v_addc_co_u32_e32 v83, vcc, 0, v68, vcc
	global_load_dwordx4 v[68:71], v[80:81], off
	global_load_dwordx4 v[72:75], v[82:83], off
	v_mul_f32_e32 v80, 0x3fb8aa3b, v87
	v_fma_f32 v81, v87, s21, -v80
	v_rndne_f32_e32 v82, v80
	v_fmac_f32_e32 v81, 0x32a5705f, v87
	v_sub_f32_e32 v80, v80, v82
	v_add_f32_e32 v80, v80, v81
	v_cvt_i32_f32_e32 v81, v82
	v_mul_f32_e32 v82, 0x3fb8aa3b, v86
	v_fma_f32 v83, v86, s21, -v82
	v_rndne_f32_e32 v88, v82
	v_fmac_f32_e32 v83, 0x32a5705f, v86
	v_sub_f32_e32 v82, v82, v88
	v_exp_f32_e32 v80, v80
	v_add_f32_e32 v82, v82, v83
	v_exp_f32_e32 v82, v82
	v_cvt_i32_f32_e32 v83, v88
	v_ldexp_f32 v80, v80, v81
	v_cmp_ngt_f32_e32 vcc, s26, v87
	v_cndmask_b32_e32 v81, 0, v80, vcc
	v_ldexp_f32 v80, v82, v83
	v_cmp_ngt_f32_e32 vcc, s26, v86
	v_cndmask_b32_e32 v80, 0, v80, vcc
	v_cmp_nlt_f32_e32 vcc, s27, v86
	v_mul_f32_e32 v82, 0x3fb8aa3b, v84
	v_cndmask_b32_e32 v80, v23, v80, vcc
	v_cmp_nlt_f32_e32 vcc, s27, v87
	v_fma_f32 v83, v84, s21, -v82
	v_rndne_f32_e32 v86, v82
	v_cndmask_b32_e32 v81, v23, v81, vcc
	v_fmac_f32_e32 v83, 0x32a5705f, v84
	v_sub_f32_e32 v82, v82, v86
	v_cvt_f16_f32_e32 v88, v80
	v_cvt_f16_f32_e32 v89, v81
	v_add_f32_e32 v82, v82, v83
	v_cvt_i32_f32_e32 v83, v86
	v_mul_f32_e32 v86, 0x3fb8aa3b, v85
	v_fma_f32 v87, v85, s21, -v86
	v_rndne_f32_e32 v94, v86
	v_fmac_f32_e32 v87, 0x32a5705f, v85
	v_sub_f32_e32 v86, v86, v94
	v_add_f32_e32 v86, v86, v87
	v_pk_mul_f16 v90, v88, v57 op_sel_hi:[0,1]
	v_pk_mul_f16 v91, v88, v56 op_sel_hi:[0,1]
	;; [unrolled: 1-line block ×4, first 2 shown]
	v_cvt_f16_f32_e32 v52, v77
	v_cvt_f16_f32_e32 v53, v76
	;; [unrolled: 1-line block ×4, first 2 shown]
	v_exp_f32_e32 v86, v86
	v_cvt_i32_f32_e32 v87, v94
	v_exp_f32_e32 v82, v82
	v_pack_b32_f16 v53, v53, v52
	v_pack_b32_f16 v52, v57, v56
	v_ldexp_f32 v56, v86, v87
	v_cmp_ngt_f32_e32 vcc, s26, v85
	v_cndmask_b32_e32 v56, 0, v56, vcc
	v_cmp_nlt_f32_e32 vcc, s27, v85
	v_ldexp_f32 v57, v82, v83
	v_cndmask_b32_e32 v56, v23, v56, vcc
	v_cmp_ngt_f32_e32 vcc, s26, v84
	v_cndmask_b32_e32 v57, 0, v57, vcc
	v_cmp_nlt_f32_e32 vcc, s27, v84
	v_cndmask_b32_e32 v57, v23, v57, vcc
	v_cvt_f16_f32_e32 v94, v56
	v_cvt_f16_f32_e32 v82, v57
	v_pk_mul_f16 v55, v88, v55 op_sel_hi:[0,1]
	v_pk_fma_f32 v[4:5], v[4:5], v[56:57], v[76:77]
	v_pk_mul_f16 v95, v94, v47 op_sel_hi:[0,1]
	v_pk_mul_f16 v47, v82, v43 op_sel_hi:[0,1]
	v_add_u32_e32 v43, v63, v39
	ds_write_b64 v43, v[52:53]
	s_waitcnt vmcnt(1)
	ds_write_b128 v64, v[68:71]
	s_waitcnt vmcnt(0)
	ds_write_b128 v65, v[72:75]
	v_add_u32_e32 v43, 0x4000, v39
	s_waitcnt lgkmcnt(0)
	s_barrier
	ds_read2_b64 v[68:71], v43 offset1:32
	ds_read_b128 v[72:75], v63
	v_pk_mul_f16 v46, v94, v46 op_sel_hi:[0,1]
	v_pk_mul_f16 v44, v82, v44 op_sel_hi:[0,1]
	v_pk_fma_f32 v[2:3], v[2:3], v[80:81], v[78:79]
	v_pk_mul_f16 v42, v82, v42 op_sel_hi:[0,1]
	s_waitcnt lgkmcnt(0)
	v_pk_mul_f16 v53, v68, v72 op_sel:[0,1]
	v_pk_mul_f16 v52, v68, v72 op_sel_hi:[1,0]
	v_pk_fma_f16 v49, v89, v49, v53 op_sel_hi:[0,1,1]
	v_pk_mul_f16 v53, v68, v73 op_sel_hi:[1,0]
	v_pk_mul_f16 v40, v82, v40 op_sel_hi:[0,1]
	ds_read_b128 v[76:79], v63 offset:16
	ds_read_b128 v[80:83], v63 offset:32
	;; [unrolled: 1-line block ×3, first 2 shown]
	v_pk_fma_f16 v52, v88, v54, v52 op_sel_hi:[0,1,1]
	v_pk_fma_f16 v53, v94, v45, v53 op_sel_hi:[0,1,1]
	v_pk_fma_f16 v54, v68, v73, v44 op_sel:[0,1,0]
	v_pk_fma_f16 v68, v69, v73, v47 op_sel:[0,1,0]
	v_pk_fma_f16 v88, v70, v73, v46 op_sel_hi:[1,0,1]
	ds_read2_b64 v[44:47], v43 offset0:64 offset1:96
	v_pk_mul_f16 v48, v94, v48 op_sel_hi:[0,1]
	v_pk_mul_f16 v51, v89, v51 op_sel_hi:[0,1]
	v_pk_fma_f16 v56, v69, v72, v90 op_sel_hi:[1,0,1]
	v_pk_fma_f16 v57, v69, v72, v92 op_sel:[0,1,0]
	v_pk_fma_f16 v48, v69, v73, v48 op_sel_hi:[1,0,1]
	v_pk_fma_f16 v55, v70, v72, v55 op_sel_hi:[1,0,1]
	v_pk_fma_f16 v69, v70, v72, v93 op_sel:[0,1,0]
	v_pk_fma_f16 v42, v70, v73, v42 op_sel:[0,1,0]
	v_pk_fma_f16 v70, v71, v72, v91 op_sel_hi:[1,0,1]
	v_pk_fma_f16 v51, v71, v72, v51 op_sel:[0,1,0]
	v_pk_fma_f16 v72, v71, v73, v95 op_sel_hi:[1,0,1]
	v_pk_fma_f16 v40, v71, v73, v40 op_sel:[0,1,0]
	s_waitcnt lgkmcnt(0)
	v_pk_fma_f16 v71, v44, v74, v52 op_sel_hi:[1,0,1]
	v_pk_fma_f16 v49, v44, v74, v49 op_sel:[0,1,0]
	v_pk_fma_f16 v73, v44, v75, v53 op_sel_hi:[1,0,1]
	v_pk_fma_f16 v44, v44, v75, v54 op_sel:[0,1,0]
	v_pk_fma_f16 v56, v45, v74, v56 op_sel_hi:[1,0,1]
	v_pk_fma_f16 v57, v45, v74, v57 op_sel:[0,1,0]
	v_pk_fma_f16 v48, v45, v75, v48 op_sel_hi:[1,0,1]
	v_pk_fma_f16 v45, v45, v75, v68 op_sel:[0,1,0]
	v_pk_fma_f16 v68, v46, v74, v55 op_sel_hi:[1,0,1]
	ds_read2_b64 v[52:55], v43 offset0:128 offset1:160
	v_pk_fma_f16 v69, v46, v74, v69 op_sel:[0,1,0]
	v_pk_fma_f16 v88, v46, v75, v88 op_sel_hi:[1,0,1]
	v_pk_fma_f16 v42, v46, v75, v42 op_sel:[0,1,0]
	v_pk_fma_f16 v70, v47, v74, v70 op_sel_hi:[1,0,1]
	;; [unrolled: 2-line block ×3, first 2 shown]
	v_pk_fma_f16 v40, v47, v75, v40 op_sel:[0,1,0]
	s_waitcnt lgkmcnt(0)
	v_pk_fma_f16 v71, v52, v76, v71 op_sel_hi:[1,0,1]
	v_pk_fma_f16 v49, v52, v76, v49 op_sel:[0,1,0]
	v_pk_fma_f16 v73, v52, v77, v73 op_sel_hi:[1,0,1]
	v_pk_fma_f16 v52, v52, v77, v44 op_sel:[0,1,0]
	;; [unrolled: 2-line block ×4, first 2 shown]
	ds_read2_b64 v[44:47], v43 offset0:192 offset1:224
	v_pk_fma_f16 v68, v54, v76, v68 op_sel_hi:[1,0,1]
	v_pk_fma_f16 v69, v54, v76, v69 op_sel:[0,1,0]
	v_pk_fma_f16 v74, v54, v77, v88 op_sel_hi:[1,0,1]
	v_pk_fma_f16 v42, v54, v77, v42 op_sel:[0,1,0]
	s_waitcnt lgkmcnt(0)
	v_pk_fma_f16 v71, v44, v78, v71 op_sel_hi:[1,0,1]
	v_pk_fma_f16 v49, v44, v78, v49 op_sel:[0,1,0]
	v_pk_fma_f16 v73, v44, v79, v73 op_sel_hi:[1,0,1]
	v_pk_fma_f16 v75, v44, v79, v52 op_sel:[0,1,0]
	v_add_u32_e32 v44, 0x4800, v39
	v_pk_fma_f16 v70, v55, v76, v70 op_sel_hi:[1,0,1]
	v_pk_fma_f16 v51, v55, v76, v51 op_sel:[0,1,0]
	v_pk_fma_f16 v72, v55, v77, v72 op_sel_hi:[1,0,1]
	v_pk_fma_f16 v40, v55, v77, v40 op_sel:[0,1,0]
	;; [unrolled: 2-line block ×4, first 2 shown]
	ds_read2_b64 v[52:55], v44 offset1:32
	v_pk_fma_f16 v68, v46, v78, v68 op_sel_hi:[1,0,1]
	v_pk_fma_f16 v69, v46, v78, v69 op_sel:[0,1,0]
	v_pk_fma_f16 v74, v46, v79, v74 op_sel_hi:[1,0,1]
	v_pk_fma_f16 v42, v46, v79, v42 op_sel:[0,1,0]
	;; [unrolled: 2-line block ×4, first 2 shown]
	s_waitcnt lgkmcnt(0)
	v_pk_fma_f16 v71, v52, v80, v71 op_sel_hi:[1,0,1]
	v_pk_fma_f16 v76, v52, v80, v49 op_sel:[0,1,0]
	v_pk_fma_f16 v73, v52, v81, v73 op_sel_hi:[1,0,1]
	v_pk_fma_f16 v52, v52, v81, v75 op_sel:[0,1,0]
	v_pk_fma_f16 v75, v53, v81, v48 op_sel_hi:[1,0,1]
	ds_read2_b64 v[46:49], v44 offset0:64 offset1:96
	v_pk_fma_f16 v56, v53, v80, v56 op_sel_hi:[1,0,1]
	v_pk_fma_f16 v57, v53, v80, v57 op_sel:[0,1,0]
	v_pk_fma_f16 v45, v53, v81, v45 op_sel:[0,1,0]
	v_pk_fma_f16 v53, v54, v80, v68 op_sel_hi:[1,0,1]
	v_pk_fma_f16 v68, v54, v80, v69 op_sel:[0,1,0]
	v_pk_fma_f16 v69, v54, v81, v74 op_sel_hi:[1,0,1]
	;; [unrolled: 2-line block ×4, first 2 shown]
	v_pk_fma_f16 v40, v55, v81, v40 op_sel:[0,1,0]
	s_waitcnt lgkmcnt(0)
	v_pk_fma_f16 v71, v46, v82, v71 op_sel_hi:[1,0,1]
	v_pk_fma_f16 v74, v46, v82, v76 op_sel:[0,1,0]
	v_pk_fma_f16 v73, v46, v83, v73 op_sel_hi:[1,0,1]
	v_pk_fma_f16 v46, v46, v83, v52 op_sel:[0,1,0]
	;; [unrolled: 2-line block ×4, first 2 shown]
	v_pk_fma_f16 v47, v48, v82, v53 op_sel_hi:[1,0,1]
	ds_read2_b64 v[52:55], v44 offset0:128 offset1:160
	v_pk_fma_f16 v68, v48, v82, v68 op_sel:[0,1,0]
	v_pk_fma_f16 v69, v48, v83, v69 op_sel_hi:[1,0,1]
	v_pk_fma_f16 v42, v48, v83, v42 op_sel:[0,1,0]
	v_pk_fma_f16 v70, v49, v82, v70 op_sel_hi:[1,0,1]
	;; [unrolled: 2-line block ×3, first 2 shown]
	v_pk_fma_f16 v40, v49, v83, v40 op_sel:[0,1,0]
	s_waitcnt lgkmcnt(0)
	v_pk_fma_f16 v71, v52, v84, v71 op_sel_hi:[1,0,1]
	v_pk_fma_f16 v74, v52, v84, v74 op_sel:[0,1,0]
	v_pk_fma_f16 v73, v52, v85, v73 op_sel_hi:[1,0,1]
	v_pk_fma_f16 v52, v52, v85, v46 op_sel:[0,1,0]
	;; [unrolled: 2-line block ×4, first 2 shown]
	v_pk_fma_f16 v53, v54, v84, v47 op_sel_hi:[1,0,1]
	ds_read2_b64 v[46:49], v44 offset0:192 offset1:224
	v_pk_fma_f16 v68, v54, v84, v68 op_sel:[0,1,0]
	v_pk_fma_f16 v69, v54, v85, v69 op_sel_hi:[1,0,1]
	v_pk_fma_f16 v42, v54, v85, v42 op_sel:[0,1,0]
	v_pk_fma_f16 v54, v55, v84, v70 op_sel_hi:[1,0,1]
	v_pk_fma_f16 v76, v55, v85, v40 op_sel:[0,1,0]
	v_add_u32_e32 v40, 0x5000, v39
	v_pk_fma_f16 v51, v55, v84, v51 op_sel:[0,1,0]
	v_pk_fma_f16 v72, v55, v85, v72 op_sel_hi:[1,0,1]
	s_waitcnt lgkmcnt(0)
	v_pk_fma_f16 v77, v46, v86, v71 op_sel_hi:[1,0,1]
	v_pk_fma_f16 v78, v46, v87, v52 op_sel:[0,1,0]
	v_pk_fma_f16 v79, v48, v86, v53 op_sel_hi:[1,0,1]
	v_pk_fma_f16 v80, v48, v86, v68 op_sel:[0,1,0]
	v_pk_fma_f16 v81, v48, v87, v69 op_sel_hi:[1,0,1]
	v_pk_fma_f16 v82, v49, v86, v54 op_sel_hi:[1,0,1]
	ds_read2_b64 v[52:55], v40 offset1:32
	ds_read_b128 v[68:71], v63 offset:64
	v_pk_fma_f16 v74, v46, v86, v74 op_sel:[0,1,0]
	v_pk_fma_f16 v73, v46, v87, v73 op_sel_hi:[1,0,1]
	v_pk_fma_f16 v75, v47, v87, v75 op_sel_hi:[1,0,1]
	;; [unrolled: 1-line block ×3, first 2 shown]
	s_waitcnt lgkmcnt(0)
	v_pk_fma_f16 v77, v52, v68, v77 op_sel_hi:[1,0,1]
	v_pk_fma_f16 v84, v52, v68, v74 op_sel:[0,1,0]
	v_pk_fma_f16 v85, v52, v69, v73 op_sel_hi:[1,0,1]
	v_pk_fma_f16 v52, v52, v69, v78 op_sel:[0,1,0]
	v_pk_fma_f16 v78, v53, v69, v75 op_sel_hi:[1,0,1]
	ds_read2_b64 v[72:75], v40 offset0:64 offset1:96
	v_pk_fma_f16 v56, v47, v86, v56 op_sel_hi:[1,0,1]
	v_pk_fma_f16 v57, v47, v86, v57 op_sel:[0,1,0]
	v_pk_fma_f16 v45, v47, v87, v45 op_sel:[0,1,0]
	v_pk_fma_f16 v42, v48, v87, v42 op_sel:[0,1,0]
	v_pk_fma_f16 v51, v49, v86, v51 op_sel:[0,1,0]
	v_pk_fma_f16 v76, v49, v87, v76 op_sel:[0,1,0]
	v_pk_fma_f16 v56, v53, v68, v56 op_sel_hi:[1,0,1]
	v_pk_fma_f16 v57, v53, v68, v57 op_sel:[0,1,0]
	v_pk_fma_f16 v45, v53, v69, v45 op_sel:[0,1,0]
	v_pk_fma_f16 v53, v54, v68, v79 op_sel_hi:[1,0,1]
	ds_read_b128 v[46:49], v63 offset:80
	v_pk_fma_f16 v79, v54, v68, v80 op_sel:[0,1,0]
	v_pk_fma_f16 v80, v54, v69, v81 op_sel_hi:[1,0,1]
	v_pk_fma_f16 v42, v54, v69, v42 op_sel:[0,1,0]
	v_pk_fma_f16 v81, v55, v68, v82 op_sel_hi:[1,0,1]
	;; [unrolled: 2-line block ×3, first 2 shown]
	v_pk_fma_f16 v69, v55, v69, v76 op_sel:[0,1,0]
	s_waitcnt lgkmcnt(1)
	v_pk_fma_f16 v76, v72, v70, v77 op_sel_hi:[1,0,1]
	v_pk_fma_f16 v77, v72, v70, v84 op_sel:[0,1,0]
	v_pk_fma_f16 v82, v72, v71, v85 op_sel_hi:[1,0,1]
	v_pk_fma_f16 v72, v72, v71, v52 op_sel:[0,1,0]
	;; [unrolled: 2-line block ×4, first 2 shown]
	v_pk_fma_f16 v73, v74, v70, v53 op_sel_hi:[1,0,1]
	ds_read2_b64 v[52:55], v40 offset0:128 offset1:160
	s_or_b32 s40, s18, 16
	s_mul_hi_i32 s41, s40, s10
	s_mul_i32 s40, s40, s10
	s_lshl_b64 s[40:41], s[40:41], 2
	s_add_u32 s40, s16, s40
	v_pk_fma_f16 v79, v74, v70, v79 op_sel:[0,1,0]
	v_pk_fma_f16 v80, v74, v71, v80 op_sel_hi:[1,0,1]
	v_pk_fma_f16 v42, v74, v71, v42 op_sel:[0,1,0]
	v_pk_fma_f16 v74, v75, v70, v81 op_sel_hi:[1,0,1]
	;; [unrolled: 2-line block ×3, first 2 shown]
	v_pk_fma_f16 v75, v75, v71, v69 op_sel:[0,1,0]
	s_addc_u32 s41, s17, s41
	s_waitcnt lgkmcnt(0)
	v_pk_fma_f16 v76, v52, v46, v76 op_sel_hi:[1,0,1]
	v_pk_fma_f16 v100, v52, v46, v77 op_sel:[0,1,0]
	v_pk_fma_f16 v101, v52, v47, v82 op_sel_hi:[1,0,1]
	v_pk_fma_f16 v102, v52, v47, v72 op_sel:[0,1,0]
	;; [unrolled: 2-line block ×8, first 2 shown]
	v_mov_b32_e32 v46, s41
	v_add_co_u32_e32 v47, vcc, s40, v16
	v_addc_co_u32_e32 v56, vcc, v46, v17, vcc
	ds_read2_b64 v[68:71], v40 offset0:192 offset1:224
	v_add_co_u32_e32 v46, vcc, v47, v38
	v_addc_co_u32_e32 v47, vcc, 0, v56, vcc
	v_mov_b32_e32 v56, s41
	v_add_co_u32_e32 v57, vcc, s40, v18
	v_addc_co_u32_e32 v92, vcc, v56, v19, vcc
	v_add_u32_e32 v42, 0x5800, v39
	v_add_co_u32_e32 v56, vcc, v57, v38
	s_waitcnt lgkmcnt(0)
	v_pk_fma_f16 v113, v68, v48, v76 op_sel_hi:[1,0,1]
	ds_read2_b64 v[52:55], v42 offset1:32
	ds_read2_b64 v[72:75], v42 offset0:64 offset1:96
	ds_read2_b64 v[76:79], v42 offset0:128 offset1:160
	ds_read_b128 v[80:83], v63 offset:96
	ds_read_b128 v[84:87], v63 offset:112
	ds_read2_b64 v[88:91], v42 offset0:192 offset1:224
	s_waitcnt lgkmcnt(0)
	s_barrier
	v_addc_co_u32_e32 v57, vcc, 0, v92, vcc
	global_load_dwordx4 v[92:95], v[46:47], off
	global_load_dwordx4 v[96:99], v[56:57], off
	v_pk_fma_f16 v46, v68, v48, v100 op_sel:[0,1,0]
	v_pk_fma_f16 v47, v68, v49, v101 op_sel_hi:[1,0,1]
	v_pk_fma_f16 v56, v68, v49, v102 op_sel:[0,1,0]
	v_pk_fma_f16 v57, v69, v48, v103 op_sel_hi:[1,0,1]
	;; [unrolled: 2-line block ×38, first 2 shown]
	v_pk_fma_f16 v86, v91, v86, v48 op_sel:[0,1,0]
	s_waitcnt vmcnt(1)
	ds_write_b128 v64, v[92:95]
	s_waitcnt vmcnt(0)
	ds_write_b128 v65, v[96:99]
	s_waitcnt lgkmcnt(0)
	s_barrier
	ds_read2_b64 v[46:49], v43 offset1:32
	ds_read_b128 v[52:55], v63 offset:128
	v_pk_fma_f16 v51, v91, v87, v51 op_sel_hi:[1,0,1]
	v_pk_fma_f16 v87, v91, v87, v72 op_sel:[0,1,0]
	ds_read_b128 v[68:71], v63 offset:144
	ds_read_b128 v[72:75], v63 offset:160
	ds_read_b128 v[76:79], v63 offset:176
	s_waitcnt lgkmcnt(3)
	v_pk_fma_f16 v91, v46, v52, v80 op_sel_hi:[1,0,1]
	v_pk_fma_f16 v92, v46, v52, v81 op_sel:[0,1,0]
	v_pk_fma_f16 v93, v46, v53, v82 op_sel_hi:[1,0,1]
	v_pk_fma_f16 v46, v46, v53, v83 op_sel:[0,1,0]
	ds_read2_b64 v[80:83], v43 offset0:64 offset1:96
	v_pk_fma_f16 v56, v47, v52, v56 op_sel_hi:[1,0,1]
	v_pk_fma_f16 v57, v47, v52, v57 op_sel:[0,1,0]
	v_pk_fma_f16 v84, v47, v53, v84 op_sel_hi:[1,0,1]
	v_pk_fma_f16 v45, v47, v53, v45 op_sel:[0,1,0]
	;; [unrolled: 2-line block ×6, first 2 shown]
	s_waitcnt lgkmcnt(0)
	v_pk_fma_f16 v86, v80, v54, v91 op_sel_hi:[1,0,1]
	v_pk_fma_f16 v87, v80, v54, v92 op_sel:[0,1,0]
	v_pk_fma_f16 v90, v80, v55, v93 op_sel_hi:[1,0,1]
	v_pk_fma_f16 v80, v80, v55, v46 op_sel:[0,1,0]
	;; [unrolled: 2-line block ×6, first 2 shown]
	ds_read2_b64 v[46:49], v43 offset0:128 offset1:160
	v_pk_fma_f16 v89, v83, v54, v89 op_sel_hi:[1,0,1]
	v_pk_fma_f16 v91, v83, v54, v52 op_sel:[0,1,0]
	v_pk_fma_f16 v51, v83, v55, v51 op_sel_hi:[1,0,1]
	v_pk_fma_f16 v83, v83, v55, v53 op_sel:[0,1,0]
	ds_read2_b64 v[52:55], v43 offset0:192 offset1:224
	s_waitcnt lgkmcnt(1)
	v_pk_fma_f16 v86, v46, v68, v86 op_sel_hi:[1,0,1]
	v_pk_fma_f16 v87, v46, v68, v87 op_sel:[0,1,0]
	v_pk_fma_f16 v90, v46, v69, v90 op_sel_hi:[1,0,1]
	v_pk_fma_f16 v46, v46, v69, v80 op_sel:[0,1,0]
	;; [unrolled: 2-line block ×8, first 2 shown]
	s_waitcnt lgkmcnt(0)
	v_pk_fma_f16 v82, v52, v70, v86 op_sel_hi:[1,0,1]
	v_pk_fma_f16 v83, v52, v70, v87 op_sel:[0,1,0]
	v_pk_fma_f16 v85, v52, v71, v90 op_sel_hi:[1,0,1]
	v_pk_fma_f16 v52, v52, v71, v46 op_sel:[0,1,0]
	;; [unrolled: 2-line block ×6, first 2 shown]
	ds_read2_b64 v[46:49], v44 offset1:32
	v_pk_fma_f16 v43, v55, v70, v43 op_sel_hi:[1,0,1]
	v_pk_fma_f16 v68, v55, v70, v68 op_sel:[0,1,0]
	v_pk_fma_f16 v51, v55, v71, v51 op_sel_hi:[1,0,1]
	v_pk_fma_f16 v69, v55, v71, v69 op_sel:[0,1,0]
	s_waitcnt lgkmcnt(0)
	v_pk_fma_f16 v70, v46, v72, v82 op_sel_hi:[1,0,1]
	v_pk_fma_f16 v71, v46, v72, v83 op_sel:[0,1,0]
	v_pk_fma_f16 v82, v46, v73, v85 op_sel_hi:[1,0,1]
	v_pk_fma_f16 v46, v46, v73, v52 op_sel:[0,1,0]
	;; [unrolled: 2-line block ×6, first 2 shown]
	ds_read2_b64 v[52:55], v44 offset0:64 offset1:96
	v_pk_fma_f16 v43, v49, v72, v43 op_sel_hi:[1,0,1]
	v_pk_fma_f16 v68, v49, v72, v68 op_sel:[0,1,0]
	v_pk_fma_f16 v51, v49, v73, v51 op_sel_hi:[1,0,1]
	v_pk_fma_f16 v69, v49, v73, v69 op_sel:[0,1,0]
	s_waitcnt lgkmcnt(0)
	v_pk_fma_f16 v70, v52, v74, v70 op_sel_hi:[1,0,1]
	v_pk_fma_f16 v71, v52, v74, v71 op_sel:[0,1,0]
	v_pk_fma_f16 v72, v52, v75, v82 op_sel_hi:[1,0,1]
	v_pk_fma_f16 v52, v52, v75, v46 op_sel:[0,1,0]
	;; [unrolled: 2-line block ×6, first 2 shown]
	ds_read2_b64 v[46:49], v44 offset0:128 offset1:160
	v_pk_fma_f16 v43, v55, v74, v43 op_sel_hi:[1,0,1]
	v_pk_fma_f16 v68, v55, v74, v68 op_sel:[0,1,0]
	v_pk_fma_f16 v51, v55, v75, v51 op_sel_hi:[1,0,1]
	v_pk_fma_f16 v55, v55, v75, v69 op_sel:[0,1,0]
	s_waitcnt lgkmcnt(0)
	v_pk_fma_f16 v69, v46, v76, v70 op_sel_hi:[1,0,1]
	v_pk_fma_f16 v70, v46, v76, v71 op_sel:[0,1,0]
	v_pk_fma_f16 v71, v46, v77, v72 op_sel_hi:[1,0,1]
	v_pk_fma_f16 v52, v46, v77, v52 op_sel:[0,1,0]
	;; [unrolled: 2-line block ×4, first 2 shown]
	ds_read2_b64 v[44:47], v44 offset0:192 offset1:224
	v_pk_fma_f16 v53, v48, v76, v53 op_sel_hi:[1,0,1]
	v_pk_fma_f16 v74, v48, v76, v80 op_sel:[0,1,0]
	v_pk_fma_f16 v75, v48, v77, v81 op_sel_hi:[1,0,1]
	v_pk_fma_f16 v48, v48, v77, v54 op_sel:[0,1,0]
	;; [unrolled: 2-line block ×4, first 2 shown]
	s_waitcnt lgkmcnt(0)
	v_pk_fma_f16 v77, v44, v78, v69 op_sel_hi:[1,0,1]
	v_pk_fma_f16 v80, v44, v78, v70 op_sel:[0,1,0]
	v_pk_fma_f16 v81, v44, v79, v71 op_sel_hi:[1,0,1]
	v_pk_fma_f16 v82, v44, v79, v52 op_sel:[0,1,0]
	v_pk_fma_f16 v83, v46, v78, v53 op_sel_hi:[1,0,1]
	ds_read2_b64 v[52:55], v40 offset1:32
	ds_read_b128 v[68:71], v63 offset:192
	v_pk_fma_f16 v56, v45, v78, v56 op_sel_hi:[1,0,1]
	v_pk_fma_f16 v57, v45, v78, v57 op_sel:[0,1,0]
	v_pk_fma_f16 v72, v45, v79, v72 op_sel_hi:[1,0,1]
	v_pk_fma_f16 v73, v45, v79, v73 op_sel:[0,1,0]
	v_pk_fma_f16 v74, v46, v78, v74 op_sel:[0,1,0]
	v_pk_fma_f16 v75, v46, v79, v75 op_sel_hi:[1,0,1]
	v_pk_fma_f16 v48, v46, v79, v48 op_sel:[0,1,0]
	v_pk_fma_f16 v43, v47, v78, v43 op_sel_hi:[1,0,1]
	;; [unrolled: 2-line block ×3, first 2 shown]
	v_pk_fma_f16 v49, v47, v79, v49 op_sel:[0,1,0]
	s_waitcnt lgkmcnt(0)
	v_pk_fma_f16 v77, v52, v68, v77 op_sel_hi:[1,0,1]
	v_pk_fma_f16 v78, v52, v68, v80 op_sel:[0,1,0]
	v_pk_fma_f16 v79, v52, v69, v81 op_sel_hi:[1,0,1]
	v_pk_fma_f16 v52, v52, v69, v82 op_sel:[0,1,0]
	;; [unrolled: 2-line block ×5, first 2 shown]
	v_pk_fma_f16 v83, v54, v69, v75 op_sel_hi:[1,0,1]
	ds_read2_b64 v[72:75], v40 offset0:64 offset1:96
	ds_read_b128 v[44:47], v63 offset:208
	v_pk_fma_f16 v48, v54, v69, v48 op_sel:[0,1,0]
	v_pk_fma_f16 v43, v55, v68, v43 op_sel_hi:[1,0,1]
	v_pk_fma_f16 v68, v55, v68, v76 op_sel:[0,1,0]
	v_pk_fma_f16 v51, v55, v69, v51 op_sel_hi:[1,0,1]
	v_pk_fma_f16 v49, v55, v69, v49 op_sel:[0,1,0]
	s_waitcnt lgkmcnt(1)
	v_pk_fma_f16 v69, v72, v70, v77 op_sel_hi:[1,0,1]
	v_pk_fma_f16 v76, v72, v70, v78 op_sel:[0,1,0]
	v_pk_fma_f16 v77, v72, v71, v79 op_sel_hi:[1,0,1]
	v_pk_fma_f16 v72, v72, v71, v52 op_sel:[0,1,0]
	;; [unrolled: 2-line block ×4, first 2 shown]
	ds_read2_b64 v[52:55], v40 offset0:128 offset1:160
	v_pk_fma_f16 v79, v74, v70, v81 op_sel_hi:[1,0,1]
	v_pk_fma_f16 v80, v74, v70, v82 op_sel:[0,1,0]
	v_pk_fma_f16 v81, v74, v71, v83 op_sel_hi:[1,0,1]
	v_pk_fma_f16 v48, v74, v71, v48 op_sel:[0,1,0]
	;; [unrolled: 2-line block ×4, first 2 shown]
	s_waitcnt lgkmcnt(0)
	v_pk_fma_f16 v75, v52, v44, v69 op_sel_hi:[1,0,1]
	ds_read2_b64 v[68:71], v40 offset0:192 offset1:224
	v_pk_fma_f16 v76, v52, v44, v76 op_sel:[0,1,0]
	v_pk_fma_f16 v77, v52, v45, v77 op_sel_hi:[1,0,1]
	v_pk_fma_f16 v52, v52, v45, v72 op_sel:[0,1,0]
	v_pk_fma_f16 v56, v53, v44, v56 op_sel_hi:[1,0,1]
	;; [unrolled: 2-line block ×7, first 2 shown]
	v_pk_fma_f16 v45, v55, v45, v49 op_sel:[0,1,0]
	s_waitcnt lgkmcnt(0)
	v_pk_fma_f16 v49, v68, v46, v75 op_sel_hi:[1,0,1]
	v_pk_fma_f16 v51, v68, v46, v76 op_sel:[0,1,0]
	v_pk_fma_f16 v76, v68, v47, v77 op_sel_hi:[1,0,1]
	v_pk_fma_f16 v77, v68, v47, v52 op_sel:[0,1,0]
	;; [unrolled: 2-line block ×3, first 2 shown]
	v_pk_fma_f16 v82, v70, v46, v73 op_sel_hi:[1,0,1]
	ds_read2_b64 v[52:55], v42 offset1:32
	ds_read_b128 v[72:75], v63 offset:224
	v_pk_fma_f16 v56, v69, v46, v56 op_sel_hi:[1,0,1]
	v_pk_fma_f16 v57, v69, v46, v57 op_sel:[0,1,0]
	v_pk_fma_f16 v78, v70, v46, v78 op_sel:[0,1,0]
	v_pk_fma_f16 v79, v70, v47, v79 op_sel_hi:[1,0,1]
	v_pk_fma_f16 v48, v70, v47, v48 op_sel:[0,1,0]
	v_pk_fma_f16 v40, v71, v46, v40 op_sel_hi:[1,0,1]
	;; [unrolled: 2-line block ×3, first 2 shown]
	v_pk_fma_f16 v84, v71, v47, v45 op_sel:[0,1,0]
	ds_read2_b64 v[44:47], v42 offset0:64 offset1:96
	s_waitcnt lgkmcnt(1)
	v_pk_fma_f16 v49, v52, v72, v49 op_sel_hi:[1,0,1]
	v_pk_fma_f16 v51, v52, v72, v51 op_sel:[0,1,0]
	v_pk_fma_f16 v76, v52, v73, v76 op_sel_hi:[1,0,1]
	v_pk_fma_f16 v52, v52, v73, v77 op_sel:[0,1,0]
	;; [unrolled: 2-line block ×8, first 2 shown]
	ds_read_b128 v[68:71], v63 offset:240
	s_waitcnt lgkmcnt(1)
	v_pk_fma_f16 v49, v44, v74, v49 op_sel_hi:[1,0,1]
	v_pk_fma_f16 v51, v44, v74, v51 op_sel:[0,1,0]
	v_pk_fma_f16 v76, v44, v75, v76 op_sel_hi:[1,0,1]
	v_pk_fma_f16 v44, v44, v75, v52 op_sel:[0,1,0]
	;; [unrolled: 2-line block ×6, first 2 shown]
	ds_read2_b64 v[52:55], v42 offset0:128 offset1:160
	v_pk_fma_f16 v40, v47, v74, v40 op_sel_hi:[1,0,1]
	v_pk_fma_f16 v43, v47, v74, v43 op_sel:[0,1,0]
	v_pk_fma_f16 v48, v47, v75, v72 op_sel_hi:[1,0,1]
	v_pk_fma_f16 v47, v47, v75, v73 op_sel:[0,1,0]
	ds_read2_b64 v[72:75], v42 offset0:192 offset1:224
	s_waitcnt lgkmcnt(0)
	s_barrier
	s_load_dword s40, s[12:13], 0x4
	v_pk_fma_f16 v49, v52, v68, v49 op_sel_hi:[1,0,1]
	v_pk_fma_f16 v51, v52, v68, v51 op_sel:[0,1,0]
	v_pk_fma_f16 v76, v52, v69, v76 op_sel_hi:[1,0,1]
	v_pk_fma_f16 v44, v52, v69, v44 op_sel:[0,1,0]
	s_waitcnt lgkmcnt(0)
	s_lshl_b32 s40, s40, 5
	v_pk_fma_f16 v52, v53, v68, v56 op_sel_hi:[1,0,1]
	v_pk_fma_f16 v56, v53, v68, v57 op_sel:[0,1,0]
	v_pk_fma_f16 v77, v53, v69, v77 op_sel_hi:[1,0,1]
	v_pk_fma_f16 v81, v53, v69, v45 op_sel:[0,1,0]
	;; [unrolled: 2-line block ×6, first 2 shown]
	s_add_i32 s18, s40, s18
	v_pk_fma_f16 v54, v72, v70, v49 op_sel_hi:[1,0,1]
	v_pk_fma_f16 v49, v72, v70, v51 op_sel:[0,1,0]
	v_pk_fma_f16 v45, v72, v71, v76 op_sel_hi:[1,0,1]
	v_pk_fma_f16 v44, v72, v71, v44 op_sel:[0,1,0]
	;; [unrolled: 2-line block ×7, first 2 shown]
	v_pk_fma_f16 v47, v75, v71, v83 op_sel_hi:[1,0,1]
	s_cmp_lt_i32 s18, s20
	v_pk_fma_f16 v40, v75, v71, v69 op_sel:[0,1,0]
	s_cbranch_scc0 .LBB42_20
; %bb.18:                               ;   in Loop: Header=BB42_8 Depth=1
	v_mov_b32_e32 v68, v6
	v_mov_b32_e32 v69, v7
	;; [unrolled: 1-line block ×4, first 2 shown]
	s_branch .LBB42_8
.LBB42_19:
	s_mov_b32 s41, s40
	s_mov_b32 s42, s40
	;; [unrolled: 1-line block ×3, first 2 shown]
	v_pk_mov_b32 v[6:7], s[40:41], s[40:41] op_sel:[0,1]
	v_pk_mov_b32 v[8:9], s[42:43], s[42:43] op_sel:[0,1]
	v_mov_b32_e32 v4, v5
	v_mov_b32_e32 v3, v5
	;; [unrolled: 1-line block ×18, first 2 shown]
.LBB42_20:
	s_cmp_gt_i32 s46, s18
	s_cbranch_scc1 .LBB42_22
; %bb.21:
	v_mbcnt_hi_u32_b32 v60, -1, v58
	v_and_b32_e32 v11, 0x60, v60
	v_add_u32_e32 v61, 32, v11
	v_xor_b32_e32 v64, 16, v60
	v_xor_b32_e32 v65, 8, v60
	;; [unrolled: 1-line block ×5, first 2 shown]
	s_cbranch_execz .LBB42_23
	s_branch .LBB42_43
.LBB42_22:
                                        ; implicit-def: $vgpr60
                                        ; implicit-def: $vgpr61
                                        ; implicit-def: $vgpr64
                                        ; implicit-def: $vgpr65
                                        ; implicit-def: $vgpr66
                                        ; implicit-def: $vgpr63
                                        ; implicit-def: $vgpr62
.LBB42_23:
	s_mul_hi_i32 s9, s18, s14
	s_mul_i32 s8, s18, s14
	v_lshl_add_u32 v1, v37, 1, v1
	s_sub_i32 s20, s46, s18
	s_lshl_b64 s[8:9], s[8:9], 2
	v_lshlrev_b32_e32 v12, 2, v10
	v_mul_lo_u32 v10, s14, v1
	s_add_u32 s12, s15, s8
	v_ashrrev_i32_e32 v11, 31, v10
	s_addc_u32 s13, s19, s9
	v_lshlrev_b64 v[14:15], 2, v[10:11]
	v_mov_b32_e32 v11, s13
	v_add_co_u32_e32 v14, vcc, s12, v14
	v_addc_co_u32_e32 v11, vcc, v11, v15, vcc
	s_mov_b64 s[8:9], src_private_base
	v_add_co_u32_e32 v60, vcc, v14, v12
	v_mov_b32_e32 v13, 0
	v_addc_co_u32_e32 v61, vcc, 0, v11, vcc
	v_mov_b32_e32 v19, s9
	v_cmp_gt_i32_e64 s[8:9], s20, v1
	v_mov_b32_e32 v20, 0
	buffer_store_dword v13, off, s[0:3], 0
	buffer_store_dword v13, off, s[0:3], 0 offset:8
	buffer_store_dword v13, off, s[0:3], 0 offset:4
	;; [unrolled: 1-line block ×3, first 2 shown]
	v_cndmask_b32_e64 v15, v19, v61, s[8:9]
	v_cndmask_b32_e64 v14, v20, v60, s[8:9]
	flat_load_dwordx4 v[14:17], v[14:15]
	v_lshl_add_u32 v10, s14, 4, v10
	v_ashrrev_i32_e32 v11, 31, v10
	v_lshlrev_b64 v[10:11], 2, v[10:11]
	v_mov_b32_e32 v21, s13
	v_add_co_u32_e32 v10, vcc, s12, v10
	v_addc_co_u32_e32 v11, vcc, v21, v11, vcc
	s_movk_i32 s15, 0x110
	v_add_co_u32_e32 v21, vcc, v10, v12
	v_mad_u32_u24 v18, v1, s15, v12
	v_add_u32_e32 v1, 16, v1
	v_addc_co_u32_e32 v26, vcc, 0, v11, vcc
	v_cmp_gt_i32_e32 vcc, s20, v1
	v_cndmask_b32_e32 v11, v19, v26, vcc
	v_cndmask_b32_e32 v10, v20, v21, vcc
	buffer_store_dword v13, off, s[0:3], 0
	buffer_store_dword v13, off, s[0:3], 0 offset:8
	buffer_store_dword v13, off, s[0:3], 0 offset:4
	;; [unrolled: 1-line block ×3, first 2 shown]
	v_mul_u32_u24_e32 v23, 0x110, v34
	v_mov_b32_e32 v12, 0
	v_mov_b32_e32 v1, 0
	s_movk_i32 s14, 0x100
	v_add_co_u32_e64 v78, s[12:13], s14, v60
	v_addc_co_u32_e64 v79, s[12:13], 0, v61, s[12:13]
	s_cmp_lg_u64 s[44:45], 0
	s_cselect_b64 s[12:13], -1, 0
	s_waitcnt vmcnt(0) lgkmcnt(0)
	ds_write_b128 v18, v[14:17] offset:16384
	flat_load_dwordx4 v[14:17], v[10:11]
	v_mov_b32_e32 v10, 0
	v_mov_b32_e32 v11, 0
	s_waitcnt vmcnt(0) lgkmcnt(0)
	ds_write_b128 v18, v[14:17] offset:20736
	s_waitcnt lgkmcnt(0)
	s_barrier
	ds_read_b128 v[14:17], v23 offset:16384
	ds_read_b128 v[62:65], v59
	ds_read_b128 v[66:69], v59 offset:512
	ds_read_b128 v[70:73], v59 offset:1024
	ds_read_b128 v[74:77], v59 offset:1536
	s_waitcnt lgkmcnt(3)
	;;#ASMSTART
	v_dot2_f32_f16 v12, v14, v62, v12
	;;#ASMEND
	;;#ASMSTART
	v_dot2_f32_f16 v12, v15, v63, v12
	;;#ASMEND
	;;#ASMSTART
	v_dot2_f32_f16 v12, v16, v64, v12
	;;#ASMEND
	;;#ASMSTART
	v_dot2_f32_f16 v12, v17, v65, v12
	;;#ASMEND
	s_waitcnt lgkmcnt(2)
	;;#ASMSTART
	v_dot2_f32_f16 v1, v14, v66, v1
	;;#ASMEND
	;;#ASMSTART
	v_dot2_f32_f16 v1, v15, v67, v1
	;;#ASMEND
	;;#ASMSTART
	v_dot2_f32_f16 v1, v16, v68, v1
	;;#ASMEND
	;;#ASMSTART
	v_dot2_f32_f16 v1, v17, v69, v1
	;;#ASMEND
	s_waitcnt lgkmcnt(1)
	;;#ASMSTART
	v_dot2_f32_f16 v10, v14, v70, v10
	;;#ASMEND
	;;#ASMSTART
	v_dot2_f32_f16 v10, v15, v71, v10
	;;#ASMEND
	;;#ASMSTART
	v_dot2_f32_f16 v10, v16, v72, v10
	;;#ASMEND
	;;#ASMSTART
	v_dot2_f32_f16 v10, v17, v73, v10
	;;#ASMEND
	s_waitcnt lgkmcnt(0)
	;;#ASMSTART
	v_dot2_f32_f16 v11, v14, v74, v11
	;;#ASMEND
	;;#ASMSTART
	v_dot2_f32_f16 v11, v15, v75, v11
	;;#ASMEND
	;;#ASMSTART
	v_dot2_f32_f16 v11, v16, v76, v11
	;;#ASMEND
	;;#ASMSTART
	v_dot2_f32_f16 v11, v17, v77, v11
	;;#ASMEND
	ds_read_b128 v[14:17], v23 offset:16400
	ds_read_b128 v[62:65], v59 offset:16
	ds_read_b128 v[66:69], v59 offset:528
	ds_read_b128 v[70:73], v59 offset:1040
	ds_read_b128 v[74:77], v59 offset:1552
	s_waitcnt lgkmcnt(3)
	;;#ASMSTART
	v_dot2_f32_f16 v12, v14, v62, v12
	;;#ASMEND
	;;#ASMSTART
	v_dot2_f32_f16 v12, v15, v63, v12
	;;#ASMEND
	;;#ASMSTART
	v_dot2_f32_f16 v12, v16, v64, v12
	;;#ASMEND
	;;#ASMSTART
	v_dot2_f32_f16 v12, v17, v65, v12
	;;#ASMEND
	s_waitcnt lgkmcnt(2)
	;;#ASMSTART
	v_dot2_f32_f16 v1, v14, v66, v1
	;;#ASMEND
	;;#ASMSTART
	v_dot2_f32_f16 v1, v15, v67, v1
	;;#ASMEND
	;;#ASMSTART
	v_dot2_f32_f16 v1, v16, v68, v1
	;;#ASMEND
	;;#ASMSTART
	v_dot2_f32_f16 v1, v17, v69, v1
	;;#ASMEND
	s_waitcnt lgkmcnt(1)
	;;#ASMSTART
	v_dot2_f32_f16 v10, v14, v70, v10
	;;#ASMEND
	;;#ASMSTART
	v_dot2_f32_f16 v10, v15, v71, v10
	;;#ASMEND
	;;#ASMSTART
	v_dot2_f32_f16 v10, v16, v72, v10
	;;#ASMEND
	;;#ASMSTART
	v_dot2_f32_f16 v10, v17, v73, v10
	;;#ASMEND
	s_waitcnt lgkmcnt(0)
	;;#ASMSTART
	v_dot2_f32_f16 v11, v14, v74, v11
	;;#ASMEND
	;;#ASMSTART
	v_dot2_f32_f16 v11, v15, v75, v11
	;;#ASMEND
	;;#ASMSTART
	v_dot2_f32_f16 v11, v16, v76, v11
	;;#ASMEND
	;;#ASMSTART
	v_dot2_f32_f16 v11, v17, v77, v11
	;;#ASMEND
	ds_read_b128 v[14:17], v23 offset:16416
	ds_read_b128 v[62:65], v59 offset:32
	;; [unrolled: 57-line block ×15, first 2 shown]
	ds_read_b128 v[64:67], v59 offset:752
	ds_read_b128 v[68:71], v59 offset:1264
	;; [unrolled: 1-line block ×3, first 2 shown]
	s_waitcnt lgkmcnt(3)
	;;#ASMSTART
	v_dot2_f32_f16 v12, v14, v60, v12
	;;#ASMEND
	;;#ASMSTART
	v_dot2_f32_f16 v12, v15, v61, v12
	;;#ASMEND
	;;#ASMSTART
	v_dot2_f32_f16 v12, v16, v62, v12
	;;#ASMEND
	;;#ASMSTART
	v_dot2_f32_f16 v12, v17, v63, v12
	;;#ASMEND
	s_waitcnt lgkmcnt(2)
	;;#ASMSTART
	v_dot2_f32_f16 v1, v14, v64, v1
	;;#ASMEND
	;;#ASMSTART
	v_dot2_f32_f16 v1, v15, v65, v1
	;;#ASMEND
	;;#ASMSTART
	v_dot2_f32_f16 v1, v16, v66, v1
	;;#ASMEND
	;;#ASMSTART
	v_dot2_f32_f16 v1, v17, v67, v1
	;;#ASMEND
	;; [unrolled: 13-line block ×3, first 2 shown]
	s_waitcnt lgkmcnt(0)
	;;#ASMSTART
	v_dot2_f32_f16 v11, v14, v72, v11
	;;#ASMEND
	;;#ASMSTART
	v_dot2_f32_f16 v11, v15, v73, v11
	;;#ASMEND
	;; [unrolled: 3-line block ×3, first 2 shown]
	v_cndmask_b32_e64 v76, v20, v78, s[8:9]
	v_cndmask_b32_e64 v77, v19, v79, s[8:9]
	;;#ASMSTART
	v_dot2_f32_f16 v11, v17, v75, v11
	;;#ASMEND
	s_barrier
	buffer_store_dword v13, off, s[0:3], 0
	buffer_store_dword v13, off, s[0:3], 0 offset:8
	buffer_store_dword v13, off, s[0:3], 0 offset:4
	;; [unrolled: 1-line block ×3, first 2 shown]
	flat_load_dwordx4 v[14:17], v[76:77]
	v_add_co_u32_e64 v60, s[8:9], s14, v21
	v_addc_co_u32_e64 v21, s[8:9], 0, v26, s[8:9]
	v_cndmask_b32_e32 v21, v19, v21, vcc
	v_cndmask_b32_e32 v20, v20, v60, vcc
	buffer_store_dword v13, off, s[0:3], 0
	buffer_store_dword v13, off, s[0:3], 0 offset:8
	buffer_store_dword v13, off, s[0:3], 0 offset:4
	;; [unrolled: 1-line block ×3, first 2 shown]
	v_add_u32_e32 v26, s18, v34
	v_cmp_gt_i32_e64 s[8:9], s20, v34
	s_waitcnt vmcnt(0) lgkmcnt(0)
	ds_write_b128 v18, v[14:17] offset:16384
	flat_load_dwordx4 v[14:17], v[20:21]
	s_waitcnt vmcnt(0) lgkmcnt(0)
	ds_write_b128 v18, v[14:17] offset:20736
	s_waitcnt lgkmcnt(0)
	s_barrier
	ds_read_b128 v[14:17], v23 offset:16384
	ds_read_b128 v[18:21], v59 offset:256
	ds_read_b128 v[60:63], v59 offset:768
	ds_read_b128 v[64:67], v59 offset:1280
	ds_read_b128 v[68:71], v59 offset:1792
	s_waitcnt lgkmcnt(3)
	;;#ASMSTART
	v_dot2_f32_f16 v12, v14, v18, v12
	;;#ASMEND
	;;#ASMSTART
	v_dot2_f32_f16 v12, v15, v19, v12
	;;#ASMEND
	;;#ASMSTART
	v_dot2_f32_f16 v12, v16, v20, v12
	;;#ASMEND
	;;#ASMSTART
	v_dot2_f32_f16 v12, v17, v21, v12
	;;#ASMEND
	s_waitcnt lgkmcnt(2)
	;;#ASMSTART
	v_dot2_f32_f16 v1, v14, v60, v1
	;;#ASMEND
	;;#ASMSTART
	v_dot2_f32_f16 v1, v15, v61, v1
	;;#ASMEND
	;;#ASMSTART
	v_dot2_f32_f16 v1, v16, v62, v1
	;;#ASMEND
	;;#ASMSTART
	v_dot2_f32_f16 v1, v17, v63, v1
	;;#ASMEND
	s_waitcnt lgkmcnt(1)
	;;#ASMSTART
	v_dot2_f32_f16 v10, v14, v64, v10
	;;#ASMEND
	;;#ASMSTART
	v_dot2_f32_f16 v10, v15, v65, v10
	;;#ASMEND
	;;#ASMSTART
	v_dot2_f32_f16 v10, v16, v66, v10
	;;#ASMEND
	;;#ASMSTART
	v_dot2_f32_f16 v10, v17, v67, v10
	;;#ASMEND
	s_waitcnt lgkmcnt(0)
	;;#ASMSTART
	v_dot2_f32_f16 v11, v14, v68, v11
	;;#ASMEND
	;;#ASMSTART
	v_dot2_f32_f16 v11, v15, v69, v11
	;;#ASMEND
	;;#ASMSTART
	v_dot2_f32_f16 v11, v16, v70, v11
	;;#ASMEND
	;;#ASMSTART
	v_dot2_f32_f16 v11, v17, v71, v11
	;;#ASMEND
	ds_read_b128 v[14:17], v23 offset:16400
	ds_read_b128 v[18:21], v59 offset:272
	ds_read_b128 v[60:63], v59 offset:784
	ds_read_b128 v[64:67], v59 offset:1296
	ds_read_b128 v[68:71], v59 offset:1808
	s_waitcnt lgkmcnt(3)
	;;#ASMSTART
	v_dot2_f32_f16 v12, v14, v18, v12
	;;#ASMEND
	;;#ASMSTART
	v_dot2_f32_f16 v12, v15, v19, v12
	;;#ASMEND
	;;#ASMSTART
	v_dot2_f32_f16 v12, v16, v20, v12
	;;#ASMEND
	;;#ASMSTART
	v_dot2_f32_f16 v12, v17, v21, v12
	;;#ASMEND
	s_waitcnt lgkmcnt(2)
	;;#ASMSTART
	v_dot2_f32_f16 v1, v14, v60, v1
	;;#ASMEND
	;;#ASMSTART
	v_dot2_f32_f16 v1, v15, v61, v1
	;;#ASMEND
	;;#ASMSTART
	v_dot2_f32_f16 v1, v16, v62, v1
	;;#ASMEND
	;;#ASMSTART
	v_dot2_f32_f16 v1, v17, v63, v1
	;;#ASMEND
	s_waitcnt lgkmcnt(1)
	;;#ASMSTART
	v_dot2_f32_f16 v10, v14, v64, v10
	;;#ASMEND
	;;#ASMSTART
	v_dot2_f32_f16 v10, v15, v65, v10
	;;#ASMEND
	;;#ASMSTART
	v_dot2_f32_f16 v10, v16, v66, v10
	;;#ASMEND
	;;#ASMSTART
	v_dot2_f32_f16 v10, v17, v67, v10
	;;#ASMEND
	s_waitcnt lgkmcnt(0)
	;;#ASMSTART
	v_dot2_f32_f16 v11, v14, v68, v11
	;;#ASMEND
	;;#ASMSTART
	v_dot2_f32_f16 v11, v15, v69, v11
	;;#ASMEND
	;;#ASMSTART
	v_dot2_f32_f16 v11, v16, v70, v11
	;;#ASMEND
	;;#ASMSTART
	v_dot2_f32_f16 v11, v17, v71, v11
	;;#ASMEND
	;; [unrolled: 57-line block ×15, first 2 shown]
	ds_read_b128 v[18:21], v23 offset:16624
	ds_read_b128 v[60:63], v59 offset:496
	;; [unrolled: 1-line block ×5, first 2 shown]
	s_waitcnt lgkmcnt(3)
	;;#ASMSTART
	v_dot2_f32_f16 v12, v18, v60, v12
	;;#ASMEND
	;;#ASMSTART
	v_dot2_f32_f16 v12, v19, v61, v12
	;;#ASMEND
	;; [unrolled: 3-line block ×4, first 2 shown]
	s_waitcnt lgkmcnt(2)
	;;#ASMSTART
	v_dot2_f32_f16 v1, v18, v64, v1
	;;#ASMEND
	;;#ASMSTART
	v_dot2_f32_f16 v1, v19, v65, v1
	;;#ASMEND
	;; [unrolled: 3-line block ×4, first 2 shown]
	s_waitcnt lgkmcnt(1)
	;;#ASMSTART
	v_dot2_f32_f16 v10, v18, v68, v10
	;;#ASMEND
	;;#ASMSTART
	v_dot2_f32_f16 v10, v19, v69, v10
	;;#ASMEND
	v_pk_mov_b32 v[16:17], v[8:9], v[8:9] op_sel:[0,1]
	;;#ASMSTART
	v_dot2_f32_f16 v10, v20, v70, v10
	;;#ASMEND
	v_pk_mov_b32 v[14:15], v[6:7], v[6:7] op_sel:[0,1]
	;;#ASMSTART
	v_dot2_f32_f16 v10, v21, v71, v10
	;;#ASMEND
	s_waitcnt lgkmcnt(0)
	;;#ASMSTART
	v_dot2_f32_f16 v11, v18, v72, v11
	;;#ASMEND
	v_cndmask_b32_e64 v14, 0, 1, s[12:13]
	;;#ASMSTART
	v_dot2_f32_f16 v11, v19, v73, v11
	;;#ASMEND
	v_cmp_ne_u32_e64 s[12:13], 1, v14
	;;#ASMSTART
	v_dot2_f32_f16 v11, v20, v74, v11
	;;#ASMEND
	v_mov_b32_e32 v18, v6
	;;#ASMSTART
	v_dot2_f32_f16 v11, v21, v75, v11
	;;#ASMEND
	s_and_saveexec_b64 s[14:15], s[8:9]
	s_cbranch_execz .LBB42_27
; %bb.24:
	s_and_b64 vcc, exec, s[12:13]
	s_cbranch_vccnz .LBB42_26
; %bb.25:
	v_mad_u64_u32 v[14:15], s[26:27], v50, s23, v[26:27]
	v_ashrrev_i32_e32 v15, 31, v14
	v_lshlrev_b64 v[14:15], 1, v[14:15]
	v_mov_b32_e32 v13, s45
	v_add_co_u32_e32 v14, vcc, s44, v14
	v_addc_co_u32_e32 v15, vcc, v13, v15, vcc
	flat_load_ushort v13, v[14:15]
	s_waitcnt vmcnt(0) lgkmcnt(0)
	v_cvt_f32_f16_e32 v13, v13
	v_mul_f32_e32 v13, v41, v13
.LBB42_26:
	v_add_f32_e32 v12, v12, v13
	v_add_f32_e32 v13, 0x40051340, v12
	v_max_f32_e32 v14, v6, v6
	v_max_f32_e32 v18, v14, v13
	v_pk_mov_b32 v[16:17], v[8:9], v[8:9] op_sel:[0,1]
	v_pk_mov_b32 v[14:15], v[6:7], v[6:7] op_sel:[0,1]
                                        ; kill: def $vgpr14 killed $vgpr18 killed $exec
.LBB42_27:
	s_or_b64 exec, exec, s[14:15]
	v_mbcnt_hi_u32_b32 v60, -1, v58
	v_and_b32_e32 v13, 0x60, v60
	v_add_u32_e32 v61, 32, v13
	v_xor_b32_e32 v64, 16, v60
	v_cmp_lt_i32_e32 vcc, v64, v61
	v_cndmask_b32_e32 v13, v60, v64, vcc
	v_lshlrev_b32_e32 v20, 2, v13
	ds_bpermute_b32 v13, v20, v18
	v_xor_b32_e32 v65, 8, v60
	v_cmp_lt_i32_e32 vcc, v65, v61
	v_cndmask_b32_e32 v14, v60, v65, vcc
	v_lshlrev_b32_e32 v21, 2, v14
	s_waitcnt lgkmcnt(0)
	v_max_f32_e32 v13, v13, v13
	v_max_f32_e32 v14, v18, v18
	;; [unrolled: 1-line block ×3, first 2 shown]
	ds_bpermute_b32 v14, v21, v13
	v_xor_b32_e32 v66, 4, v60
	v_cmp_lt_i32_e32 vcc, v66, v61
	v_cndmask_b32_e32 v18, v60, v66, vcc
	v_lshlrev_b32_e32 v19, 2, v18
	s_waitcnt lgkmcnt(0)
	v_max_f32_e32 v14, v14, v14
	v_max_f32_e32 v14, v13, v14
	ds_bpermute_b32 v18, v19, v14
	v_xor_b32_e32 v63, 2, v60
	v_cmp_lt_i32_e32 vcc, v63, v61
	v_cndmask_b32_e32 v13, v60, v63, vcc
	v_lshlrev_b32_e32 v13, 2, v13
	s_waitcnt lgkmcnt(0)
	v_max_f32_e32 v18, v18, v18
	v_max_f32_e32 v14, v14, v18
	ds_bpermute_b32 v23, v13, v14
	v_xor_b32_e32 v62, 1, v60
	v_cmp_lt_i32_e32 vcc, v62, v61
	v_cndmask_b32_e32 v18, v60, v62, vcc
	v_lshlrev_b32_e32 v18, 2, v18
	s_waitcnt lgkmcnt(0)
	v_max_f32_e32 v23, v23, v23
	v_max_f32_e32 v14, v14, v23
	ds_bpermute_b32 v23, v18, v14
	s_waitcnt lgkmcnt(0)
	v_max_f32_e32 v23, v23, v23
	v_max_f32_e32 v14, v14, v23
	s_and_saveexec_b64 s[14:15], s[8:9]
	s_cbranch_execz .LBB42_32
; %bb.28:
	s_and_b64 vcc, exec, s[12:13]
	s_cbranch_vccnz .LBB42_30
; %bb.29:
	v_or_b32_e32 v23, 1, v36
	v_mul_hi_u32 v50, s36, v23
	v_add_u32_e32 v50, v23, v50
	v_lshrrev_b32_e32 v50, s37, v50
	v_mul_lo_u32 v50, v50, s38
	v_sub_u32_e32 v23, v23, v50
	v_mad_u64_u32 v[58:59], s[26:27], v23, s23, v[26:27]
	v_ashrrev_i32_e32 v59, 31, v58
	v_lshlrev_b64 v[58:59], 1, v[58:59]
	v_mov_b32_e32 v23, s45
	v_add_co_u32_e32 v58, vcc, s44, v58
	v_addc_co_u32_e32 v59, vcc, v23, v59, vcc
	flat_load_ushort v23, v[58:59]
	s_waitcnt vmcnt(0) lgkmcnt(0)
	v_cvt_f32_f16_e32 v23, v23
	v_mul_f32_e32 v23, v41, v23
	s_branch .LBB42_31
.LBB42_30:
	v_mov_b32_e32 v23, 0
.LBB42_31:
	v_add_f32_e32 v1, v1, v23
	v_add_f32_e32 v23, 0x40051340, v1
	v_max_f32_e32 v15, v15, v15
	v_max_f32_e32 v15, v15, v23
.LBB42_32:
	s_or_b64 exec, exec, s[14:15]
	ds_bpermute_b32 v23, v20, v15
	v_max_f32_e32 v15, v15, v15
	s_waitcnt lgkmcnt(0)
	v_max_f32_e32 v23, v23, v23
	v_max_f32_e32 v15, v15, v23
	ds_bpermute_b32 v23, v21, v15
	s_waitcnt lgkmcnt(0)
	v_max_f32_e32 v23, v23, v23
	v_max_f32_e32 v15, v15, v23
	ds_bpermute_b32 v23, v19, v15
	;; [unrolled: 4-line block ×4, first 2 shown]
	s_waitcnt lgkmcnt(0)
	v_max_f32_e32 v23, v23, v23
	v_max_f32_e32 v15, v15, v23
	s_and_saveexec_b64 s[14:15], s[8:9]
	s_cbranch_execz .LBB42_37
; %bb.33:
	s_and_b64 vcc, exec, s[12:13]
	s_cbranch_vccnz .LBB42_35
; %bb.34:
	v_or_b32_e32 v23, 2, v36
	v_mul_hi_u32 v50, s36, v23
	v_add_u32_e32 v50, v23, v50
	v_lshrrev_b32_e32 v50, s37, v50
	v_mul_lo_u32 v50, v50, s38
	v_sub_u32_e32 v23, v23, v50
	v_mad_u64_u32 v[58:59], s[26:27], v23, s23, v[26:27]
	v_ashrrev_i32_e32 v59, 31, v58
	v_lshlrev_b64 v[58:59], 1, v[58:59]
	v_mov_b32_e32 v23, s45
	v_add_co_u32_e32 v58, vcc, s44, v58
	v_addc_co_u32_e32 v59, vcc, v23, v59, vcc
	flat_load_ushort v23, v[58:59]
	s_waitcnt vmcnt(0) lgkmcnt(0)
	v_cvt_f32_f16_e32 v23, v23
	v_mul_f32_e32 v23, v41, v23
	s_branch .LBB42_36
.LBB42_35:
	v_mov_b32_e32 v23, 0
.LBB42_36:
	v_add_f32_e32 v10, v10, v23
	v_add_f32_e32 v23, 0x40051340, v10
	v_max_f32_e32 v16, v16, v16
	v_max_f32_e32 v16, v16, v23
.LBB42_37:
	s_or_b64 exec, exec, s[14:15]
	ds_bpermute_b32 v23, v20, v16
	v_max_f32_e32 v16, v16, v16
	s_waitcnt lgkmcnt(0)
	v_max_f32_e32 v23, v23, v23
	v_max_f32_e32 v16, v16, v23
	ds_bpermute_b32 v23, v21, v16
	s_waitcnt lgkmcnt(0)
	v_max_f32_e32 v23, v23, v23
	v_max_f32_e32 v16, v16, v23
	ds_bpermute_b32 v23, v19, v16
	;; [unrolled: 4-line block ×4, first 2 shown]
	s_waitcnt lgkmcnt(0)
	v_max_f32_e32 v23, v23, v23
	v_max_f32_e32 v16, v16, v23
	s_and_saveexec_b64 s[14:15], s[8:9]
	s_cbranch_execz .LBB42_42
; %bb.38:
	s_and_b64 vcc, exec, s[12:13]
	s_cbranch_vccnz .LBB42_40
; %bb.39:
	v_or_b32_e32 v23, 3, v36
	v_mul_hi_u32 v50, s36, v23
	v_add_u32_e32 v50, v23, v50
	v_lshrrev_b32_e32 v50, s37, v50
	v_mul_lo_u32 v50, v50, s38
	v_sub_u32_e32 v23, v23, v50
	v_mad_u64_u32 v[58:59], s[8:9], v23, s23, v[26:27]
	v_ashrrev_i32_e32 v59, 31, v58
	v_lshlrev_b64 v[58:59], 1, v[58:59]
	v_mov_b32_e32 v23, s45
	v_add_co_u32_e32 v58, vcc, s44, v58
	v_addc_co_u32_e32 v59, vcc, v23, v59, vcc
	flat_load_ushort v23, v[58:59]
	s_waitcnt vmcnt(0) lgkmcnt(0)
	v_cvt_f32_f16_e32 v23, v23
	v_mul_f32_e32 v23, v41, v23
	s_branch .LBB42_41
.LBB42_40:
	v_mov_b32_e32 v23, 0
.LBB42_41:
	v_add_f32_e32 v11, v11, v23
	v_add_f32_e32 v23, 0x40051340, v11
	v_max_f32_e32 v17, v17, v17
	v_max_f32_e32 v17, v17, v23
.LBB42_42:
	s_or_b64 exec, exec, s[14:15]
	ds_bpermute_b32 v20, v20, v17
	v_max_f32_e32 v17, v17, v17
	s_load_dwordx2 s[4:5], s[4:5], 0x4
	v_sub_f32_e32 v12, v12, v14
	s_mov_b32 s8, 0x3fb8aa3b
	s_waitcnt lgkmcnt(0)
	v_max_f32_e32 v20, v20, v20
	v_max_f32_e32 v17, v17, v20
	ds_bpermute_b32 v20, v21, v17
	s_lshr_b32 s4, s4, 16
	s_mul_i32 s4, s4, s5
	v_bfe_u32 v0, v0, 20, 10
	s_mov_b32 s12, 0xc2ce8ed0
	s_waitcnt lgkmcnt(0)
	v_max_f32_e32 v20, v20, v20
	v_max_f32_e32 v17, v17, v20
	ds_bpermute_b32 v19, v19, v17
	v_mul_f32_e32 v20, 0x3fb8aa3b, v12
	v_fma_f32 v21, v12, s8, -v20
	v_rndne_f32_e32 v23, v20
	v_fmac_f32_e32 v21, 0x32a5705f, v12
	s_waitcnt lgkmcnt(0)
	v_max_f32_e32 v19, v19, v19
	v_max_f32_e32 v17, v17, v19
	ds_bpermute_b32 v13, v13, v17
	v_sub_f32_e32 v19, v20, v23
	v_add_f32_e32 v19, v19, v21
	s_mov_b32 s9, 0x42b17218
	v_cmp_ngt_f32_e32 vcc, s12, v12
	s_waitcnt lgkmcnt(0)
	v_max_f32_e32 v13, v13, v13
	v_max_f32_e32 v13, v17, v13
	ds_bpermute_b32 v17, v18, v13
	v_mul_lo_u32 v18, s4, v34
	v_mad_u32_u24 v18, v37, s5, v18
	v_add_lshl_u32 v50, v18, v0, 4
	v_sub_f32_e32 v1, v1, v15
	s_waitcnt lgkmcnt(0)
	v_max_f32_e32 v0, v17, v17
	v_max_f32_e32 v17, v13, v0
	v_exp_f32_e32 v0, v19
	v_cvt_i32_f32_e32 v13, v23
	v_sub_f32_e32 v10, v10, v16
	v_cmp_ngt_f32_e64 s[4:5], s12, v1
	v_mov_b32_e32 v72, 0x7f800000
	v_ldexp_f32 v0, v0, v13
	v_cndmask_b32_e32 v0, 0, v0, vcc
	v_cmp_nlt_f32_e32 vcc, s9, v12
	v_mul_f32_e32 v12, 0x3fb8aa3b, v1
	v_fma_f32 v13, v1, s8, -v12
	v_rndne_f32_e32 v18, v12
	v_fmac_f32_e32 v13, 0x32a5705f, v1
	v_sub_f32_e32 v12, v12, v18
	v_add_f32_e32 v12, v12, v13
	v_exp_f32_e32 v12, v12
	v_cvt_i32_f32_e32 v13, v18
	v_cndmask_b32_e32 v0, v72, v0, vcc
	v_cmp_gt_u32_e32 vcc, s20, v34
	v_sub_f32_e32 v11, v11, v17
	v_ldexp_f32 v12, v12, v13
	v_mul_f32_e32 v13, 0x3fb8aa3b, v10
	v_fma_f32 v19, v10, s8, -v13
	v_rndne_f32_e32 v20, v13
	v_fmac_f32_e32 v19, 0x32a5705f, v10
	v_sub_f32_e32 v13, v13, v20
	v_add_f32_e32 v13, v13, v19
	v_exp_f32_e32 v13, v13
	v_cvt_i32_f32_e32 v20, v20
	v_cndmask_b32_e64 v12, 0, v12, s[4:5]
	v_cmp_nlt_f32_e64 s[4:5], s9, v1
	v_cndmask_b32_e64 v1, v72, v12, s[4:5]
	v_cndmask_b32_e32 v19, 0, v1, vcc
	v_ldexp_f32 v1, v13, v20
	v_mul_f32_e32 v13, 0x3fb8aa3b, v11
	v_fma_f32 v20, v11, s8, -v13
	v_rndne_f32_e32 v21, v13
	v_fmac_f32_e32 v20, 0x32a5705f, v11
	v_sub_f32_e32 v13, v13, v21
	v_add_f32_e32 v13, v13, v20
	v_exp_f32_e32 v13, v13
	v_cvt_i32_f32_e32 v21, v21
	v_cmp_ngt_f32_e64 s[4:5], s12, v10
	v_cndmask_b32_e64 v1, 0, v1, s[4:5]
	v_cmp_nlt_f32_e64 s[4:5], s9, v10
	v_cndmask_b32_e64 v1, v72, v1, s[4:5]
	v_ldexp_f32 v10, v13, v21
	v_cmp_ngt_f32_e64 s[4:5], s12, v11
	v_cndmask_b32_e64 v10, 0, v10, s[4:5]
	v_cmp_nlt_f32_e64 s[4:5], s9, v11
	v_cndmask_b32_e64 v10, v72, v10, s[4:5]
	v_cndmask_b32_e32 v18, 0, v0, vcc
	v_cndmask_b32_e32 v20, 0, v1, vcc
	;; [unrolled: 1-line block ×3, first 2 shown]
	v_cvt_f16_f32_e32 v0, v18
	v_cvt_f16_f32_e32 v12, v19
	;; [unrolled: 1-line block ×4, first 2 shown]
	v_lshlrev_b32_e32 v26, 8, v37
	s_movk_i32 s4, 0x6200
	s_mul_hi_i32 s15, s18, s10
	s_mul_i32 s14, s18, s10
	v_add3_u32 v11, v26, s4, v39
	s_mov_b64 s[4:5], src_shared_base
	s_lshl_b64 s[14:15], s[14:15], 2
	s_add_u32 s4, s16, s14
	v_pack_b32_f16 v1, v1, v10
	v_pack_b32_f16 v0, v0, v12
	s_addc_u32 s13, s17, s15
	v_lshlrev_b64 v[12:13], 2, v[24:25]
	s_barrier
	ds_write_b64 v11, v[0:1]
	v_mov_b32_e32 v0, s13
	v_add_co_u32_e32 v1, vcc, s4, v12
	v_addc_co_u32_e32 v0, vcc, v0, v13, vcc
	v_add_co_u32_e32 v10, vcc, v1, v38
	v_addc_co_u32_e32 v0, vcc, 0, v0, vcc
	v_add_u32_e32 v41, 0x6a00, v50
	v_mov_b32_e32 v59, 0
	v_mov_b32_e32 v24, s5
	v_cmp_gt_i32_e32 vcc, s20, v37
	v_add_u32_e32 v58, 0x6a04, v50
	ds_write_b32 v50, v59 offset:27136
	ds_write2_b32 v58, v59, v59 offset1:1
	ds_write_b32 v50, v59 offset:27148
	v_cndmask_b32_e32 v1, v24, v0, vcc
	v_cndmask_b32_e32 v0, v41, v10, vcc
	flat_load_dwordx4 v[68:71], v[0:1]
	v_ashrrev_i32_e32 v23, 31, v22
	v_lshlrev_b64 v[10:11], 2, v[22:23]
	v_mov_b32_e32 v0, s13
	v_add_co_u32_e32 v1, vcc, s4, v10
	v_addc_co_u32_e32 v0, vcc, v0, v11, vcc
	v_add_co_u32_e32 v22, vcc, v1, v38
	v_add_u32_e32 v25, 8, v37
	v_addc_co_u32_e32 v0, vcc, 0, v0, vcc
	v_cmp_gt_i32_e32 vcc, s20, v25
	v_lshl_add_u32 v67, v37, 9, v38
	v_cndmask_b32_e32 v1, v24, v0, vcc
	v_cndmask_b32_e32 v0, v41, v22, vcc
	v_sub_f32_e32 v6, v6, v14
	v_cmp_ngt_f32_e32 vcc, s12, v6
	s_or_b32 s4, s18, 16
	s_mul_hi_i32 s5, s4, s10
	s_mul_i32 s4, s4, s10
	s_lshl_b64 s[4:5], s[4:5], 2
	s_add_u32 s4, s16, s4
	s_addc_u32 s5, s17, s5
	s_add_i32 s20, s20, -16
	ds_write_b32 v50, v59 offset:27136
	ds_write2_b32 v58, v59, v59 offset1:1
	s_waitcnt vmcnt(0) lgkmcnt(0)
	ds_write_b128 v67, v[68:71] offset:16384
	ds_write_b32 v50, v59 offset:27148
	flat_load_dwordx4 v[68:71], v[0:1]
	v_mul_f32_e32 v0, 0x3fb8aa3b, v6
	v_fma_f32 v1, v6, s8, -v0
	v_rndne_f32_e32 v22, v0
	v_fmac_f32_e32 v1, 0x32a5705f, v6
	v_sub_f32_e32 v0, v0, v22
	v_add_f32_e32 v0, v0, v1
	v_exp_f32_e32 v0, v0
	v_cvt_i32_f32_e32 v1, v22
	v_add_u32_e32 v22, 0x4000, v39
	v_ldexp_f32 v0, v0, v1
	v_cndmask_b32_e32 v0, 0, v0, vcc
	v_cmp_nlt_f32_e32 vcc, s9, v6
	v_cndmask_b32_e32 v0, v72, v0, vcc
	v_fmac_f32_e32 v18, v2, v0
	v_cvt_f16_f32_e32 v23, v0
	v_sub_f32_e32 v0, v7, v15
	v_mul_f32_e32 v1, 0x3fb8aa3b, v0
	v_fma_f32 v2, v0, s8, -v1
	v_rndne_f32_e32 v6, v1
	v_fmac_f32_e32 v2, 0x32a5705f, v0
	v_sub_f32_e32 v1, v1, v6
	v_add_f32_e32 v1, v1, v2
	v_exp_f32_e32 v1, v1
	v_cvt_i32_f32_e32 v2, v6
	v_cmp_ngt_f32_e32 vcc, s12, v0
	v_pk_mul_f16 v57, v23, v57 op_sel_hi:[0,1]
	v_pk_mul_f16 v55, v23, v55 op_sel_hi:[0,1]
	v_ldexp_f32 v1, v1, v2
	v_cndmask_b32_e32 v1, 0, v1, vcc
	v_cmp_nlt_f32_e32 vcc, s9, v0
	v_cndmask_b32_e32 v0, v72, v1, vcc
	v_sub_f32_e32 v1, v8, v16
	v_mul_f32_e32 v2, 0x3fb8aa3b, v1
	v_fma_f32 v6, v1, s8, -v2
	v_rndne_f32_e32 v7, v2
	v_fmac_f32_e32 v6, 0x32a5705f, v1
	v_sub_f32_e32 v2, v2, v7
	v_add_f32_e32 v2, v2, v6
	v_exp_f32_e32 v2, v2
	v_cvt_i32_f32_e32 v6, v7
	v_cvt_f16_f32_e32 v80, v0
	v_fmac_f32_e32 v19, v3, v0
	v_cmp_ngt_f32_e32 vcc, s12, v1
	v_ldexp_f32 v0, v2, v6
	v_cndmask_b32_e32 v0, 0, v0, vcc
	v_cmp_nlt_f32_e32 vcc, s9, v1
	v_sub_f32_e32 v1, v9, v17
	v_mul_f32_e32 v2, 0x3fb8aa3b, v1
	v_fma_f32 v3, v1, s8, -v2
	v_rndne_f32_e32 v6, v2
	v_fmac_f32_e32 v3, 0x32a5705f, v1
	v_sub_f32_e32 v2, v2, v6
	v_add_f32_e32 v2, v2, v3
	v_exp_f32_e32 v2, v2
	v_cvt_i32_f32_e32 v3, v6
	v_cndmask_b32_e32 v0, v72, v0, vcc
	v_pk_mul_f16 v8, v80, v53 op_sel_hi:[0,1]
	v_cvt_f16_f32_e32 v53, v0
	v_fmac_f32_e32 v20, v4, v0
	v_ldexp_f32 v0, v2, v3
	v_cmp_ngt_f32_e32 vcc, s12, v1
	v_cndmask_b32_e32 v0, 0, v0, vcc
	v_cmp_nlt_f32_e32 vcc, s9, v1
	v_cndmask_b32_e32 v0, v72, v0, vcc
	v_cvt_f16_f32_e32 v1, v0
	v_pk_mul_f16 v9, v80, v51 op_sel_hi:[0,1]
	v_pk_mul_f16 v51, v53, v47 op_sel_hi:[0,1]
	v_fmac_f32_e32 v21, v5, v0
	v_pk_mul_f16 v47, v1, v42 op_sel_hi:[0,1]
	v_lshl_add_u32 v42, v25, 9, v38
	v_pk_mul_f16 v56, v23, v56 op_sel_hi:[0,1]
	v_pk_mul_f16 v52, v80, v52 op_sel_hi:[0,1]
	;; [unrolled: 1-line block ×7, first 2 shown]
	s_waitcnt vmcnt(0) lgkmcnt(0)
	ds_write_b128 v42, v[68:71] offset:16384
	s_waitcnt lgkmcnt(0)
	s_barrier
	ds_read2_b64 v[4:7], v22 offset1:32
	ds_read_b128 v[68:71], v26 offset:25088
	ds_read_b128 v[72:75], v26 offset:25104
	ds_read_b128 v[76:79], v26 offset:25120
	ds_read_b128 v[0:3], v26 offset:25136
	v_add_co_u32_e32 v12, vcc, s4, v12
	s_waitcnt lgkmcnt(3)
	v_pk_mul_f16 v81, v4, v68 op_sel_hi:[1,0]
	v_pk_fma_f16 v23, v23, v54, v81 op_sel_hi:[0,1,1]
	v_pk_mul_f16 v54, v4, v68 op_sel:[0,1]
	v_pk_fma_f16 v49, v80, v49, v54 op_sel_hi:[0,1,1]
	v_pk_mul_f16 v54, v4, v69 op_sel_hi:[1,0]
	v_pk_fma_f16 v53, v53, v45, v54 op_sel_hi:[0,1,1]
	v_pk_fma_f16 v4, v4, v69, v44 op_sel:[0,1,0]
	v_pk_fma_f16 v54, v5, v68, v57 op_sel_hi:[1,0,1]
	v_pk_fma_f16 v8, v5, v68, v8 op_sel:[0,1,0]
	;; [unrolled: 2-line block ×5, first 2 shown]
	ds_read2_b64 v[44:47], v22 offset0:64 offset1:96
	v_pk_fma_f16 v56, v7, v68, v56 op_sel_hi:[1,0,1]
	v_pk_fma_f16 v9, v7, v68, v9 op_sel:[0,1,0]
	v_pk_fma_f16 v51, v7, v69, v51 op_sel_hi:[1,0,1]
	v_pk_fma_f16 v40, v7, v69, v40 op_sel:[0,1,0]
	s_waitcnt lgkmcnt(0)
	v_pk_fma_f16 v23, v44, v70, v23 op_sel_hi:[1,0,1]
	v_pk_fma_f16 v49, v44, v70, v49 op_sel:[0,1,0]
	v_pk_fma_f16 v53, v44, v71, v53 op_sel_hi:[1,0,1]
	v_pk_fma_f16 v44, v44, v71, v4 op_sel:[0,1,0]
	;; [unrolled: 2-line block ×6, first 2 shown]
	ds_read2_b64 v[4:7], v22 offset0:128 offset1:160
	v_pk_fma_f16 v56, v47, v70, v56 op_sel_hi:[1,0,1]
	v_pk_fma_f16 v9, v47, v70, v9 op_sel:[0,1,0]
	v_pk_fma_f16 v51, v47, v71, v51 op_sel_hi:[1,0,1]
	v_pk_fma_f16 v40, v47, v71, v40 op_sel:[0,1,0]
	s_waitcnt lgkmcnt(0)
	v_pk_fma_f16 v23, v4, v72, v23 op_sel_hi:[1,0,1]
	v_pk_fma_f16 v49, v4, v72, v49 op_sel:[0,1,0]
	v_pk_fma_f16 v53, v4, v73, v53 op_sel_hi:[1,0,1]
	v_pk_fma_f16 v4, v4, v73, v44 op_sel:[0,1,0]
	;; [unrolled: 2-line block ×6, first 2 shown]
	ds_read2_b64 v[44:47], v22 offset0:192 offset1:224
	v_pk_fma_f16 v56, v7, v72, v56 op_sel_hi:[1,0,1]
	v_pk_fma_f16 v9, v7, v72, v9 op_sel:[0,1,0]
	v_pk_fma_f16 v51, v7, v73, v51 op_sel_hi:[1,0,1]
	v_pk_fma_f16 v40, v7, v73, v40 op_sel:[0,1,0]
	s_waitcnt lgkmcnt(0)
	v_pk_fma_f16 v57, v44, v74, v23 op_sel_hi:[1,0,1]
	v_add_u32_e32 v23, 0x4800, v39
	v_pk_fma_f16 v49, v44, v74, v49 op_sel:[0,1,0]
	v_pk_fma_f16 v53, v44, v75, v53 op_sel_hi:[1,0,1]
	v_pk_fma_f16 v44, v44, v75, v4 op_sel:[0,1,0]
	v_pk_fma_f16 v54, v45, v74, v54 op_sel_hi:[1,0,1]
	;; [unrolled: 2-line block ×5, first 2 shown]
	v_pk_fma_f16 v46, v46, v75, v6 op_sel:[0,1,0]
	ds_read2_b64 v[4:7], v23 offset1:32
	v_pk_fma_f16 v56, v47, v74, v56 op_sel_hi:[1,0,1]
	v_pk_fma_f16 v9, v47, v74, v9 op_sel:[0,1,0]
	v_pk_fma_f16 v51, v47, v75, v51 op_sel_hi:[1,0,1]
	v_pk_fma_f16 v40, v47, v75, v40 op_sel:[0,1,0]
	s_waitcnt lgkmcnt(0)
	v_pk_fma_f16 v57, v4, v76, v57 op_sel_hi:[1,0,1]
	v_pk_fma_f16 v49, v4, v76, v49 op_sel:[0,1,0]
	v_pk_fma_f16 v53, v4, v77, v53 op_sel_hi:[1,0,1]
	v_pk_fma_f16 v4, v4, v77, v44 op_sel:[0,1,0]
	v_pk_fma_f16 v54, v5, v76, v54 op_sel_hi:[1,0,1]
	v_pk_fma_f16 v8, v5, v76, v8 op_sel:[0,1,0]
	v_pk_fma_f16 v48, v5, v77, v48 op_sel_hi:[1,0,1]
	v_pk_fma_f16 v5, v5, v77, v45 op_sel:[0,1,0]
	v_pk_fma_f16 v43, v6, v76, v43 op_sel_hi:[1,0,1]
	v_pk_fma_f16 v52, v6, v76, v52 op_sel:[0,1,0]
	v_pk_fma_f16 v55, v6, v77, v55 op_sel_hi:[1,0,1]
	v_pk_fma_f16 v6, v6, v77, v46 op_sel:[0,1,0]
	ds_read2_b64 v[44:47], v23 offset0:64 offset1:96
	v_pk_fma_f16 v9, v7, v76, v9 op_sel:[0,1,0]
	v_pk_fma_f16 v56, v7, v76, v56 op_sel_hi:[1,0,1]
	v_pk_fma_f16 v51, v7, v77, v51 op_sel_hi:[1,0,1]
	v_pk_fma_f16 v7, v7, v77, v40 op_sel:[0,1,0]
	s_waitcnt lgkmcnt(0)
	v_pk_fma_f16 v118, v45, v78, v8 op_sel:[0,1,0]
	v_pk_fma_f16 v123, v47, v78, v9 op_sel:[0,1,0]
	v_add_u32_e32 v9, 0x5000, v39
	v_add_u32_e32 v8, 0x5800, v39
	v_mov_b32_e32 v39, s5
	v_addc_co_u32_e32 v13, vcc, v39, v13, vcc
	v_add_co_u32_e32 v12, vcc, v12, v38
	v_addc_co_u32_e32 v13, vcc, 0, v13, vcc
	v_cmp_gt_i32_e32 vcc, s20, v37
	v_pk_fma_f16 v40, v44, v78, v57 op_sel_hi:[1,0,1]
	v_pk_fma_f16 v49, v44, v78, v49 op_sel:[0,1,0]
	v_pk_fma_f16 v57, v44, v79, v53 op_sel_hi:[1,0,1]
	v_pk_fma_f16 v116, v44, v79, v4 op_sel:[0,1,0]
	v_pk_fma_f16 v117, v45, v78, v54 op_sel_hi:[1,0,1]
	v_pk_fma_f16 v48, v45, v79, v48 op_sel_hi:[1,0,1]
	v_pk_fma_f16 v119, v45, v79, v5 op_sel:[0,1,0]
	v_pk_fma_f16 v43, v46, v78, v43 op_sel_hi:[1,0,1]
	v_pk_fma_f16 v120, v46, v78, v52 op_sel:[0,1,0]
	;; [unrolled: 2-line block ×3, first 2 shown]
	ds_read2_b64 v[52:55], v23 offset0:128 offset1:160
	v_pk_fma_f16 v56, v47, v78, v56 op_sel_hi:[1,0,1]
	v_pk_fma_f16 v51, v47, v79, v51 op_sel_hi:[1,0,1]
	v_pk_fma_f16 v124, v47, v79, v7 op_sel:[0,1,0]
	ds_read2_b64 v[44:47], v23 offset0:192 offset1:224
	ds_read2_b64 v[68:71], v9 offset1:32
	ds_read2_b64 v[72:75], v9 offset0:64 offset1:96
	ds_read2_b64 v[76:79], v9 offset0:128 offset1:160
	ds_read_b128 v[80:83], v26 offset:25152
	ds_read_b128 v[4:7], v26 offset:25168
	ds_read2_b64 v[84:87], v9 offset0:192 offset1:224
	ds_read2_b64 v[88:91], v8 offset1:32
	ds_read2_b64 v[92:95], v8 offset0:64 offset1:96
	ds_read2_b64 v[96:99], v8 offset0:128 offset1:160
	ds_read_b128 v[100:103], v26 offset:25184
	ds_read_b128 v[104:107], v26 offset:25200
	ds_read2_b64 v[108:111], v8 offset0:192 offset1:224
	s_waitcnt lgkmcnt(0)
	s_barrier
	ds_write_b32 v50, v59 offset:27136
	ds_write2_b32 v58, v59, v59 offset1:1
	ds_write_b32 v50, v59 offset:27148
	v_cndmask_b32_e32 v13, v24, v13, vcc
	v_cndmask_b32_e32 v12, v41, v12, vcc
	flat_load_dwordx4 v[112:115], v[12:13]
	v_pk_fma_f16 v40, v52, v0, v40 op_sel_hi:[1,0,1]
	v_pk_fma_f16 v12, v52, v0, v49 op_sel:[0,1,0]
	v_pk_fma_f16 v13, v52, v1, v57 op_sel_hi:[1,0,1]
	v_pk_fma_f16 v37, v52, v1, v116 op_sel:[0,1,0]
	;; [unrolled: 2-line block ×40, first 2 shown]
	v_mov_b32_e32 v0, s5
	v_add_co_u32_e32 v1, vcc, s4, v10
	v_addc_co_u32_e32 v0, vcc, v0, v11, vcc
	v_add_co_u32_e32 v2, vcc, v1, v38
	v_addc_co_u32_e32 v0, vcc, 0, v0, vcc
	v_cmp_gt_i32_e32 vcc, s20, v25
	s_waitcnt vmcnt(0) lgkmcnt(0)
	ds_write_b128 v67, v[112:115] offset:16384
	ds_write_b32 v50, v59 offset:27136
	ds_write2_b32 v58, v59, v59 offset1:1
	ds_write_b32 v50, v59 offset:27148
	v_cndmask_b32_e32 v1, v24, v0, vcc
	v_cndmask_b32_e32 v0, v41, v2, vcc
	flat_load_dwordx4 v[0:3], v[0:1]
	v_pk_fma_f16 v10, v84, v6, v51 op_sel_hi:[1,0,1]
	v_pk_fma_f16 v11, v84, v6, v12 op_sel:[0,1,0]
	v_pk_fma_f16 v12, v84, v7, v13 op_sel_hi:[1,0,1]
	v_pk_fma_f16 v13, v84, v7, v37 op_sel:[0,1,0]
	;; [unrolled: 2-line block ×3, first 2 shown]
	v_pk_fma_f16 v37, v85, v7, v44 op_sel_hi:[1,0,1]
	v_pk_fma_f16 v39, v86, v6, v43 op_sel_hi:[1,0,1]
	v_pk_fma_f16 v40, v86, v6, v47 op_sel:[0,1,0]
	v_pk_fma_f16 v44, v87, v6, v49 op_sel_hi:[1,0,1]
	v_pk_fma_f16 v4, v87, v6, v4 op_sel:[0,1,0]
	;; [unrolled: 2-line block ×4, first 2 shown]
	v_pk_fma_f16 v5, v87, v7, v5 op_sel:[0,1,0]
	v_pk_fma_f16 v7, v88, v100, v10 op_sel_hi:[1,0,1]
	v_pk_fma_f16 v4, v91, v100, v4 op_sel:[0,1,0]
	v_pk_fma_f16 v6, v91, v101, v6 op_sel_hi:[1,0,1]
	;; [unrolled: 2-line block ×16, first 2 shown]
	v_pk_fma_f16 v38, v94, v102, v38 op_sel_hi:[1,0,1]
	v_pk_fma_f16 v39, v94, v102, v39 op_sel:[0,1,0]
	v_pk_fma_f16 v40, v94, v103, v40 op_sel_hi:[1,0,1]
	v_pk_fma_f16 v41, v94, v103, v41 op_sel:[0,1,0]
	;; [unrolled: 2-line block ×4, first 2 shown]
	v_pk_fma_f16 v13, v97, v104, v13 op_sel_hi:[1,0,1]
	v_pk_fma_f16 v38, v98, v104, v38 op_sel_hi:[1,0,1]
	v_pk_fma_f16 v39, v98, v104, v39 op_sel:[0,1,0]
	v_pk_fma_f16 v40, v98, v105, v40 op_sel_hi:[1,0,1]
	v_pk_fma_f16 v41, v98, v105, v41 op_sel:[0,1,0]
	;; [unrolled: 2-line block ×4, first 2 shown]
	v_pk_fma_f16 v50, v109, v106, v13 op_sel_hi:[1,0,1]
	v_pk_fma_f16 v51, v110, v106, v38 op_sel_hi:[1,0,1]
	v_pk_fma_f16 v52, v110, v106, v39 op_sel:[0,1,0]
	v_pk_fma_f16 v53, v110, v107, v40 op_sel_hi:[1,0,1]
	v_pk_fma_f16 v54, v110, v107, v41 op_sel:[0,1,0]
	;; [unrolled: 2-line block ×3, first 2 shown]
	v_pk_fma_f16 v24, v93, v102, v24 op_sel:[0,1,0]
	v_pk_fma_f16 v25, v93, v103, v25 op_sel_hi:[1,0,1]
	v_pk_fma_f16 v37, v93, v103, v37 op_sel:[0,1,0]
	v_pk_fma_f16 v24, v97, v104, v24 op_sel:[0,1,0]
	v_pk_fma_f16 v25, v97, v105, v25 op_sel_hi:[1,0,1]
	v_pk_fma_f16 v37, v97, v105, v37 op_sel:[0,1,0]
	v_pk_fma_f16 v24, v109, v106, v24 op_sel:[0,1,0]
	v_pk_fma_f16 v25, v109, v107, v25 op_sel_hi:[1,0,1]
	s_waitcnt vmcnt(0) lgkmcnt(0)
	ds_write_b128 v42, v[0:3] offset:16384
	s_waitcnt lgkmcnt(0)
	s_barrier
	ds_read2_b64 v[0:3], v22 offset1:32
	ds_read_b128 v[4:7], v26 offset:25216
	ds_read_b128 v[10:13], v26 offset:25232
	;; [unrolled: 1-line block ×4, first 2 shown]
	v_pk_fma_f16 v37, v109, v107, v37 op_sel:[0,1,0]
	s_waitcnt lgkmcnt(3)
	v_pk_fma_f16 v59, v0, v4, v46 op_sel_hi:[1,0,1]
	v_pk_fma_f16 v67, v0, v4, v47 op_sel:[0,1,0]
	v_pk_fma_f16 v68, v0, v5, v48 op_sel_hi:[1,0,1]
	v_pk_fma_f16 v0, v0, v5, v49 op_sel:[0,1,0]
	ds_read2_b64 v[46:49], v22 offset0:64 offset1:96
	v_pk_fma_f16 v50, v1, v4, v50 op_sel_hi:[1,0,1]
	v_pk_fma_f16 v24, v1, v4, v24 op_sel:[0,1,0]
	v_pk_fma_f16 v25, v1, v5, v25 op_sel_hi:[1,0,1]
	v_pk_fma_f16 v1, v1, v5, v37 op_sel:[0,1,0]
	;; [unrolled: 2-line block ×6, first 2 shown]
	s_waitcnt lgkmcnt(0)
	v_pk_fma_f16 v55, v46, v6, v59 op_sel_hi:[1,0,1]
	v_pk_fma_f16 v56, v46, v6, v67 op_sel:[0,1,0]
	v_pk_fma_f16 v57, v46, v7, v68 op_sel_hi:[1,0,1]
	v_pk_fma_f16 v46, v46, v7, v0 op_sel:[0,1,0]
	;; [unrolled: 2-line block ×6, first 2 shown]
	ds_read2_b64 v[0:3], v22 offset0:128 offset1:160
	v_pk_fma_f16 v53, v49, v6, v53 op_sel_hi:[1,0,1]
	v_pk_fma_f16 v58, v49, v6, v4 op_sel:[0,1,0]
	v_pk_fma_f16 v54, v49, v7, v54 op_sel_hi:[1,0,1]
	v_pk_fma_f16 v49, v49, v7, v5 op_sel:[0,1,0]
	ds_read2_b64 v[4:7], v22 offset0:192 offset1:224
	s_waitcnt lgkmcnt(1)
	v_pk_fma_f16 v55, v0, v10, v55 op_sel_hi:[1,0,1]
	v_pk_fma_f16 v56, v0, v10, v56 op_sel:[0,1,0]
	v_pk_fma_f16 v57, v0, v11, v57 op_sel_hi:[1,0,1]
	v_pk_fma_f16 v0, v0, v11, v46 op_sel:[0,1,0]
	v_pk_fma_f16 v46, v1, v10, v50 op_sel_hi:[1,0,1]
	v_pk_fma_f16 v24, v1, v10, v24 op_sel:[0,1,0]
	v_pk_fma_f16 v25, v1, v11, v25 op_sel_hi:[1,0,1]
	v_pk_fma_f16 v1, v1, v11, v47 op_sel:[0,1,0]
	v_pk_fma_f16 v37, v2, v10, v37 op_sel_hi:[1,0,1]
	v_pk_fma_f16 v47, v2, v10, v51 op_sel:[0,1,0]
	v_pk_fma_f16 v50, v2, v11, v52 op_sel_hi:[1,0,1]
	v_pk_fma_f16 v2, v2, v11, v48 op_sel:[0,1,0]
	v_pk_fma_f16 v22, v3, v10, v53 op_sel_hi:[1,0,1]
	v_pk_fma_f16 v10, v3, v10, v58 op_sel:[0,1,0]
	v_pk_fma_f16 v48, v3, v11, v54 op_sel_hi:[1,0,1]
	v_pk_fma_f16 v11, v3, v11, v49 op_sel:[0,1,0]
	s_waitcnt lgkmcnt(0)
	v_pk_fma_f16 v49, v4, v12, v55 op_sel_hi:[1,0,1]
	v_pk_fma_f16 v51, v4, v12, v56 op_sel:[0,1,0]
	v_pk_fma_f16 v52, v4, v13, v57 op_sel_hi:[1,0,1]
	v_pk_fma_f16 v4, v4, v13, v0 op_sel:[0,1,0]
	;; [unrolled: 2-line block ×6, first 2 shown]
	ds_read2_b64 v[0:3], v23 offset1:32
	v_pk_fma_f16 v22, v7, v12, v22 op_sel_hi:[1,0,1]
	v_pk_fma_f16 v10, v7, v12, v10 op_sel:[0,1,0]
	v_pk_fma_f16 v12, v7, v13, v48 op_sel_hi:[1,0,1]
	v_pk_fma_f16 v11, v7, v13, v11 op_sel:[0,1,0]
	s_waitcnt lgkmcnt(0)
	v_pk_fma_f16 v13, v0, v38, v49 op_sel_hi:[1,0,1]
	v_pk_fma_f16 v48, v0, v38, v51 op_sel:[0,1,0]
	v_pk_fma_f16 v49, v0, v39, v52 op_sel_hi:[1,0,1]
	v_pk_fma_f16 v0, v0, v39, v4 op_sel:[0,1,0]
	v_pk_fma_f16 v46, v1, v38, v46 op_sel_hi:[1,0,1]
	v_pk_fma_f16 v24, v1, v38, v24 op_sel:[0,1,0]
	v_pk_fma_f16 v25, v1, v39, v25 op_sel_hi:[1,0,1]
	v_pk_fma_f16 v1, v1, v39, v5 op_sel:[0,1,0]
	v_pk_fma_f16 v37, v2, v38, v37 op_sel_hi:[1,0,1]
	v_pk_fma_f16 v47, v2, v38, v47 op_sel:[0,1,0]
	v_pk_fma_f16 v50, v2, v39, v50 op_sel_hi:[1,0,1]
	v_pk_fma_f16 v2, v2, v39, v6 op_sel:[0,1,0]
	ds_read2_b64 v[4:7], v23 offset0:64 offset1:96
	v_pk_fma_f16 v22, v3, v38, v22 op_sel_hi:[1,0,1]
	v_pk_fma_f16 v10, v3, v38, v10 op_sel:[0,1,0]
	v_pk_fma_f16 v12, v3, v39, v12 op_sel_hi:[1,0,1]
	v_pk_fma_f16 v11, v3, v39, v11 op_sel:[0,1,0]
	s_waitcnt lgkmcnt(0)
	v_pk_fma_f16 v13, v4, v40, v13 op_sel_hi:[1,0,1]
	v_pk_fma_f16 v38, v4, v40, v48 op_sel:[0,1,0]
	v_pk_fma_f16 v39, v4, v41, v49 op_sel_hi:[1,0,1]
	v_pk_fma_f16 v4, v4, v41, v0 op_sel:[0,1,0]
	v_pk_fma_f16 v46, v5, v40, v46 op_sel_hi:[1,0,1]
	v_pk_fma_f16 v24, v5, v40, v24 op_sel:[0,1,0]
	v_pk_fma_f16 v25, v5, v41, v25 op_sel_hi:[1,0,1]
	v_pk_fma_f16 v5, v5, v41, v1 op_sel:[0,1,0]
	v_pk_fma_f16 v37, v6, v40, v37 op_sel_hi:[1,0,1]
	v_pk_fma_f16 v47, v6, v40, v47 op_sel:[0,1,0]
	v_pk_fma_f16 v48, v6, v41, v50 op_sel_hi:[1,0,1]
	v_pk_fma_f16 v6, v6, v41, v2 op_sel:[0,1,0]
	ds_read2_b64 v[0:3], v23 offset0:128 offset1:160
	;; [unrolled: 18-line block ×3, first 2 shown]
	v_pk_fma_f16 v22, v3, v42, v22 op_sel_hi:[1,0,1]
	v_pk_fma_f16 v23, v3, v42, v10 op_sel:[0,1,0]
	v_pk_fma_f16 v42, v3, v43, v12 op_sel_hi:[1,0,1]
	v_pk_fma_f16 v43, v3, v43, v11 op_sel:[0,1,0]
	s_waitcnt lgkmcnt(0)
	v_pk_fma_f16 v47, v4, v44, v13 op_sel_hi:[1,0,1]
	v_pk_fma_f16 v48, v4, v45, v0 op_sel:[0,1,0]
	v_pk_fma_f16 v49, v5, v45, v1 op_sel:[0,1,0]
	v_pk_fma_f16 v50, v6, v45, v2 op_sel:[0,1,0]
	ds_read2_b64 v[0:3], v9 offset1:32
	ds_read_b128 v[10:13], v26 offset:25280
	v_pk_fma_f16 v38, v4, v44, v38 op_sel:[0,1,0]
	v_pk_fma_f16 v39, v4, v45, v39 op_sel_hi:[1,0,1]
	v_pk_fma_f16 v24, v5, v44, v24 op_sel:[0,1,0]
	v_pk_fma_f16 v25, v5, v45, v25 op_sel_hi:[1,0,1]
	v_pk_fma_f16 v40, v5, v44, v40 op_sel_hi:[1,0,1]
	;; [unrolled: 1-line block ×3, first 2 shown]
	v_pk_fma_f16 v41, v6, v44, v41 op_sel:[0,1,0]
	v_pk_fma_f16 v46, v6, v45, v46 op_sel_hi:[1,0,1]
	v_pk_fma_f16 v51, v7, v44, v22 op_sel_hi:[1,0,1]
	v_pk_fma_f16 v44, v7, v44, v23 op_sel:[0,1,0]
	v_pk_fma_f16 v42, v7, v45, v42 op_sel_hi:[1,0,1]
	v_pk_fma_f16 v43, v7, v45, v43 op_sel:[0,1,0]
	s_waitcnt lgkmcnt(0)
	v_pk_fma_f16 v45, v0, v10, v47 op_sel_hi:[1,0,1]
	v_pk_fma_f16 v38, v0, v10, v38 op_sel:[0,1,0]
	v_pk_fma_f16 v39, v0, v11, v39 op_sel_hi:[1,0,1]
	v_pk_fma_f16 v0, v0, v11, v48 op_sel:[0,1,0]
	v_pk_fma_f16 v47, v1, v10, v24 op_sel:[0,1,0]
	v_pk_fma_f16 v48, v1, v11, v25 op_sel_hi:[1,0,1]
	ds_read2_b64 v[22:25], v9 offset0:64 offset1:96
	v_pk_fma_f16 v40, v1, v10, v40 op_sel_hi:[1,0,1]
	v_pk_fma_f16 v1, v1, v11, v49 op_sel:[0,1,0]
	v_pk_fma_f16 v37, v2, v10, v37 op_sel_hi:[1,0,1]
	v_pk_fma_f16 v41, v2, v10, v41 op_sel:[0,1,0]
	;; [unrolled: 2-line block ×3, first 2 shown]
	ds_read_b128 v[4:7], v26 offset:25296
	v_pk_fma_f16 v49, v3, v10, v51 op_sel_hi:[1,0,1]
	v_pk_fma_f16 v10, v3, v10, v44 op_sel:[0,1,0]
	v_pk_fma_f16 v42, v3, v11, v42 op_sel_hi:[1,0,1]
	v_pk_fma_f16 v11, v3, v11, v43 op_sel:[0,1,0]
	s_waitcnt lgkmcnt(1)
	v_pk_fma_f16 v43, v22, v12, v45 op_sel_hi:[1,0,1]
	v_pk_fma_f16 v38, v22, v12, v38 op_sel:[0,1,0]
	v_pk_fma_f16 v39, v22, v13, v39 op_sel_hi:[1,0,1]
	v_pk_fma_f16 v22, v22, v13, v0 op_sel:[0,1,0]
	;; [unrolled: 2-line block ×6, first 2 shown]
	ds_read2_b64 v[0:3], v9 offset0:128 offset1:160
	v_pk_fma_f16 v47, v25, v12, v49 op_sel_hi:[1,0,1]
	v_pk_fma_f16 v48, v25, v12, v10 op_sel:[0,1,0]
	v_pk_fma_f16 v42, v25, v13, v42 op_sel_hi:[1,0,1]
	v_pk_fma_f16 v25, v25, v13, v11 op_sel:[0,1,0]
	ds_read2_b64 v[10:13], v9 offset0:192 offset1:224
	s_waitcnt lgkmcnt(1)
	v_pk_fma_f16 v43, v0, v4, v43 op_sel_hi:[1,0,1]
	v_pk_fma_f16 v38, v0, v4, v38 op_sel:[0,1,0]
	v_pk_fma_f16 v39, v0, v5, v39 op_sel_hi:[1,0,1]
	v_pk_fma_f16 v0, v0, v5, v22 op_sel:[0,1,0]
	;; [unrolled: 2-line block ×8, first 2 shown]
	s_waitcnt lgkmcnt(0)
	v_pk_fma_f16 v43, v10, v6, v43 op_sel_hi:[1,0,1]
	v_pk_fma_f16 v38, v10, v6, v38 op_sel:[0,1,0]
	v_pk_fma_f16 v39, v10, v7, v39 op_sel_hi:[1,0,1]
	v_pk_fma_f16 v10, v10, v7, v0 op_sel:[0,1,0]
	;; [unrolled: 2-line block ×6, first 2 shown]
	ds_read2_b64 v[0:3], v8 offset1:32
	ds_read_b128 v[22:25], v26 offset:25312
	v_pk_fma_f16 v9, v13, v6, v9 op_sel_hi:[1,0,1]
	v_pk_fma_f16 v47, v13, v6, v4 op_sel:[0,1,0]
	v_pk_fma_f16 v42, v13, v7, v42 op_sel_hi:[1,0,1]
	v_pk_fma_f16 v48, v13, v7, v5 op_sel:[0,1,0]
	ds_read_b128 v[4:7], v26 offset:25328
	s_waitcnt lgkmcnt(1)
	v_pk_fma_f16 v26, v0, v22, v43 op_sel_hi:[1,0,1]
	v_pk_fma_f16 v38, v0, v22, v38 op_sel:[0,1,0]
	v_pk_fma_f16 v39, v0, v23, v39 op_sel_hi:[1,0,1]
	v_pk_fma_f16 v0, v0, v23, v10 op_sel:[0,1,0]
	;; [unrolled: 2-line block ×6, first 2 shown]
	ds_read2_b64 v[10:13], v8 offset0:64 offset1:96
	v_pk_fma_f16 v9, v3, v22, v9 op_sel_hi:[1,0,1]
	v_pk_fma_f16 v22, v3, v22, v47 op_sel:[0,1,0]
	v_pk_fma_f16 v42, v3, v23, v42 op_sel_hi:[1,0,1]
	v_pk_fma_f16 v23, v3, v23, v48 op_sel:[0,1,0]
	s_waitcnt lgkmcnt(0)
	v_pk_fma_f16 v26, v10, v24, v26 op_sel_hi:[1,0,1]
	v_pk_fma_f16 v38, v10, v24, v38 op_sel:[0,1,0]
	v_pk_fma_f16 v39, v10, v25, v39 op_sel_hi:[1,0,1]
	v_pk_fma_f16 v10, v10, v25, v0 op_sel:[0,1,0]
	;; [unrolled: 2-line block ×6, first 2 shown]
	ds_read2_b64 v[0:3], v8 offset0:128 offset1:160
	v_pk_fma_f16 v46, v13, v24, v9 op_sel_hi:[1,0,1]
	v_pk_fma_f16 v22, v13, v24, v22 op_sel:[0,1,0]
	v_pk_fma_f16 v24, v13, v25, v42 op_sel_hi:[1,0,1]
	v_pk_fma_f16 v13, v13, v25, v23 op_sel:[0,1,0]
	s_waitcnt lgkmcnt(0)
	v_pk_fma_f16 v23, v0, v4, v26 op_sel_hi:[1,0,1]
	v_pk_fma_f16 v25, v0, v4, v38 op_sel:[0,1,0]
	v_pk_fma_f16 v26, v0, v5, v39 op_sel_hi:[1,0,1]
	v_pk_fma_f16 v0, v0, v5, v10 op_sel:[0,1,0]
	;; [unrolled: 2-line block ×4, first 2 shown]
	ds_read2_b64 v[8:11], v8 offset0:192 offset1:224
	v_pk_fma_f16 v42, v2, v4, v45 op_sel_hi:[1,0,1]
	v_pk_fma_f16 v37, v2, v4, v37 op_sel:[0,1,0]
	v_pk_fma_f16 v41, v2, v5, v41 op_sel_hi:[1,0,1]
	v_pk_fma_f16 v2, v2, v5, v12 op_sel:[0,1,0]
	;; [unrolled: 2-line block ×4, first 2 shown]
	s_waitcnt lgkmcnt(0)
	v_pk_fma_f16 v54, v8, v6, v23 op_sel_hi:[1,0,1]
	v_pk_fma_f16 v49, v8, v6, v25 op_sel:[0,1,0]
	v_pk_fma_f16 v45, v8, v7, v26 op_sel_hi:[1,0,1]
	v_pk_fma_f16 v44, v8, v7, v0 op_sel:[0,1,0]
	;; [unrolled: 2-line block ×8, first 2 shown]
	v_pk_mov_b32 v[6:7], v[14:15], v[14:15] op_sel:[0,1]
	v_pk_mov_b32 v[2:3], v[18:19], v[18:19] op_sel:[0,1]
	v_pk_mov_b32 v[8:9], v[16:17], v[16:17] op_sel:[0,1]
	v_pk_mov_b32 v[4:5], v[20:21], v[20:21] op_sel:[0,1]
	s_barrier
.LBB42_43:
	v_cmp_lt_i32_e32 vcc, v64, v61
	v_cndmask_b32_e32 v0, v60, v64, vcc
	v_cmp_lt_i32_e32 vcc, v65, v61
	v_lshlrev_b32_e32 v11, 2, v0
	v_cndmask_b32_e32 v0, v60, v65, vcc
	v_cmp_lt_i32_e32 vcc, v66, v61
	v_lshlrev_b32_e32 v12, 2, v0
	v_cndmask_b32_e32 v0, v60, v66, vcc
	v_lshlrev_b32_e32 v13, 2, v0
	ds_bpermute_b32 v0, v11, v2
	ds_bpermute_b32 v1, v11, v3
	;; [unrolled: 1-line block ×4, first 2 shown]
	v_cmp_lt_i32_e32 vcc, v63, v61
	v_cndmask_b32_e32 v14, v60, v63, vcc
	s_waitcnt lgkmcnt(2)
	v_pk_add_f32 v[0:1], v[2:3], v[0:1]
	ds_bpermute_b32 v2, v12, v0
	s_waitcnt lgkmcnt(1)
	v_pk_add_f32 v[4:5], v[4:5], v[10:11]
	ds_bpermute_b32 v3, v12, v1
	ds_bpermute_b32 v10, v12, v4
	;; [unrolled: 1-line block ×3, first 2 shown]
	v_lshlrev_b32_e32 v12, 2, v14
	v_cmp_lt_i32_e32 vcc, v62, v61
	s_waitcnt lgkmcnt(2)
	v_pk_add_f32 v[0:1], v[0:1], v[2:3]
	ds_bpermute_b32 v2, v13, v0
	s_waitcnt lgkmcnt(1)
	v_pk_add_f32 v[4:5], v[4:5], v[10:11]
	ds_bpermute_b32 v3, v13, v1
	ds_bpermute_b32 v10, v13, v4
	;; [unrolled: 1-line block ×3, first 2 shown]
	v_cndmask_b32_e32 v13, v60, v62, vcc
	s_cmp_eq_u64 s[24:25], 0
	s_waitcnt lgkmcnt(2)
	v_pk_add_f32 v[0:1], v[0:1], v[2:3]
	ds_bpermute_b32 v2, v12, v0
	s_waitcnt lgkmcnt(1)
	v_pk_add_f32 v[4:5], v[4:5], v[10:11]
	ds_bpermute_b32 v3, v12, v1
	ds_bpermute_b32 v10, v12, v4
	;; [unrolled: 1-line block ×3, first 2 shown]
	v_lshlrev_b32_e32 v12, 2, v13
	s_cselect_b64 s[4:5], -1, 0
	s_waitcnt lgkmcnt(2)
	v_pk_add_f32 v[0:1], v[0:1], v[2:3]
	ds_bpermute_b32 v2, v12, v0
	s_waitcnt lgkmcnt(1)
	v_pk_add_f32 v[4:5], v[4:5], v[10:11]
	ds_bpermute_b32 v3, v12, v1
	ds_bpermute_b32 v10, v12, v4
	;; [unrolled: 1-line block ×3, first 2 shown]
	s_cmp_lg_u32 s11, 0
	s_cselect_b64 s[8:9], -1, 0
	s_or_b64 s[4:5], s[8:9], s[4:5]
	s_waitcnt lgkmcnt(2)
	v_pk_add_f32 v[2:3], v[0:1], v[2:3]
	s_waitcnt lgkmcnt(0)
	v_pk_add_f32 v[0:1], v[4:5], v[10:11]
	s_and_b64 vcc, exec, s[4:5]
	s_cbranch_vccnz .LBB42_45
; %bb.44:
	s_lshl_b64 s[4:5], s[34:35], 2
	s_add_u32 s4, s24, s4
	s_addc_u32 s5, s25, s5
	v_mov_b32_e32 v4, 0
	global_load_dword v14, v4, s[4:5]
	v_max_f32_e32 v4, v7, v7
	v_max_f32_e32 v5, v6, v6
	;; [unrolled: 1-line block ×4, first 2 shown]
	s_mov_b32 s8, 0x3fb8aa3b
	s_mov_b32 s4, 0xc2ce8ed0
	;; [unrolled: 1-line block ×3, first 2 shown]
	v_mov_b32_e32 v16, 0x7f800000
	s_waitcnt vmcnt(0)
	v_max_f32_e32 v17, v14, v14
	v_max_f32_e32 v11, v4, v17
	v_max_f32_e32 v10, v5, v17
	v_max_f32_e32 v13, v12, v17
	v_max_f32_e32 v12, v15, v17
	v_pk_add_f32 v[4:5], v[6:7], v[10:11] neg_lo:[0,1] neg_hi:[0,1]
	v_pk_add_f32 v[6:7], v[8:9], v[12:13] neg_lo:[0,1] neg_hi:[0,1]
	v_mul_f32_e32 v9, 0x3fb8aa3b, v5
	v_mul_f32_e32 v15, 0x3fb8aa3b, v4
	v_fma_f32 v21, v5, s8, -v9
	v_rndne_f32_e32 v22, v9
	v_mul_f32_e32 v18, 0x3fb8aa3b, v7
	v_fma_f32 v23, v4, s8, -v15
	v_rndne_f32_e32 v24, v15
	v_fmac_f32_e32 v21, 0x32a5705f, v5
	v_sub_f32_e32 v9, v9, v22
	v_mul_f32_e32 v19, 0x3fb8aa3b, v6
	v_fma_f32 v25, v7, s8, -v18
	v_rndne_f32_e32 v26, v18
	v_fmac_f32_e32 v23, 0x32a5705f, v4
	v_sub_f32_e32 v15, v15, v24
	v_add_f32_e32 v9, v9, v21
	v_fma_f32 v37, v6, s8, -v19
	v_rndne_f32_e32 v38, v19
	v_cvt_i32_f32_e32 v22, v22
	v_fmac_f32_e32 v25, 0x32a5705f, v7
	v_sub_f32_e32 v18, v18, v26
	v_add_f32_e32 v15, v15, v23
	v_exp_f32_e32 v9, v9
	v_cvt_i32_f32_e32 v24, v24
	v_fmac_f32_e32 v37, 0x32a5705f, v6
	v_sub_f32_e32 v19, v19, v38
	v_add_f32_e32 v18, v18, v25
	v_exp_f32_e32 v15, v15
	v_cvt_i32_f32_e32 v26, v26
	v_add_f32_e32 v19, v19, v37
	v_exp_f32_e32 v18, v18
	v_cvt_i32_f32_e32 v38, v38
	v_exp_f32_e32 v19, v19
	v_ldexp_f32 v9, v9, v22
	v_cmp_ngt_f32_e32 vcc, s4, v5
	v_ldexp_f32 v15, v15, v24
	v_cndmask_b32_e32 v9, 0, v9, vcc
	v_cmp_ngt_f32_e32 vcc, s4, v4
	v_ldexp_f32 v18, v18, v26
	v_cndmask_b32_e32 v15, 0, v15, vcc
	;; [unrolled: 3-line block ×3, first 2 shown]
	v_cmp_ngt_f32_e32 vcc, s4, v6
	v_cndmask_b32_e32 v19, 0, v19, vcc
	v_cmp_nlt_f32_e32 vcc, s5, v5
	v_sub_f32_e32 v8, v14, v11
	v_cndmask_b32_e32 v5, v16, v9, vcc
	v_cmp_nlt_f32_e32 vcc, s5, v4
	v_mul_f32_e32 v20, 0x3fb8aa3b, v8
	v_cndmask_b32_e32 v4, v16, v15, vcc
	v_cmp_nlt_f32_e32 vcc, s5, v7
	v_fma_f32 v39, v8, s8, -v20
	v_rndne_f32_e32 v41, v20
	v_cndmask_b32_e32 v7, v16, v18, vcc
	v_cmp_nlt_f32_e32 vcc, s5, v6
	v_fmac_f32_e32 v39, 0x32a5705f, v8
	v_sub_f32_e32 v20, v20, v41
	v_cndmask_b32_e32 v6, v16, v19, vcc
	v_cvt_f16_f32_e32 v15, v5
	v_add_f32_e32 v20, v20, v39
	v_cvt_f16_f32_e32 v18, v6
	v_cvt_i32_f32_e32 v41, v41
	v_exp_f32_e32 v20, v20
	v_cvt_f16_f32_e32 v9, v4
	v_cvt_f16_f32_e32 v19, v7
	v_sub_f32_e32 v17, v14, v12
	v_pk_mul_f16 v49, v15, v49 op_sel_hi:[0,1]
	v_pk_mul_f16 v53, v15, v53 op_sel_hi:[0,1]
	;; [unrolled: 1-line block ×4, first 2 shown]
	v_sub_f32_e32 v15, v14, v13
	v_sub_f32_e32 v14, v14, v10
	v_pk_mul_f16 v45, v18, v45 op_sel_hi:[0,1]
	v_pk_mul_f16 v48, v18, v48 op_sel_hi:[0,1]
	;; [unrolled: 1-line block ×4, first 2 shown]
	v_mul_f32_e32 v18, 0x3fb8aa3b, v14
	v_pk_mul_f16 v54, v9, v54 op_sel_hi:[0,1]
	v_pk_mul_f16 v57, v9, v57 op_sel_hi:[0,1]
	;; [unrolled: 1-line block ×8, first 2 shown]
	v_ldexp_f32 v9, v20, v41
	v_fma_f32 v19, v14, s8, -v18
	v_rndne_f32_e32 v20, v18
	v_fmac_f32_e32 v19, 0x32a5705f, v14
	v_sub_f32_e32 v18, v18, v20
	v_add_f32_e32 v18, v18, v19
	v_exp_f32_e32 v18, v18
	v_cvt_i32_f32_e32 v19, v20
	v_cmp_ngt_f32_e32 vcc, s4, v8
	v_cndmask_b32_e32 v9, 0, v9, vcc
	v_cmp_nlt_f32_e32 vcc, s5, v8
	v_ldexp_f32 v8, v18, v19
	v_mul_f32_e32 v18, 0x3fb8aa3b, v15
	v_fma_f32 v19, v15, s8, -v18
	v_rndne_f32_e32 v20, v18
	v_fmac_f32_e32 v19, 0x32a5705f, v15
	v_sub_f32_e32 v18, v18, v20
	v_add_f32_e32 v18, v18, v19
	v_exp_f32_e32 v18, v18
	v_cvt_i32_f32_e32 v19, v20
	v_cndmask_b32_e32 v9, v16, v9, vcc
	v_cmp_ngt_f32_e32 vcc, s4, v14
	v_cndmask_b32_e32 v8, 0, v8, vcc
	v_cmp_nlt_f32_e32 vcc, s5, v14
	v_ldexp_f32 v14, v18, v19
	v_mul_f32_e32 v18, 0x3fb8aa3b, v17
	v_fma_f32 v19, v17, s8, -v18
	v_rndne_f32_e32 v20, v18
	v_fmac_f32_e32 v19, 0x32a5705f, v17
	v_sub_f32_e32 v18, v18, v20
	v_add_f32_e32 v18, v18, v19
	v_exp_f32_e32 v18, v18
	v_cvt_i32_f32_e32 v19, v20
	v_cndmask_b32_e32 v8, v16, v8, vcc
	v_cmp_ngt_f32_e32 vcc, s4, v15
	v_cndmask_b32_e32 v14, 0, v14, vcc
	v_cmp_nlt_f32_e32 vcc, s5, v15
	v_cndmask_b32_e32 v15, v16, v14, vcc
	v_ldexp_f32 v14, v18, v19
	v_cmp_ngt_f32_e32 vcc, s4, v17
	v_cndmask_b32_e32 v14, 0, v14, vcc
	v_cmp_nlt_f32_e32 vcc, s5, v17
	v_cndmask_b32_e32 v14, v16, v14, vcc
	v_pk_fma_f32 v[0:1], v[0:1], v[6:7], v[14:15]
	v_pk_fma_f32 v[2:3], v[2:3], v[4:5], v[8:9]
	v_pk_mov_b32 v[6:7], v[10:11], v[10:11] op_sel:[0,1]
	v_pk_mov_b32 v[8:9], v[12:13], v[12:13] op_sel:[0,1]
.LBB42_45:
	v_cmp_gt_i32_e32 vcc, s38, v36
	s_and_saveexec_b64 s[4:5], vcc
	s_cbranch_execz .LBB42_65
; %bb.46:
	s_load_dword s10, s[6:7], 0xd4
	v_mov_b32_e32 v4, 1.0
	s_waitcnt lgkmcnt(0)
	s_cmp_lg_u32 s10, 1
	s_cselect_b64 s[6:7], -1, 0
	s_cmp_eq_u32 s10, 1
	s_cselect_b64 s[8:9], -1, 0
	s_and_b64 vcc, exec, s[6:7]
	s_cbranch_vccnz .LBB42_48
; %bb.47:
	v_div_scale_f32 v4, s[4:5], v2, v2, 1.0
	v_rcp_f32_e32 v5, v4
	v_div_scale_f32 v10, vcc, 1.0, v2, 1.0
	v_fma_f32 v11, -v4, v5, 1.0
	v_fmac_f32_e32 v5, v11, v5
	v_mul_f32_e32 v11, v10, v5
	v_fma_f32 v12, -v4, v11, v10
	v_fmac_f32_e32 v11, v12, v5
	v_fma_f32 v4, -v4, v11, v10
	v_div_fmas_f32 v4, v4, v5, v11
	v_div_fixup_f32 v4, v4, v2, 1.0
.LBB42_48:
	s_mul_i32 s12, s33, s38
	s_add_i32 s12, s12, s22
	v_add_u32_e32 v5, s12, v35
	v_mul_lo_u32 v5, v5, s39
	v_add_u32_e32 v5, s34, v5
	v_mul_lo_u32 v5, s10, v5
	v_add_u32_e32 v10, s11, v5
	v_cvt_f32_f16_sdwa v15, v54 dst_sel:DWORD dst_unused:UNUSED_PAD src0_sel:WORD_1
	v_cvt_f32_f16_e32 v14, v54
	v_cvt_f32_f16_sdwa v19, v57 dst_sel:DWORD dst_unused:UNUSED_PAD src0_sel:WORD_1
	v_cvt_f32_f16_e32 v18, v57
	v_lshl_add_u32 v16, v10, 8, v28
	v_mov_b32_e32 v17, 0
	v_lshlrev_b64 v[12:13], 2, v[16:17]
	v_mov_b32_e32 v5, s29
	v_add_co_u32_e64 v20, s[4:5], s28, v12
	v_addc_co_u32_e64 v21, s[4:5], v5, v13, s[4:5]
	v_pk_mul_f32 v[12:13], v[4:5], v[14:15] op_sel_hi:[0,1]
	v_pk_mul_f32 v[14:15], v[4:5], v[18:19] op_sel_hi:[0,1]
	v_add_u32_e32 v16, 0x80, v16
	global_store_dwordx4 v[20:21], v[12:15], off
	v_cmp_eq_u32_e32 vcc, 0, v34
	v_lshlrev_b64 v[12:13], 2, v[16:17]
	v_cvt_f32_f16_sdwa v15, v55 dst_sel:DWORD dst_unused:UNUSED_PAD src0_sel:WORD_1
	v_cvt_f32_f16_e32 v14, v55
	v_cvt_f32_f16_sdwa v17, v56 dst_sel:DWORD dst_unused:UNUSED_PAD src0_sel:WORD_1
	v_cvt_f32_f16_e32 v16, v56
	v_add_co_u32_e64 v18, s[4:5], s28, v12
	v_addc_co_u32_e64 v19, s[4:5], v5, v13, s[4:5]
	v_pk_mul_f32 v[12:13], v[4:5], v[14:15] op_sel_hi:[0,1]
	v_pk_mul_f32 v[14:15], v[4:5], v[16:17] op_sel_hi:[0,1]
	s_and_b64 s[6:7], vcc, s[6:7]
	global_store_dwordx4 v[18:19], v[12:15], off
	s_and_saveexec_b64 s[4:5], s[6:7]
	s_cbranch_execz .LBB42_50
; %bb.49:
	v_ashrrev_i32_e32 v11, 31, v10
	v_lshlrev_b64 v[4:5], 3, v[10:11]
	v_mov_b32_e32 v10, s31
	v_add_co_u32_e32 v4, vcc, s30, v4
	v_addc_co_u32_e32 v5, vcc, v10, v5, vcc
	v_mov_b32_e32 v10, v6
	v_mov_b32_e32 v11, v2
	global_store_dwordx2 v[4:5], v[10:11], off
.LBB42_50:
	s_or_b64 exec, exec, s[4:5]
	v_cmp_gt_i32_e32 vcc, s38, v33
	s_and_b64 exec, exec, vcc
	s_cbranch_execz .LBB42_65
; %bb.51:
	v_cndmask_b32_e64 v2, 0, 1, s[8:9]
	v_cmp_ne_u32_e64 s[4:5], 1, v2
	s_andn2_b64 vcc, exec, s[8:9]
	v_mov_b32_e32 v2, 1.0
	s_cbranch_vccnz .LBB42_53
; %bb.52:
	v_div_scale_f32 v2, s[8:9], v3, v3, 1.0
	v_rcp_f32_e32 v4, v2
	v_div_scale_f32 v5, vcc, 1.0, v3, 1.0
	v_fma_f32 v6, -v2, v4, 1.0
	v_fmac_f32_e32 v4, v6, v4
	v_mul_f32_e32 v6, v5, v4
	v_fma_f32 v10, -v2, v6, v5
	v_fmac_f32_e32 v6, v10, v4
	v_fma_f32 v2, -v2, v6, v5
	v_div_fmas_f32 v2, v2, v4, v6
	v_div_fixup_f32 v2, v2, v3, 1.0
.LBB42_53:
	v_add_u32_e32 v4, s12, v32
	v_mul_lo_u32 v4, v4, s39
	v_add_u32_e32 v4, s34, v4
	v_mul_lo_u32 v4, s10, v4
	v_add_u32_e32 v4, s11, v4
	v_cvt_f32_f16_sdwa v13, v49 dst_sel:DWORD dst_unused:UNUSED_PAD src0_sel:WORD_1
	v_cvt_f32_f16_e32 v12, v49
	v_cvt_f32_f16_sdwa v17, v53 dst_sel:DWORD dst_unused:UNUSED_PAD src0_sel:WORD_1
	v_cvt_f32_f16_e32 v16, v53
	v_lshl_add_u32 v14, v4, 8, v28
	v_mov_b32_e32 v15, 0
	v_lshlrev_b64 v[10:11], 2, v[14:15]
	v_mov_b32_e32 v5, s29
	v_add_co_u32_e32 v18, vcc, s28, v10
	v_addc_co_u32_e32 v19, vcc, v5, v11, vcc
	v_pk_mul_f32 v[10:11], v[2:3], v[12:13] op_sel_hi:[0,1]
	v_pk_mul_f32 v[12:13], v[2:3], v[16:17] op_sel_hi:[0,1]
	v_add_u32_e32 v14, 0x80, v14
	global_store_dwordx4 v[18:19], v[10:13], off
	s_nop 0
	v_lshlrev_b64 v[10:11], 2, v[14:15]
	v_cvt_f32_f16_sdwa v13, v52 dst_sel:DWORD dst_unused:UNUSED_PAD src0_sel:WORD_1
	v_cvt_f32_f16_e32 v12, v52
	v_cvt_f32_f16_sdwa v15, v51 dst_sel:DWORD dst_unused:UNUSED_PAD src0_sel:WORD_1
	v_cvt_f32_f16_e32 v14, v51
	v_add_co_u32_e32 v16, vcc, s28, v10
	v_addc_co_u32_e32 v17, vcc, v5, v11, vcc
	v_pk_mul_f32 v[10:11], v[2:3], v[12:13] op_sel_hi:[0,1]
	v_pk_mul_f32 v[12:13], v[2:3], v[14:15] op_sel_hi:[0,1]
	global_store_dwordx4 v[16:17], v[10:13], off
	s_and_saveexec_b64 s[8:9], s[6:7]
	s_cbranch_execz .LBB42_55
; %bb.54:
	v_ashrrev_i32_e32 v5, 31, v4
	v_lshlrev_b64 v[4:5], 3, v[4:5]
	v_mov_b32_e32 v2, s31
	v_add_co_u32_e32 v4, vcc, s30, v4
	v_addc_co_u32_e32 v5, vcc, v2, v5, vcc
	v_mov_b32_e32 v2, v7
	global_store_dwordx2 v[4:5], v[2:3], off
.LBB42_55:
	s_or_b64 exec, exec, s[8:9]
	v_cmp_gt_i32_e32 vcc, s38, v31
	s_and_b64 exec, exec, vcc
	s_cbranch_execz .LBB42_65
; %bb.56:
	s_and_b64 vcc, exec, s[4:5]
	v_mov_b32_e32 v4, 1.0
	s_cbranch_vccnz .LBB42_58
; %bb.57:
	v_div_scale_f32 v2, s[8:9], v0, v0, 1.0
	v_rcp_f32_e32 v3, v2
	v_div_scale_f32 v4, vcc, 1.0, v0, 1.0
	v_fma_f32 v5, -v2, v3, 1.0
	v_fmac_f32_e32 v3, v5, v3
	v_mul_f32_e32 v5, v4, v3
	v_fma_f32 v6, -v2, v5, v4
	v_fmac_f32_e32 v5, v6, v3
	v_fma_f32 v2, -v2, v5, v4
	v_div_fmas_f32 v2, v2, v3, v5
	v_div_fixup_f32 v4, v2, v0, 1.0
.LBB42_58:
	v_add_u32_e32 v2, s12, v30
	v_mul_lo_u32 v2, v2, s39
	v_add_u32_e32 v2, s34, v2
	v_mul_lo_u32 v2, s10, v2
	v_add_u32_e32 v2, s11, v2
	v_cvt_f32_f16_sdwa v13, v45 dst_sel:DWORD dst_unused:UNUSED_PAD src0_sel:WORD_1
	v_cvt_f32_f16_e32 v12, v45
	v_cvt_f32_f16_sdwa v15, v48 dst_sel:DWORD dst_unused:UNUSED_PAD src0_sel:WORD_1
	v_cvt_f32_f16_e32 v14, v48
	v_lshl_add_u32 v6, v2, 8, v28
	v_mov_b32_e32 v7, 0
	v_lshlrev_b64 v[10:11], 2, v[6:7]
	v_mov_b32_e32 v3, s29
	v_add_co_u32_e32 v16, vcc, s28, v10
	v_addc_co_u32_e32 v17, vcc, v3, v11, vcc
	v_pk_mul_f32 v[10:11], v[4:5], v[12:13] op_sel_hi:[0,1]
	v_pk_mul_f32 v[12:13], v[4:5], v[14:15] op_sel_hi:[0,1]
	global_store_dwordx4 v[16:17], v[10:13], off
	v_add_u32_e32 v6, 0x80, v6
	v_cvt_f32_f16_sdwa v11, v46 dst_sel:DWORD dst_unused:UNUSED_PAD src0_sel:WORD_1
	v_cvt_f32_f16_e32 v10, v46
	v_cvt_f32_f16_sdwa v13, v47 dst_sel:DWORD dst_unused:UNUSED_PAD src0_sel:WORD_1
	v_cvt_f32_f16_e32 v12, v47
	v_lshlrev_b64 v[6:7], 2, v[6:7]
	v_add_co_u32_e32 v6, vcc, s28, v6
	v_addc_co_u32_e32 v7, vcc, v3, v7, vcc
	v_pk_mul_f32 v[10:11], v[4:5], v[10:11] op_sel_hi:[0,1]
	v_pk_mul_f32 v[12:13], v[4:5], v[12:13] op_sel_hi:[0,1]
	global_store_dwordx4 v[6:7], v[10:13], off
	s_and_saveexec_b64 s[8:9], s[6:7]
	s_cbranch_execz .LBB42_60
; %bb.59:
	v_ashrrev_i32_e32 v3, 31, v2
	v_lshlrev_b64 v[2:3], 3, v[2:3]
	v_mov_b32_e32 v4, s31
	v_add_co_u32_e32 v2, vcc, s30, v2
	v_addc_co_u32_e32 v3, vcc, v4, v3, vcc
	v_mov_b32_e32 v4, v8
	v_mov_b32_e32 v5, v0
	global_store_dwordx2 v[2:3], v[4:5], off
.LBB42_60:
	s_or_b64 exec, exec, s[8:9]
	v_cmp_gt_i32_e32 vcc, s38, v29
	s_and_b64 exec, exec, vcc
	s_cbranch_execz .LBB42_65
; %bb.61:
	s_and_b64 vcc, exec, s[4:5]
	v_mov_b32_e32 v0, 1.0
	s_cbranch_vccnz .LBB42_63
; %bb.62:
	v_div_scale_f32 v0, s[4:5], v1, v1, 1.0
	v_rcp_f32_e32 v2, v0
	v_div_scale_f32 v3, vcc, 1.0, v1, 1.0
	v_fma_f32 v4, -v0, v2, 1.0
	v_fmac_f32_e32 v2, v4, v2
	v_mul_f32_e32 v4, v3, v2
	v_fma_f32 v5, -v0, v4, v3
	v_fmac_f32_e32 v4, v5, v2
	v_fma_f32 v0, -v0, v4, v3
	v_div_fmas_f32 v0, v0, v2, v4
	v_div_fixup_f32 v0, v0, v1, 1.0
.LBB42_63:
	v_add_u32_e32 v2, s12, v27
	v_mul_lo_u32 v2, v2, s39
	v_add_u32_e32 v2, s34, v2
	v_mul_lo_u32 v2, s10, v2
	v_add_u32_e32 v2, s11, v2
	v_cvt_f32_f16_sdwa v7, v44 dst_sel:DWORD dst_unused:UNUSED_PAD src0_sel:WORD_1
	v_cvt_f32_f16_e32 v6, v44
	v_cvt_f32_f16_sdwa v13, v43 dst_sel:DWORD dst_unused:UNUSED_PAD src0_sel:WORD_1
	v_cvt_f32_f16_e32 v12, v43
	v_lshl_add_u32 v10, v2, 8, v28
	v_mov_b32_e32 v11, 0
	v_lshlrev_b64 v[4:5], 2, v[10:11]
	v_mov_b32_e32 v3, s29
	v_add_co_u32_e32 v14, vcc, s28, v4
	v_addc_co_u32_e32 v15, vcc, v3, v5, vcc
	v_pk_mul_f32 v[4:5], v[0:1], v[6:7] op_sel_hi:[0,1]
	v_pk_mul_f32 v[6:7], v[0:1], v[12:13] op_sel_hi:[0,1]
	v_add_u32_e32 v10, 0x80, v10
	global_store_dwordx4 v[14:15], v[4:7], off
	s_nop 0
	v_lshlrev_b64 v[4:5], 2, v[10:11]
	v_cvt_f32_f16_sdwa v7, v42 dst_sel:DWORD dst_unused:UNUSED_PAD src0_sel:WORD_1
	v_cvt_f32_f16_e32 v6, v42
	v_cvt_f32_f16_sdwa v11, v40 dst_sel:DWORD dst_unused:UNUSED_PAD src0_sel:WORD_1
	v_cvt_f32_f16_e32 v10, v40
	v_add_co_u32_e32 v12, vcc, s28, v4
	v_addc_co_u32_e32 v13, vcc, v3, v5, vcc
	v_pk_mul_f32 v[4:5], v[0:1], v[6:7] op_sel_hi:[0,1]
	v_pk_mul_f32 v[6:7], v[0:1], v[10:11] op_sel_hi:[0,1]
	global_store_dwordx4 v[12:13], v[4:7], off
	s_and_b64 exec, exec, s[6:7]
	s_cbranch_execz .LBB42_65
; %bb.64:
	v_ashrrev_i32_e32 v3, 31, v2
	v_lshlrev_b64 v[2:3], 3, v[2:3]
	v_mov_b32_e32 v0, s31
	v_add_co_u32_e32 v2, vcc, s30, v2
	v_addc_co_u32_e32 v3, vcc, v0, v3, vcc
	v_mov_b32_e32 v0, v9
	global_store_dwordx2 v[2:3], v[0:1], off
.LBB42_65:
	s_endpgm
	.section	.rodata,"a",@progbits
	.p2align	6, 0x0
	.amdhsa_kernel _ZL15flash_attn_tileILi256ELi256ELi32ELi1ELb0EEvPKcS1_S1_S1_S1_PKiPfP15HIP_vector_typeIfLj2EEffffjfiS5_IjLj3EEiiiiiiiiiiiliiliiiiil
		.amdhsa_group_segment_fixed_size 31232
		.amdhsa_private_segment_fixed_size 32
		.amdhsa_kernarg_size 464
		.amdhsa_user_sgpr_count 10
		.amdhsa_user_sgpr_private_segment_buffer 1
		.amdhsa_user_sgpr_dispatch_ptr 1
		.amdhsa_user_sgpr_queue_ptr 0
		.amdhsa_user_sgpr_kernarg_segment_ptr 1
		.amdhsa_user_sgpr_dispatch_id 0
		.amdhsa_user_sgpr_flat_scratch_init 1
		.amdhsa_user_sgpr_kernarg_preload_length 0
		.amdhsa_user_sgpr_kernarg_preload_offset 0
		.amdhsa_user_sgpr_private_segment_size 0
		.amdhsa_uses_dynamic_stack 0
		.amdhsa_system_sgpr_private_segment_wavefront_offset 1
		.amdhsa_system_sgpr_workgroup_id_x 1
		.amdhsa_system_sgpr_workgroup_id_y 1
		.amdhsa_system_sgpr_workgroup_id_z 1
		.amdhsa_system_sgpr_workgroup_info 0
		.amdhsa_system_vgpr_workitem_id 2
		.amdhsa_next_free_vgpr 125
		.amdhsa_next_free_sgpr 52
		.amdhsa_accum_offset 128
		.amdhsa_reserve_vcc 1
		.amdhsa_reserve_flat_scratch 1
		.amdhsa_float_round_mode_32 0
		.amdhsa_float_round_mode_16_64 0
		.amdhsa_float_denorm_mode_32 3
		.amdhsa_float_denorm_mode_16_64 3
		.amdhsa_dx10_clamp 1
		.amdhsa_ieee_mode 1
		.amdhsa_fp16_overflow 0
		.amdhsa_tg_split 0
		.amdhsa_exception_fp_ieee_invalid_op 0
		.amdhsa_exception_fp_denorm_src 0
		.amdhsa_exception_fp_ieee_div_zero 0
		.amdhsa_exception_fp_ieee_overflow 0
		.amdhsa_exception_fp_ieee_underflow 0
		.amdhsa_exception_fp_ieee_inexact 0
		.amdhsa_exception_int_div_zero 0
	.end_amdhsa_kernel
	.section	.text._ZL15flash_attn_tileILi256ELi256ELi32ELi1ELb0EEvPKcS1_S1_S1_S1_PKiPfP15HIP_vector_typeIfLj2EEffffjfiS5_IjLj3EEiiiiiiiiiiiliiliiiiil,"axG",@progbits,_ZL15flash_attn_tileILi256ELi256ELi32ELi1ELb0EEvPKcS1_S1_S1_S1_PKiPfP15HIP_vector_typeIfLj2EEffffjfiS5_IjLj3EEiiiiiiiiiiiliiliiiiil,comdat
.Lfunc_end42:
	.size	_ZL15flash_attn_tileILi256ELi256ELi32ELi1ELb0EEvPKcS1_S1_S1_S1_PKiPfP15HIP_vector_typeIfLj2EEffffjfiS5_IjLj3EEiiiiiiiiiiiliiliiiiil, .Lfunc_end42-_ZL15flash_attn_tileILi256ELi256ELi32ELi1ELb0EEvPKcS1_S1_S1_S1_PKiPfP15HIP_vector_typeIfLj2EEffffjfiS5_IjLj3EEiiiiiiiiiiiliiliiiiil
                                        ; -- End function
	.section	.AMDGPU.csdata,"",@progbits
; Kernel info:
; codeLenInByte = 32192
; NumSgprs: 58
; NumVgprs: 125
; NumAgprs: 0
; TotalNumVgprs: 125
; ScratchSize: 32
; MemoryBound: 0
; FloatMode: 240
; IeeeMode: 1
; LDSByteSize: 31232 bytes/workgroup (compile time only)
; SGPRBlocks: 7
; VGPRBlocks: 15
; NumSGPRsForWavesPerEU: 58
; NumVGPRsForWavesPerEU: 125
; AccumOffset: 128
; Occupancy: 2
; WaveLimiterHint : 1
; COMPUTE_PGM_RSRC2:SCRATCH_EN: 1
; COMPUTE_PGM_RSRC2:USER_SGPR: 10
; COMPUTE_PGM_RSRC2:TRAP_HANDLER: 0
; COMPUTE_PGM_RSRC2:TGID_X_EN: 1
; COMPUTE_PGM_RSRC2:TGID_Y_EN: 1
; COMPUTE_PGM_RSRC2:TGID_Z_EN: 1
; COMPUTE_PGM_RSRC2:TIDIG_COMP_CNT: 2
; COMPUTE_PGM_RSRC3_GFX90A:ACCUM_OFFSET: 31
; COMPUTE_PGM_RSRC3_GFX90A:TG_SPLIT: 0
	.section	.text._ZL25flash_attn_mask_to_KV_maxILi32EEvPK7__half2Piiii,"axG",@progbits,_ZL25flash_attn_mask_to_KV_maxILi32EEvPK7__half2Piiii,comdat
	.globl	_ZL25flash_attn_mask_to_KV_maxILi32EEvPK7__half2Piiii ; -- Begin function _ZL25flash_attn_mask_to_KV_maxILi32EEvPK7__half2Piiii
	.p2align	8
	.type	_ZL25flash_attn_mask_to_KV_maxILi32EEvPK7__half2Piiii,@function
_ZL25flash_attn_mask_to_KV_maxILi32EEvPK7__half2Piiii: ; @_ZL25flash_attn_mask_to_KV_maxILi32EEvPK7__half2Piiii
; %bb.0:
	s_load_dwordx4 s[8:11], s[4:5], 0x0
	v_cmp_gt_u32_e32 vcc, 32, v0
	s_and_saveexec_b64 s[0:1], vcc
	s_cbranch_execz .LBB43_2
; %bb.1:
	v_lshlrev_b32_e32 v1, 2, v0
	v_mov_b32_e32 v2, 1
	ds_write_b32 v1, v2
.LBB43_2:
	s_or_b64 exec, exec, s[0:1]
	s_load_dwordx4 s[12:15], s[4:5], 0x10
	s_load_dword s33, s[4:5], 0x20
	v_and_b32_e32 v2, 31, v0
	v_lshlrev_b32_e32 v6, 2, v2
	v_lshrrev_b32_e32 v1, 3, v0
	s_waitcnt lgkmcnt(0)
	s_mul_i32 s1, s6, s13
	s_mul_i32 s0, s7, s14
	s_lshl_b32 s1, s1, 5
	s_add_i32 s0, s0, s1
	s_ashr_i32 s1, s0, 31
	s_lshl_b64 s[0:1], s[0:1], 2
	s_add_u32 s94, s8, s0
	s_addc_u32 s95, s9, s1
	v_cmp_eq_u32_e64 s[0:1], 0, v2
	v_mbcnt_lo_u32_b32 v2, -1, 0
	s_lshl_b32 s12, s12, 8
	s_mov_b64 s[4:5], 0
	v_mov_b32_e32 v3, 0
	s_movk_i32 s92, 0x204
	s_movk_i32 s93, 0x7fff
	;; [unrolled: 1-line block ×3, first 2 shown]
	v_mbcnt_hi_u32_b32 v7, -1, v2
	s_barrier
	s_waitcnt lgkmcnt(0)
                                        ; implicit-def: $sgpr2_sgpr3
	s_branch .LBB43_5
.LBB43_3:                               ;   in Loop: Header=BB43_5 Depth=1
	s_or_b64 exec, exec, s[8:9]
	s_waitcnt lgkmcnt(0)
	s_barrier
	ds_read_b32 v10, v6
	s_waitcnt lgkmcnt(0)
	s_barrier
	ds_bpermute_b32 v2, v2, v10
	v_cmp_ne_u32_e32 vcc, 0, v10
	s_waitcnt lgkmcnt(0)
	v_cmp_ne_u32_e64 s[2:3], 0, v2
	s_and_b64 s[2:3], vcc, s[2:3]
	v_cndmask_b32_e64 v2, 0, 1, s[2:3]
	ds_bpermute_b32 v2, v4, v2
	s_waitcnt lgkmcnt(0)
	v_cmp_ne_u32_e32 vcc, 0, v2
	s_and_b64 s[2:3], vcc, s[2:3]
	v_cndmask_b32_e64 v2, 0, 1, s[2:3]
	ds_bpermute_b32 v2, v5, v2
	s_waitcnt lgkmcnt(0)
	v_cmp_ne_u32_e32 vcc, 0, v2
	;; [unrolled: 5-line block ×3, first 2 shown]
	s_and_b64 s[2:3], vcc, s[2:3]
	v_cndmask_b32_e64 v2, 0, 1, s[2:3]
	ds_bpermute_b32 v2, v9, v2
	s_xor_b64 s[2:3], s[2:3], -1
	s_waitcnt lgkmcnt(0)
	v_cmp_eq_u32_e32 vcc, 0, v2
	s_or_b64 s[2:3], vcc, s[2:3]
.LBB43_4:                               ;   in Loop: Header=BB43_5 Depth=1
	s_and_b64 s[8:9], exec, s[2:3]
	s_or_b64 s[4:5], s[8:9], s[4:5]
	v_mov_b32_e32 v2, s12
	s_mov_b32 s12, s91
	s_andn2_b64 exec, exec, s[4:5]
	s_cbranch_execz .LBB43_132
.LBB43_5:                               ; =>This Inner Loop Header: Depth=1
	s_add_i32 s91, s12, 0xffffff00
	s_or_b64 s[2:3], s[2:3], exec
	s_cmp_lt_i32 s91, 0
	s_cbranch_scc1 .LBB43_4
; %bb.6:                                ;   in Loop: Header=BB43_5 Depth=1
	s_lshr_b32 s2, s91, 1
	v_add_u32_e32 v2, s2, v0
	v_lshlrev_b64 v[4:5], 2, v[2:3]
	v_mov_b32_e32 v8, s95
	v_add_co_u32_e32 v4, vcc, s94, v4
	v_addc_co_u32_e32 v5, vcc, v8, v5, vcc
	global_load_dword v4, v[4:5], off
	s_mov_b64 s[8:9], 0
	s_waitcnt vmcnt(0)
	v_cmp_class_f16_e64 s[2:3], v4, s92
	v_and_b32_sdwa v4, s93, v4 dst_sel:DWORD dst_unused:UNUSED_PAD src0_sel:DWORD src1_sel:WORD_1
	v_cmp_eq_f16_e32 vcc, s90, v4
	s_and_b64 s[14:15], s[2:3], vcc
	s_and_saveexec_b64 s[2:3], s[14:15]
	s_cbranch_execz .LBB43_130
; %bb.7:                                ;   in Loop: Header=BB43_5 Depth=1
	v_add_u32_e32 v4, s13, v2
	v_ashrrev_i32_e32 v5, 31, v4
	v_lshlrev_b64 v[8:9], 2, v[4:5]
	v_mov_b32_e32 v2, s95
	v_add_co_u32_e32 v8, vcc, s94, v8
	v_addc_co_u32_e32 v9, vcc, v2, v9, vcc
	global_load_dword v2, v[8:9], off
	s_mov_b64 s[14:15], 0
	s_waitcnt vmcnt(0)
	v_cmp_class_f16_e64 s[16:17], v2, s92
	s_and_saveexec_b64 s[8:9], s[16:17]
	s_cbranch_execz .LBB43_129
; %bb.8:                                ;   in Loop: Header=BB43_5 Depth=1
	v_cmp_class_f16_sdwa s[18:19], v2, s92 src0_sel:WORD_1 src1_sel:DWORD
	s_mov_b64 s[16:17], 0
	s_and_saveexec_b64 s[14:15], s[18:19]
	s_cbranch_execz .LBB43_128
; %bb.9:                                ;   in Loop: Header=BB43_5 Depth=1
	v_add_u32_e32 v4, s13, v4
	v_ashrrev_i32_e32 v5, 31, v4
	v_lshlrev_b64 v[8:9], 2, v[4:5]
	v_mov_b32_e32 v2, s95
	v_add_co_u32_e32 v8, vcc, s94, v8
	v_addc_co_u32_e32 v9, vcc, v2, v9, vcc
	global_load_dword v2, v[8:9], off
	s_mov_b64 s[18:19], 0
	s_waitcnt vmcnt(0)
	v_cmp_class_f16_e64 s[20:21], v2, s92
	s_and_saveexec_b64 s[16:17], s[20:21]
	s_cbranch_execz .LBB43_127
; %bb.10:                               ;   in Loop: Header=BB43_5 Depth=1
	v_cmp_class_f16_sdwa s[22:23], v2, s92 src0_sel:WORD_1 src1_sel:DWORD
	s_mov_b64 s[20:21], 0
	s_and_saveexec_b64 s[18:19], s[22:23]
	s_cbranch_execz .LBB43_126
; %bb.11:                               ;   in Loop: Header=BB43_5 Depth=1
	v_add_u32_e32 v4, s13, v4
	v_ashrrev_i32_e32 v5, 31, v4
	v_lshlrev_b64 v[8:9], 2, v[4:5]
	v_mov_b32_e32 v2, s95
	v_add_co_u32_e32 v8, vcc, s94, v8
	v_addc_co_u32_e32 v9, vcc, v2, v9, vcc
	global_load_dword v2, v[8:9], off
	s_mov_b64 s[22:23], 0
	s_waitcnt vmcnt(0)
	v_cmp_class_f16_e64 s[24:25], v2, s92
	s_and_saveexec_b64 s[20:21], s[24:25]
	s_cbranch_execz .LBB43_125
; %bb.12:                               ;   in Loop: Header=BB43_5 Depth=1
	v_cmp_class_f16_sdwa s[26:27], v2, s92 src0_sel:WORD_1 src1_sel:DWORD
	s_mov_b64 s[24:25], 0
	s_and_saveexec_b64 s[22:23], s[26:27]
	s_cbranch_execz .LBB43_124
; %bb.13:                               ;   in Loop: Header=BB43_5 Depth=1
	;; [unrolled: 18-line block ×17, first 2 shown]
	v_add_u32_e32 v4, s13, v4
	v_ashrrev_i32_e32 v5, 31, v4
	v_lshlrev_b64 v[8:9], 2, v[4:5]
	v_mov_b32_e32 v2, s95
	v_add_co_u32_e32 v8, vcc, s94, v8
	v_addc_co_u32_e32 v9, vcc, v2, v9, vcc
	global_load_dword v2, v[8:9], off
	s_mov_b64 s[88:89], 0
	s_waitcnt vmcnt(0)
	v_cmp_class_f16_e64 vcc, v2, s92
	s_mov_b64 s[86:87], exec
                                        ; implicit-def: $vgpr12 : SGPR spill to VGPR lane
	v_writelane_b32 v12, s86, 0
	s_and_b64 vcc, s[86:87], vcc
	v_writelane_b32 v12, s87, 1
	s_mov_b64 exec, vcc
	s_cbranch_execz .LBB43_93
; %bb.44:                               ;   in Loop: Header=BB43_5 Depth=1
	v_cmp_class_f16_sdwa s[88:89], v2, s92 src0_sel:WORD_1 src1_sel:DWORD
	s_mov_b64 vcc, 0
	s_mov_b64 s[86:87], exec
	v_writelane_b32 v12, s86, 2
	s_and_b64 s[88:89], s[86:87], s[88:89]
	v_writelane_b32 v12, s87, 3
	s_mov_b64 exec, s[88:89]
	s_cbranch_execz .LBB43_92
; %bb.45:                               ;   in Loop: Header=BB43_5 Depth=1
	v_add_u32_e32 v4, s13, v4
	v_ashrrev_i32_e32 v5, 31, v4
	v_lshlrev_b64 v[8:9], 2, v[4:5]
	v_mov_b32_e32 v2, s95
	v_add_co_u32_e32 v8, vcc, s94, v8
	v_addc_co_u32_e32 v9, vcc, v2, v9, vcc
	global_load_dword v2, v[8:9], off
	s_mov_b64 vcc, 0
	s_waitcnt vmcnt(0)
	v_cmp_class_f16_e64 s[88:89], v2, s92
	s_mov_b64 s[86:87], exec
	v_writelane_b32 v12, s86, 4
	s_and_b64 s[88:89], s[86:87], s[88:89]
	v_writelane_b32 v12, s87, 5
	s_mov_b64 exec, s[88:89]
	s_cbranch_execz .LBB43_91
; %bb.46:                               ;   in Loop: Header=BB43_5 Depth=1
	v_cmp_class_f16_sdwa s[88:89], v2, s92 src0_sel:WORD_1 src1_sel:DWORD
	s_mov_b64 vcc, 0
	s_mov_b64 s[86:87], exec
	v_writelane_b32 v12, s86, 6
	s_and_b64 s[88:89], s[86:87], s[88:89]
	v_writelane_b32 v12, s87, 7
	s_mov_b64 exec, s[88:89]
	s_cbranch_execz .LBB43_90
; %bb.47:                               ;   in Loop: Header=BB43_5 Depth=1
	v_add_u32_e32 v4, s13, v4
	v_ashrrev_i32_e32 v5, 31, v4
	v_lshlrev_b64 v[8:9], 2, v[4:5]
	v_mov_b32_e32 v2, s95
	v_add_co_u32_e32 v8, vcc, s94, v8
	v_addc_co_u32_e32 v9, vcc, v2, v9, vcc
	global_load_dword v2, v[8:9], off
	s_mov_b64 vcc, 0
	s_waitcnt vmcnt(0)
	v_cmp_class_f16_e64 s[88:89], v2, s92
	s_mov_b64 s[86:87], exec
	v_writelane_b32 v12, s86, 8
	s_and_b64 s[88:89], s[86:87], s[88:89]
	v_writelane_b32 v12, s87, 9
	s_mov_b64 exec, s[88:89]
	;; [unrolled: 26-line block ×11, first 2 shown]
	s_cbranch_execz .LBB43_71
; %bb.66:                               ;   in Loop: Header=BB43_5 Depth=1
	v_cmp_class_f16_sdwa s[88:89], v2, s92 src0_sel:WORD_1 src1_sel:DWORD
	s_mov_b64 vcc, 0
	s_mov_b64 s[86:87], exec
	v_writelane_b32 v12, s86, 46
	s_and_b64 s[88:89], s[86:87], s[88:89]
	v_writelane_b32 v12, s87, 47
	s_mov_b64 exec, s[88:89]
	s_cbranch_execz .LBB43_70
; %bb.67:                               ;   in Loop: Header=BB43_5 Depth=1
	v_add_u32_e32 v4, s13, v4
	v_ashrrev_i32_e32 v5, 31, v4
	v_lshlrev_b64 v[4:5], 2, v[4:5]
	v_mov_b32_e32 v2, s95
	v_add_co_u32_e32 v4, vcc, s94, v4
	v_addc_co_u32_e32 v5, vcc, v2, v5, vcc
	global_load_dword v2, v[4:5], off
	s_mov_b64 vcc, 0
	s_waitcnt vmcnt(0)
	v_cmp_class_f16_e64 s[88:89], v2, s92
	s_and_saveexec_b64 s[86:87], s[88:89]
; %bb.68:                               ;   in Loop: Header=BB43_5 Depth=1
	v_cmp_class_f16_sdwa s[88:89], v2, s92 src0_sel:WORD_1 src1_sel:DWORD
	s_and_b64 vcc, s[88:89], exec
; %bb.69:                               ;   in Loop: Header=BB43_5 Depth=1
	s_or_b64 exec, exec, s[86:87]
	s_and_b64 vcc, vcc, exec
.LBB43_70:                              ;   in Loop: Header=BB43_5 Depth=1
	v_readlane_b32 s88, v12, 46
	v_readlane_b32 s89, v12, 47
	s_or_b64 exec, exec, s[88:89]
	s_and_b64 vcc, vcc, exec
.LBB43_71:                              ;   in Loop: Header=BB43_5 Depth=1
	v_readlane_b32 s86, v12, 44
	v_readlane_b32 s87, v12, 45
	s_or_b64 exec, exec, s[86:87]
	s_and_b64 vcc, vcc, exec
.LBB43_72:                              ;   in Loop: Header=BB43_5 Depth=1
	v_readlane_b32 s88, v12, 42
	v_readlane_b32 s89, v12, 43
	s_or_b64 exec, exec, s[88:89]
	s_and_b64 vcc, vcc, exec
.LBB43_73:                              ;   in Loop: Header=BB43_5 Depth=1
	v_readlane_b32 s86, v12, 40
	v_readlane_b32 s87, v12, 41
	s_or_b64 exec, exec, s[86:87]
	s_and_b64 vcc, vcc, exec
.LBB43_74:                              ;   in Loop: Header=BB43_5 Depth=1
	v_readlane_b32 s88, v12, 38
	v_readlane_b32 s89, v12, 39
	s_or_b64 exec, exec, s[88:89]
	s_and_b64 vcc, vcc, exec
.LBB43_75:                              ;   in Loop: Header=BB43_5 Depth=1
	v_readlane_b32 s86, v12, 36
	v_readlane_b32 s87, v12, 37
	s_or_b64 exec, exec, s[86:87]
	s_and_b64 vcc, vcc, exec
.LBB43_76:                              ;   in Loop: Header=BB43_5 Depth=1
	v_readlane_b32 s88, v12, 34
	v_readlane_b32 s89, v12, 35
	s_or_b64 exec, exec, s[88:89]
	s_and_b64 vcc, vcc, exec
.LBB43_77:                              ;   in Loop: Header=BB43_5 Depth=1
	v_readlane_b32 s86, v12, 32
	v_readlane_b32 s87, v12, 33
	s_or_b64 exec, exec, s[86:87]
	s_and_b64 vcc, vcc, exec
.LBB43_78:                              ;   in Loop: Header=BB43_5 Depth=1
	v_readlane_b32 s88, v12, 30
	v_readlane_b32 s89, v12, 31
	s_or_b64 exec, exec, s[88:89]
	s_and_b64 vcc, vcc, exec
.LBB43_79:                              ;   in Loop: Header=BB43_5 Depth=1
	v_readlane_b32 s86, v12, 28
	v_readlane_b32 s87, v12, 29
	s_or_b64 exec, exec, s[86:87]
	s_and_b64 vcc, vcc, exec
.LBB43_80:                              ;   in Loop: Header=BB43_5 Depth=1
	v_readlane_b32 s88, v12, 26
	v_readlane_b32 s89, v12, 27
	s_or_b64 exec, exec, s[88:89]
	s_and_b64 vcc, vcc, exec
.LBB43_81:                              ;   in Loop: Header=BB43_5 Depth=1
	v_readlane_b32 s86, v12, 24
	v_readlane_b32 s87, v12, 25
	s_or_b64 exec, exec, s[86:87]
	s_and_b64 vcc, vcc, exec
.LBB43_82:                              ;   in Loop: Header=BB43_5 Depth=1
	v_readlane_b32 s88, v12, 22
	v_readlane_b32 s89, v12, 23
	s_or_b64 exec, exec, s[88:89]
	s_and_b64 vcc, vcc, exec
.LBB43_83:                              ;   in Loop: Header=BB43_5 Depth=1
	v_readlane_b32 s86, v12, 20
	v_readlane_b32 s87, v12, 21
	s_or_b64 exec, exec, s[86:87]
	s_and_b64 vcc, vcc, exec
.LBB43_84:                              ;   in Loop: Header=BB43_5 Depth=1
	v_readlane_b32 s88, v12, 18
	v_readlane_b32 s89, v12, 19
	s_or_b64 exec, exec, s[88:89]
	s_and_b64 vcc, vcc, exec
.LBB43_85:                              ;   in Loop: Header=BB43_5 Depth=1
	v_readlane_b32 s86, v12, 16
	v_readlane_b32 s87, v12, 17
	s_or_b64 exec, exec, s[86:87]
	s_and_b64 vcc, vcc, exec
.LBB43_86:                              ;   in Loop: Header=BB43_5 Depth=1
	v_readlane_b32 s88, v12, 14
	v_readlane_b32 s89, v12, 15
	s_or_b64 exec, exec, s[88:89]
	s_and_b64 vcc, vcc, exec
.LBB43_87:                              ;   in Loop: Header=BB43_5 Depth=1
	v_readlane_b32 s86, v12, 12
	v_readlane_b32 s87, v12, 13
	s_or_b64 exec, exec, s[86:87]
	s_and_b64 vcc, vcc, exec
.LBB43_88:                              ;   in Loop: Header=BB43_5 Depth=1
	v_readlane_b32 s88, v12, 10
	v_readlane_b32 s89, v12, 11
	s_or_b64 exec, exec, s[88:89]
	s_and_b64 vcc, vcc, exec
.LBB43_89:                              ;   in Loop: Header=BB43_5 Depth=1
	v_readlane_b32 s86, v12, 8
	v_readlane_b32 s87, v12, 9
	s_or_b64 exec, exec, s[86:87]
	s_and_b64 vcc, vcc, exec
.LBB43_90:                              ;   in Loop: Header=BB43_5 Depth=1
	v_readlane_b32 s88, v12, 6
	v_readlane_b32 s89, v12, 7
	s_or_b64 exec, exec, s[88:89]
	s_and_b64 vcc, vcc, exec
.LBB43_91:                              ;   in Loop: Header=BB43_5 Depth=1
	v_readlane_b32 s86, v12, 4
	v_readlane_b32 s87, v12, 5
	s_or_b64 exec, exec, s[86:87]
	s_and_b64 vcc, vcc, exec
.LBB43_92:                              ;   in Loop: Header=BB43_5 Depth=1
	v_readlane_b32 s88, v12, 2
	v_readlane_b32 s89, v12, 3
	s_or_b64 exec, exec, s[88:89]
	s_and_b64 s[88:89], vcc, exec
.LBB43_93:                              ;   in Loop: Header=BB43_5 Depth=1
	v_readlane_b32 s86, v12, 0
	v_readlane_b32 s87, v12, 1
	s_or_b64 exec, exec, s[86:87]
	s_and_b64 s[86:87], s[88:89], exec
.LBB43_94:                              ;   in Loop: Header=BB43_5 Depth=1
	s_or_b64 exec, exec, s[84:85]
	s_and_b64 s[84:85], s[86:87], exec
.LBB43_95:                              ;   in Loop: Header=BB43_5 Depth=1
	s_or_b64 exec, exec, s[82:83]
	s_and_b64 s[82:83], s[84:85], exec
.LBB43_96:                              ;   in Loop: Header=BB43_5 Depth=1
	s_or_b64 exec, exec, s[80:81]
	s_and_b64 s[80:81], s[82:83], exec
.LBB43_97:                              ;   in Loop: Header=BB43_5 Depth=1
	s_or_b64 exec, exec, s[78:79]
	s_and_b64 s[78:79], s[80:81], exec
.LBB43_98:                              ;   in Loop: Header=BB43_5 Depth=1
	s_or_b64 exec, exec, s[76:77]
	s_and_b64 s[76:77], s[78:79], exec
.LBB43_99:                              ;   in Loop: Header=BB43_5 Depth=1
	s_or_b64 exec, exec, s[74:75]
	s_and_b64 s[74:75], s[76:77], exec
.LBB43_100:                             ;   in Loop: Header=BB43_5 Depth=1
	s_or_b64 exec, exec, s[72:73]
	s_and_b64 s[72:73], s[74:75], exec
.LBB43_101:                             ;   in Loop: Header=BB43_5 Depth=1
	s_or_b64 exec, exec, s[70:71]
	s_and_b64 s[70:71], s[72:73], exec
.LBB43_102:                             ;   in Loop: Header=BB43_5 Depth=1
	s_or_b64 exec, exec, s[68:69]
	s_and_b64 s[68:69], s[70:71], exec
.LBB43_103:                             ;   in Loop: Header=BB43_5 Depth=1
	s_or_b64 exec, exec, s[66:67]
	s_and_b64 s[66:67], s[68:69], exec
.LBB43_104:                             ;   in Loop: Header=BB43_5 Depth=1
	s_or_b64 exec, exec, s[64:65]
	s_and_b64 s[64:65], s[66:67], exec
.LBB43_105:                             ;   in Loop: Header=BB43_5 Depth=1
	s_or_b64 exec, exec, s[62:63]
	s_and_b64 s[62:63], s[64:65], exec
.LBB43_106:                             ;   in Loop: Header=BB43_5 Depth=1
	s_or_b64 exec, exec, s[60:61]
	s_and_b64 s[60:61], s[62:63], exec
.LBB43_107:                             ;   in Loop: Header=BB43_5 Depth=1
	s_or_b64 exec, exec, s[58:59]
	s_and_b64 s[58:59], s[60:61], exec
.LBB43_108:                             ;   in Loop: Header=BB43_5 Depth=1
	s_or_b64 exec, exec, s[56:57]
	s_and_b64 s[56:57], s[58:59], exec
.LBB43_109:                             ;   in Loop: Header=BB43_5 Depth=1
	s_or_b64 exec, exec, s[54:55]
	s_and_b64 s[54:55], s[56:57], exec
.LBB43_110:                             ;   in Loop: Header=BB43_5 Depth=1
	s_or_b64 exec, exec, s[52:53]
	s_and_b64 s[52:53], s[54:55], exec
.LBB43_111:                             ;   in Loop: Header=BB43_5 Depth=1
	s_or_b64 exec, exec, s[50:51]
	s_and_b64 s[50:51], s[52:53], exec
.LBB43_112:                             ;   in Loop: Header=BB43_5 Depth=1
	s_or_b64 exec, exec, s[48:49]
	s_and_b64 s[48:49], s[50:51], exec
.LBB43_113:                             ;   in Loop: Header=BB43_5 Depth=1
	s_or_b64 exec, exec, s[46:47]
	s_and_b64 s[46:47], s[48:49], exec
.LBB43_114:                             ;   in Loop: Header=BB43_5 Depth=1
	s_or_b64 exec, exec, s[44:45]
	s_and_b64 s[44:45], s[46:47], exec
.LBB43_115:                             ;   in Loop: Header=BB43_5 Depth=1
	s_or_b64 exec, exec, s[42:43]
	s_and_b64 s[42:43], s[44:45], exec
.LBB43_116:                             ;   in Loop: Header=BB43_5 Depth=1
	s_or_b64 exec, exec, s[40:41]
	s_and_b64 s[40:41], s[42:43], exec
.LBB43_117:                             ;   in Loop: Header=BB43_5 Depth=1
	s_or_b64 exec, exec, s[38:39]
	s_and_b64 s[38:39], s[40:41], exec
.LBB43_118:                             ;   in Loop: Header=BB43_5 Depth=1
	s_or_b64 exec, exec, s[36:37]
	s_and_b64 s[36:37], s[38:39], exec
.LBB43_119:                             ;   in Loop: Header=BB43_5 Depth=1
	s_or_b64 exec, exec, s[34:35]
	s_and_b64 s[34:35], s[36:37], exec
.LBB43_120:                             ;   in Loop: Header=BB43_5 Depth=1
	s_or_b64 exec, exec, s[30:31]
	s_and_b64 s[30:31], s[34:35], exec
.LBB43_121:                             ;   in Loop: Header=BB43_5 Depth=1
	s_or_b64 exec, exec, s[28:29]
	s_and_b64 s[28:29], s[30:31], exec
.LBB43_122:                             ;   in Loop: Header=BB43_5 Depth=1
	s_or_b64 exec, exec, s[26:27]
	s_and_b64 s[26:27], s[28:29], exec
.LBB43_123:                             ;   in Loop: Header=BB43_5 Depth=1
	s_or_b64 exec, exec, s[24:25]
	s_and_b64 s[24:25], s[26:27], exec
.LBB43_124:                             ;   in Loop: Header=BB43_5 Depth=1
	s_or_b64 exec, exec, s[22:23]
	s_and_b64 s[22:23], s[24:25], exec
.LBB43_125:                             ;   in Loop: Header=BB43_5 Depth=1
	s_or_b64 exec, exec, s[20:21]
	s_and_b64 s[20:21], s[22:23], exec
.LBB43_126:                             ;   in Loop: Header=BB43_5 Depth=1
	s_or_b64 exec, exec, s[18:19]
	s_and_b64 s[18:19], s[20:21], exec
.LBB43_127:                             ;   in Loop: Header=BB43_5 Depth=1
	s_or_b64 exec, exec, s[16:17]
	s_and_b64 s[16:17], s[18:19], exec
.LBB43_128:                             ;   in Loop: Header=BB43_5 Depth=1
	s_or_b64 exec, exec, s[14:15]
	s_and_b64 s[14:15], s[16:17], exec
.LBB43_129:                             ;   in Loop: Header=BB43_5 Depth=1
	s_or_b64 exec, exec, s[8:9]
	s_and_b64 s[8:9], s[14:15], exec
.LBB43_130:                             ;   in Loop: Header=BB43_5 Depth=1
	s_or_b64 exec, exec, s[2:3]
	v_and_b32_e32 v2, 0x60, v7
	v_add_u32_e32 v9, 32, v2
	v_xor_b32_e32 v2, 16, v7
	v_cmp_lt_i32_e32 vcc, v2, v9
	v_cndmask_b32_e32 v2, v7, v2, vcc
	v_cndmask_b32_e64 v4, 0, 1, s[8:9]
	v_lshlrev_b32_e32 v2, 2, v2
	ds_bpermute_b32 v4, v2, v4
	v_xor_b32_e32 v11, 1, v7
	s_waitcnt lgkmcnt(0)
	v_cmp_ne_u32_e32 vcc, 0, v4
	v_xor_b32_e32 v4, 8, v7
	s_and_b64 s[2:3], s[8:9], vcc
	v_cmp_lt_i32_e32 vcc, v4, v9
	v_cndmask_b32_e32 v4, v7, v4, vcc
	v_cndmask_b32_e64 v5, 0, 1, s[2:3]
	v_lshlrev_b32_e32 v4, 2, v4
	ds_bpermute_b32 v5, v4, v5
	s_waitcnt lgkmcnt(0)
	v_cmp_ne_u32_e32 vcc, 0, v5
	v_xor_b32_e32 v5, 4, v7
	s_and_b64 s[2:3], vcc, s[2:3]
	v_cmp_lt_i32_e32 vcc, v5, v9
	v_cndmask_b32_e32 v5, v7, v5, vcc
	v_cndmask_b32_e64 v8, 0, 1, s[2:3]
	v_lshlrev_b32_e32 v5, 2, v5
	ds_bpermute_b32 v8, v5, v8
	s_waitcnt lgkmcnt(0)
	v_cmp_ne_u32_e32 vcc, 0, v8
	v_xor_b32_e32 v8, 2, v7
	s_and_b64 s[2:3], vcc, s[2:3]
	v_cmp_lt_i32_e32 vcc, v8, v9
	v_cndmask_b32_e32 v8, v7, v8, vcc
	v_cndmask_b32_e64 v10, 0, 1, s[2:3]
	v_lshlrev_b32_e32 v8, 2, v8
	ds_bpermute_b32 v10, v8, v10
	s_waitcnt lgkmcnt(0)
	v_cmp_ne_u32_e32 vcc, 0, v10
	s_and_b64 s[2:3], vcc, s[2:3]
	v_cmp_lt_i32_e32 vcc, v11, v9
	v_cndmask_b32_e32 v9, v7, v11, vcc
	v_cndmask_b32_e64 v10, 0, 1, s[2:3]
	v_lshlrev_b32_e32 v9, 2, v9
	ds_bpermute_b32 v10, v9, v10
	s_and_saveexec_b64 s[8:9], s[0:1]
	s_cbranch_execz .LBB43_3
; %bb.131:                              ;   in Loop: Header=BB43_5 Depth=1
	s_waitcnt lgkmcnt(0)
	v_cmp_ne_u32_e32 vcc, 0, v10
	s_and_b64 s[2:3], vcc, s[2:3]
	v_cndmask_b32_e64 v10, 0, 1, s[2:3]
	ds_write_b32 v1, v10
	s_branch .LBB43_3
.LBB43_132:
	s_or_b64 exec, exec, s[4:5]
	v_cmp_eq_u32_e32 vcc, 0, v0
	s_and_saveexec_b64 s[0:1], vcc
	s_cbranch_execz .LBB43_134
; %bb.133:
	s_mul_i32 s0, s33, s7
	s_add_i32 s0, s0, s6
	s_ashr_i32 s1, s0, 31
	s_lshl_b64 s[0:1], s[0:1], 2
	s_add_u32 s0, s10, s0
	s_addc_u32 s1, s11, s1
	v_mov_b32_e32 v0, 0
	global_store_dword v0, v2, s[0:1]
.LBB43_134:
	s_endpgm
	.section	.rodata,"a",@progbits
	.p2align	6, 0x0
	.amdhsa_kernel _ZL25flash_attn_mask_to_KV_maxILi32EEvPK7__half2Piiii
		.amdhsa_group_segment_fixed_size 128
		.amdhsa_private_segment_fixed_size 0
		.amdhsa_kernarg_size 288
		.amdhsa_user_sgpr_count 6
		.amdhsa_user_sgpr_private_segment_buffer 1
		.amdhsa_user_sgpr_dispatch_ptr 0
		.amdhsa_user_sgpr_queue_ptr 0
		.amdhsa_user_sgpr_kernarg_segment_ptr 1
		.amdhsa_user_sgpr_dispatch_id 0
		.amdhsa_user_sgpr_flat_scratch_init 0
		.amdhsa_user_sgpr_kernarg_preload_length 0
		.amdhsa_user_sgpr_kernarg_preload_offset 0
		.amdhsa_user_sgpr_private_segment_size 0
		.amdhsa_uses_dynamic_stack 0
		.amdhsa_system_sgpr_private_segment_wavefront_offset 0
		.amdhsa_system_sgpr_workgroup_id_x 1
		.amdhsa_system_sgpr_workgroup_id_y 1
		.amdhsa_system_sgpr_workgroup_id_z 0
		.amdhsa_system_sgpr_workgroup_info 0
		.amdhsa_system_vgpr_workitem_id 0
		.amdhsa_next_free_vgpr 13
		.amdhsa_next_free_sgpr 96
		.amdhsa_accum_offset 16
		.amdhsa_reserve_vcc 1
		.amdhsa_reserve_flat_scratch 0
		.amdhsa_float_round_mode_32 0
		.amdhsa_float_round_mode_16_64 0
		.amdhsa_float_denorm_mode_32 3
		.amdhsa_float_denorm_mode_16_64 3
		.amdhsa_dx10_clamp 1
		.amdhsa_ieee_mode 1
		.amdhsa_fp16_overflow 0
		.amdhsa_tg_split 0
		.amdhsa_exception_fp_ieee_invalid_op 0
		.amdhsa_exception_fp_denorm_src 0
		.amdhsa_exception_fp_ieee_div_zero 0
		.amdhsa_exception_fp_ieee_overflow 0
		.amdhsa_exception_fp_ieee_underflow 0
		.amdhsa_exception_fp_ieee_inexact 0
		.amdhsa_exception_int_div_zero 0
	.end_amdhsa_kernel
	.section	.text._ZL25flash_attn_mask_to_KV_maxILi32EEvPK7__half2Piiii,"axG",@progbits,_ZL25flash_attn_mask_to_KV_maxILi32EEvPK7__half2Piiii,comdat
.Lfunc_end43:
	.size	_ZL25flash_attn_mask_to_KV_maxILi32EEvPK7__half2Piiii, .Lfunc_end43-_ZL25flash_attn_mask_to_KV_maxILi32EEvPK7__half2Piiii
                                        ; -- End function
	.section	.AMDGPU.csdata,"",@progbits
; Kernel info:
; codeLenInByte = 4692
; NumSgprs: 100
; NumVgprs: 13
; NumAgprs: 0
; TotalNumVgprs: 13
; ScratchSize: 0
; MemoryBound: 0
; FloatMode: 240
; IeeeMode: 1
; LDSByteSize: 128 bytes/workgroup (compile time only)
; SGPRBlocks: 12
; VGPRBlocks: 1
; NumSGPRsForWavesPerEU: 100
; NumVGPRsForWavesPerEU: 13
; AccumOffset: 16
; Occupancy: 8
; WaveLimiterHint : 0
; COMPUTE_PGM_RSRC2:SCRATCH_EN: 0
; COMPUTE_PGM_RSRC2:USER_SGPR: 6
; COMPUTE_PGM_RSRC2:TRAP_HANDLER: 0
; COMPUTE_PGM_RSRC2:TGID_X_EN: 1
; COMPUTE_PGM_RSRC2:TGID_Y_EN: 1
; COMPUTE_PGM_RSRC2:TGID_Z_EN: 0
; COMPUTE_PGM_RSRC2:TIDIG_COMP_CNT: 0
; COMPUTE_PGM_RSRC3_GFX90A:ACCUM_OFFSET: 3
; COMPUTE_PGM_RSRC3_GFX90A:TG_SPLIT: 0
	.section	.text._ZL33flash_attn_stream_k_fixup_uniformILi256ELi32ELi1EEvPfPK15HIP_vector_typeIfLj2EEiiiiiiS1_IjLj3EES5_S5_,"axG",@progbits,_ZL33flash_attn_stream_k_fixup_uniformILi256ELi32ELi1EEvPfPK15HIP_vector_typeIfLj2EEiiiiiiS1_IjLj3EES5_S5_,comdat
	.globl	_ZL33flash_attn_stream_k_fixup_uniformILi256ELi32ELi1EEvPfPK15HIP_vector_typeIfLj2EEiiiiiiS1_IjLj3EES5_S5_ ; -- Begin function _ZL33flash_attn_stream_k_fixup_uniformILi256ELi32ELi1EEvPfPK15HIP_vector_typeIfLj2EEiiiiiiS1_IjLj3EES5_S5_
	.p2align	8
	.type	_ZL33flash_attn_stream_k_fixup_uniformILi256ELi32ELi1EEvPfPK15HIP_vector_typeIfLj2EEiiiiiiS1_IjLj3EES5_S5_,@function
_ZL33flash_attn_stream_k_fixup_uniformILi256ELi32ELi1EEvPfPK15HIP_vector_typeIfLj2EEiiiiiiS1_IjLj3EES5_S5_: ; @_ZL33flash_attn_stream_k_fixup_uniformILi256ELi32ELi1EEvPfPK15HIP_vector_typeIfLj2EEiiiiiiS1_IjLj3EES5_S5_
; %bb.0:
	s_load_dwordx8 s[12:19], s[4:5], 0x1c
	s_load_dwordx2 s[10:11], s[4:5], 0x10
	s_load_dwordx4 s[0:3], s[4:5], 0x3c
	s_waitcnt lgkmcnt(0)
	s_mul_hi_u32 s9, s15, s6
	s_add_i32 s9, s6, s9
	s_lshr_b32 s9, s9, s16
	s_mul_i32 s15, s9, s17
	s_sub_i32 s15, s6, s15
	s_mul_hi_u32 s16, s15, s18
	s_add_i32 s16, s15, s16
	s_lshr_b32 s16, s16, s19
	s_mul_i32 s0, s16, s0
	s_sub_i32 s0, s15, s0
	;; [unrolled: 5-line block ×3, first 2 shown]
	s_lshl_b32 s0, s17, 5
	s_add_i32 s0, s0, s7
	s_cmp_lt_i32 s0, s10
	s_cselect_b64 s[0:1], -1, 0
	s_add_i32 s2, s15, s8
	s_cmp_lt_i32 s2, s13
	s_cselect_b64 s[2:3], -1, 0
	s_and_b64 s[0:1], s[0:1], s[2:3]
	s_andn2_b64 vcc, exec, s[0:1]
	s_cbranch_vccnz .LBB44_6
; %bb.1:
	s_load_dwordx4 s[0:3], s[4:5], 0x0
	s_mul_i32 s4, s9, s10
	s_add_i32 s4, s4, s7
	s_mul_i32 s4, s4, s11
	s_mul_i32 s16, s16, s13
	s_add_i32 s4, s4, s8
	s_add_i32 s4, s4, s16
	s_mul_i32 s5, s11, s17
	s_add_i32 s4, s4, s15
	s_lshl_b32 s5, s5, 13
	s_lshl_b32 s4, s4, 8
	s_add_i32 s5, s5, s4
	v_or_b32_e32 v2, s5, v0
	v_ashrrev_i32_e32 v3, 31, v2
	v_lshlrev_b64 v[2:3], 2, v[2:3]
	s_waitcnt lgkmcnt(0)
	v_mov_b32_e32 v1, s1
	v_add_co_u32_e32 v2, vcc, s0, v2
	v_addc_co_u32_e32 v3, vcc, v1, v3, vcc
	global_load_dword v8, v[2:3], off
	s_add_i32 s4, s7, s8
	s_mul_i32 s7, s6, s14
	s_add_i32 s5, s7, s14
	s_lshl_b32 s0, s5, 5
	s_add_i32 s0, s4, s0
	s_sub_i32 s0, s0, 32
	s_ashr_i32 s1, s0, 31
	s_lshl_b64 s[0:1], s[0:1], 3
	s_add_u32 s0, s2, s0
	s_addc_u32 s1, s3, s1
	s_load_dword s10, s[0:1], 0x4
	s_add_i32 s8, s5, -2
	s_cmp_lt_i32 s8, s7
	s_cbranch_scc1 .LBB44_4
; %bb.2:
	s_lshl_b32 s8, s12, 7
	s_ashr_i32 s9, s8, 31
	s_lshl_b64 s[8:9], s[8:9], 2
	s_add_u32 s8, s2, s8
	s_addc_u32 s11, s3, s9
	s_add_i32 s6, s6, 1
	s_add_i32 s9, s5, -1
	s_mul_i32 s5, s14, s6
	s_load_dword s0, s[0:1], 0x0
	s_lshl_b32 s1, s4, 8
	s_lshl_b32 s6, s5, 13
	s_add_i32 s1, s1, s6
	v_or_b32_e32 v0, s1, v0
	s_lshl_b32 s1, s5, 5
	s_add_i32 s1, s4, s1
	s_lshl_b32 s4, s12, 5
	s_add_i32 s1, s1, s4
	v_add_u32_e32 v0, 0xffffc000, v0
	s_sub_i32 s4, s1, 64
	s_waitcnt lgkmcnt(0)
	v_mov_b32_e32 v7, s10
	v_mov_b32_e32 v6, s0
	v_mov_b32_e32 v4, s11
	s_mov_b32 s6, 0x3fb8aa3b
	s_mov_b32 s10, 0xc2ce8ed0
	;; [unrolled: 1-line block ×3, first 2 shown]
	v_mov_b32_e32 v5, 0x7f800000
	s_mov_b32 s12, 0xc1a00000
.LBB44_3:                               ; =>This Inner Loop Header: Depth=1
	v_ashrrev_i32_e32 v1, 31, v0
	v_lshlrev_b64 v[10:11], 2, v[0:1]
	v_add_co_u32_e32 v10, vcc, s8, v10
	v_addc_co_u32_e32 v11, vcc, v4, v11, vcc
	global_load_dword v1, v[10:11], off
	s_ashr_i32 s5, s4, 31
	s_lshl_b64 s[0:1], s[4:5], 3
	s_add_u32 s0, s2, s0
	s_addc_u32 s1, s3, s1
	s_load_dwordx2 s[14:15], s[0:1], 0x0
	s_waitcnt vmcnt(1)
	v_mov_b32_e32 v9, v8
	v_max_f32_e32 v8, v6, v6
	v_mov_b32_e32 v10, v7
	s_add_i32 s9, s9, -1
	s_waitcnt lgkmcnt(0)
	v_max_f32_e64 v7, s14, s14
	v_max_f32_e32 v7, v8, v7
	v_sub_f32_e32 v11, s14, v7
	v_sub_f32_e32 v8, v6, v7
	v_mul_f32_e32 v12, 0x3fb8aa3b, v11
	v_mov_b32_e32 v6, v7
	v_mul_f32_e32 v7, 0x3fb8aa3b, v8
	v_fma_f32 v15, v11, s6, -v12
	v_rndne_f32_e32 v16, v12
	v_fma_f32 v13, v8, s6, -v7
	v_rndne_f32_e32 v14, v7
	v_fmac_f32_e32 v15, 0x32a5705f, v11
	v_sub_f32_e32 v12, v12, v16
	v_fmac_f32_e32 v13, 0x32a5705f, v8
	v_sub_f32_e32 v7, v7, v14
	v_add_f32_e32 v12, v12, v15
	v_cvt_i32_f32_e32 v16, v16
	v_add_f32_e32 v7, v7, v13
	v_exp_f32_e32 v12, v12
	v_cvt_i32_f32_e32 v14, v14
	v_exp_f32_e32 v7, v7
	v_cmp_ngt_f32_e32 vcc, s10, v11
	v_ldexp_f32 v12, v12, v16
	v_cmp_ngt_f32_e64 s[0:1], s10, v8
	v_ldexp_f32 v7, v7, v14
	v_cndmask_b32_e32 v12, 0, v12, vcc
	v_cmp_nlt_f32_e32 vcc, s11, v11
	v_cndmask_b32_e64 v7, 0, v7, s[0:1]
	v_cmp_nlt_f32_e64 s[0:1], s11, v8
	v_cndmask_b32_e32 v12, v5, v12, vcc
	v_cmp_le_f32_e32 vcc, s12, v11
	v_cndmask_b32_e64 v7, v5, v7, s[0:1]
	v_cmp_le_f32_e64 s[0:1], s12, v8
	v_cndmask_b32_e32 v8, 0, v12, vcc
	s_sub_i32 s4, s4, 32
	v_cndmask_b32_e64 v11, 0, v7, s[0:1]
	v_mul_f32_e32 v7, s15, v8
	v_add_u32_e32 v0, 0xffffe000, v0
	s_cmp_le_i32 s9, s7
	v_fmac_f32_e32 v7, v10, v11
	s_waitcnt vmcnt(0)
	v_mul_f32_e32 v8, v1, v8
	v_fmac_f32_e32 v8, v9, v11
	s_cbranch_scc0 .LBB44_3
	s_branch .LBB44_5
.LBB44_4:
	s_waitcnt lgkmcnt(0)
	v_mov_b32_e32 v7, s10
.LBB44_5:
	s_waitcnt vmcnt(0)
	v_div_scale_f32 v0, s[0:1], v7, v7, v8
	v_rcp_f32_e32 v1, v0
	v_div_scale_f32 v4, vcc, v8, v7, v8
	v_fma_f32 v5, -v0, v1, 1.0
	v_fmac_f32_e32 v1, v5, v1
	v_mul_f32_e32 v5, v4, v1
	v_fma_f32 v6, -v0, v5, v4
	v_fmac_f32_e32 v5, v6, v1
	v_fma_f32 v0, -v0, v5, v4
	v_div_fmas_f32 v0, v0, v1, v5
	v_div_fixup_f32 v0, v0, v7, v8
	global_store_dword v[2:3], v0, off
.LBB44_6:
	s_endpgm
	.section	.rodata,"a",@progbits
	.p2align	6, 0x0
	.amdhsa_kernel _ZL33flash_attn_stream_k_fixup_uniformILi256ELi32ELi1EEvPfPK15HIP_vector_typeIfLj2EEiiiiiiS1_IjLj3EES5_S5_
		.amdhsa_group_segment_fixed_size 0
		.amdhsa_private_segment_fixed_size 0
		.amdhsa_kernarg_size 76
		.amdhsa_user_sgpr_count 6
		.amdhsa_user_sgpr_private_segment_buffer 1
		.amdhsa_user_sgpr_dispatch_ptr 0
		.amdhsa_user_sgpr_queue_ptr 0
		.amdhsa_user_sgpr_kernarg_segment_ptr 1
		.amdhsa_user_sgpr_dispatch_id 0
		.amdhsa_user_sgpr_flat_scratch_init 0
		.amdhsa_user_sgpr_kernarg_preload_length 0
		.amdhsa_user_sgpr_kernarg_preload_offset 0
		.amdhsa_user_sgpr_private_segment_size 0
		.amdhsa_uses_dynamic_stack 0
		.amdhsa_system_sgpr_private_segment_wavefront_offset 0
		.amdhsa_system_sgpr_workgroup_id_x 1
		.amdhsa_system_sgpr_workgroup_id_y 1
		.amdhsa_system_sgpr_workgroup_id_z 1
		.amdhsa_system_sgpr_workgroup_info 0
		.amdhsa_system_vgpr_workitem_id 0
		.amdhsa_next_free_vgpr 17
		.amdhsa_next_free_sgpr 20
		.amdhsa_accum_offset 20
		.amdhsa_reserve_vcc 1
		.amdhsa_reserve_flat_scratch 0
		.amdhsa_float_round_mode_32 0
		.amdhsa_float_round_mode_16_64 0
		.amdhsa_float_denorm_mode_32 3
		.amdhsa_float_denorm_mode_16_64 3
		.amdhsa_dx10_clamp 1
		.amdhsa_ieee_mode 1
		.amdhsa_fp16_overflow 0
		.amdhsa_tg_split 0
		.amdhsa_exception_fp_ieee_invalid_op 0
		.amdhsa_exception_fp_denorm_src 0
		.amdhsa_exception_fp_ieee_div_zero 0
		.amdhsa_exception_fp_ieee_overflow 0
		.amdhsa_exception_fp_ieee_underflow 0
		.amdhsa_exception_fp_ieee_inexact 0
		.amdhsa_exception_int_div_zero 0
	.end_amdhsa_kernel
	.section	.text._ZL33flash_attn_stream_k_fixup_uniformILi256ELi32ELi1EEvPfPK15HIP_vector_typeIfLj2EEiiiiiiS1_IjLj3EES5_S5_,"axG",@progbits,_ZL33flash_attn_stream_k_fixup_uniformILi256ELi32ELi1EEvPfPK15HIP_vector_typeIfLj2EEiiiiiiS1_IjLj3EES5_S5_,comdat
.Lfunc_end44:
	.size	_ZL33flash_attn_stream_k_fixup_uniformILi256ELi32ELi1EEvPfPK15HIP_vector_typeIfLj2EEiiiiiiS1_IjLj3EES5_S5_, .Lfunc_end44-_ZL33flash_attn_stream_k_fixup_uniformILi256ELi32ELi1EEvPfPK15HIP_vector_typeIfLj2EEiiiiiiS1_IjLj3EES5_S5_
                                        ; -- End function
	.section	.AMDGPU.csdata,"",@progbits
; Kernel info:
; codeLenInByte = 836
; NumSgprs: 24
; NumVgprs: 17
; NumAgprs: 0
; TotalNumVgprs: 17
; ScratchSize: 0
; MemoryBound: 0
; FloatMode: 240
; IeeeMode: 1
; LDSByteSize: 0 bytes/workgroup (compile time only)
; SGPRBlocks: 2
; VGPRBlocks: 2
; NumSGPRsForWavesPerEU: 24
; NumVGPRsForWavesPerEU: 17
; AccumOffset: 20
; Occupancy: 8
; WaveLimiterHint : 0
; COMPUTE_PGM_RSRC2:SCRATCH_EN: 0
; COMPUTE_PGM_RSRC2:USER_SGPR: 6
; COMPUTE_PGM_RSRC2:TRAP_HANDLER: 0
; COMPUTE_PGM_RSRC2:TGID_X_EN: 1
; COMPUTE_PGM_RSRC2:TGID_Y_EN: 1
; COMPUTE_PGM_RSRC2:TGID_Z_EN: 1
; COMPUTE_PGM_RSRC2:TIDIG_COMP_CNT: 0
; COMPUTE_PGM_RSRC3_GFX90A:ACCUM_OFFSET: 4
; COMPUTE_PGM_RSRC3_GFX90A:TG_SPLIT: 0
	.section	.text._ZL33flash_attn_stream_k_fixup_generalILi256ELi32ELi1EEvPfPK15HIP_vector_typeIfLj2EEiiiiS1_IjLj3EES5_S5_S5_,"axG",@progbits,_ZL33flash_attn_stream_k_fixup_generalILi256ELi32ELi1EEvPfPK15HIP_vector_typeIfLj2EEiiiiS1_IjLj3EES5_S5_S5_,comdat
	.globl	_ZL33flash_attn_stream_k_fixup_generalILi256ELi32ELi1EEvPfPK15HIP_vector_typeIfLj2EEiiiiS1_IjLj3EES5_S5_S5_ ; -- Begin function _ZL33flash_attn_stream_k_fixup_generalILi256ELi32ELi1EEvPfPK15HIP_vector_typeIfLj2EEiiiiS1_IjLj3EES5_S5_S5_
	.p2align	8
	.type	_ZL33flash_attn_stream_k_fixup_generalILi256ELi32ELi1EEvPfPK15HIP_vector_typeIfLj2EEiiiiS1_IjLj3EES5_S5_S5_,@function
_ZL33flash_attn_stream_k_fixup_generalILi256ELi32ELi1EEvPfPK15HIP_vector_typeIfLj2EEiiiiS1_IjLj3EES5_S5_S5_: ; @_ZL33flash_attn_stream_k_fixup_generalILi256ELi32ELi1EEvPfPK15HIP_vector_typeIfLj2EEiiiiS1_IjLj3EES5_S5_S5_
; %bb.0:
	s_load_dwordx4 s[12:15], s[4:5], 0x10
	s_load_dword s9, s[4:5], 0x50
	s_mov_b32 s2, 0
	s_waitcnt lgkmcnt(0)
	s_mul_hi_i32 s3, s15, s6
	s_cmp_lg_u64 s[2:3], 0
	s_mul_i32 s2, s15, s6
	s_cbranch_scc0 .LBB45_21
; %bb.1:
	v_cvt_f32_u32_e32 v1, s9
	v_cvt_f32_ubyte0_e32 v2, 0
	s_sub_u32 s10, 0, s9
	s_subb_u32 s11, 0, 0
	v_madmk_f32 v1, v2, 0x4f800000, v1
	v_rcp_f32_e32 v1, v1
	v_mul_f32_e32 v1, 0x5f7ffffc, v1
	v_mul_f32_e32 v2, 0x2f800000, v1
	v_trunc_f32_e32 v2, v2
	v_madmk_f32 v1, v2, 0xcf800000, v1
	v_cvt_u32_f32_e32 v2, v2
	v_cvt_u32_f32_e32 v1, v1
	v_readfirstlane_b32 s16, v2
	v_readfirstlane_b32 s17, v1
	s_mul_i32 s18, s10, s16
	s_mul_hi_u32 s20, s10, s17
	s_mul_i32 s19, s11, s17
	s_add_i32 s18, s20, s18
	s_add_i32 s18, s18, s19
	s_mul_i32 s21, s10, s17
	s_mul_hi_u32 s19, s17, s18
	s_mul_i32 s20, s17, s18
	s_mul_hi_u32 s17, s17, s21
	s_add_u32 s17, s17, s20
	s_addc_u32 s19, 0, s19
	s_mul_hi_u32 s22, s16, s21
	s_mul_i32 s21, s16, s21
	s_add_u32 s17, s17, s21
	s_mul_hi_u32 s20, s16, s18
	s_addc_u32 s17, s19, s22
	s_addc_u32 s19, s20, 0
	s_mul_i32 s18, s16, s18
	s_add_u32 s17, s17, s18
	s_addc_u32 s18, 0, s19
	v_add_co_u32_e32 v1, vcc, s17, v1
	s_cmp_lg_u64 vcc, 0
	s_addc_u32 s16, s16, s18
	v_readfirstlane_b32 s18, v1
	s_mul_i32 s17, s10, s16
	s_mul_hi_u32 s19, s10, s18
	s_add_i32 s17, s19, s17
	s_mul_i32 s11, s11, s18
	s_add_i32 s17, s17, s11
	s_mul_i32 s10, s10, s18
	s_mul_hi_u32 s19, s16, s10
	s_mul_i32 s20, s16, s10
	s_mul_i32 s22, s18, s17
	s_mul_hi_u32 s10, s18, s10
	s_mul_hi_u32 s21, s18, s17
	s_add_u32 s10, s10, s22
	s_addc_u32 s18, 0, s21
	s_add_u32 s10, s10, s20
	s_mul_hi_u32 s11, s16, s17
	s_addc_u32 s10, s18, s19
	s_addc_u32 s11, s11, 0
	s_mul_i32 s17, s16, s17
	s_add_u32 s10, s10, s17
	s_addc_u32 s11, 0, s11
	v_add_co_u32_e32 v1, vcc, s10, v1
	s_cmp_lg_u64 vcc, 0
	s_addc_u32 s18, s16, s11
	s_ashr_i32 s10, s3, 31
	s_add_u32 s16, s2, s10
	s_mov_b32 s11, s10
	s_addc_u32 s17, s3, s10
	s_xor_b64 s[16:17], s[16:17], s[10:11]
	v_readfirstlane_b32 s20, v1
	s_mul_i32 s19, s16, s18
	s_mul_hi_u32 s21, s16, s20
	s_mul_hi_u32 s3, s16, s18
	s_add_u32 s19, s21, s19
	s_addc_u32 s3, 0, s3
	s_mul_hi_u32 s22, s17, s20
	s_mul_i32 s20, s17, s20
	s_add_u32 s19, s19, s20
	s_mul_hi_u32 s21, s17, s18
	s_addc_u32 s3, s3, s22
	s_addc_u32 s19, s21, 0
	s_mul_i32 s18, s17, s18
	s_add_u32 s3, s3, s18
	s_addc_u32 s18, 0, s19
	s_add_u32 s19, s3, 1
	s_addc_u32 s20, s18, 0
	s_add_u32 s21, s3, 2
	s_mul_i32 s23, s9, s18
	s_mul_hi_u32 s24, s9, s3
	s_addc_u32 s22, s18, 0
	s_add_i32 s24, s24, s23
	s_mul_i32 s23, s9, s3
	v_mov_b32_e32 v1, s23
	v_sub_co_u32_e32 v1, vcc, s16, v1
	s_cmp_lg_u64 vcc, 0
	s_subb_u32 s16, s17, s24
	v_subrev_co_u32_e32 v2, vcc, s9, v1
	s_cmp_lg_u64 vcc, 0
	s_subb_u32 s17, s16, 0
	v_readfirstlane_b32 s23, v2
	s_cmp_ge_u32 s23, s9
	s_cselect_b32 s23, -1, 0
	s_cmp_eq_u32 s17, 0
	s_cselect_b32 s17, s23, -1
	s_cmp_lg_u32 s17, 0
	s_cselect_b32 s17, s22, s20
	v_readfirstlane_b32 s20, v1
	s_cselect_b32 s19, s21, s19
	s_cmp_ge_u32 s20, s9
	s_cselect_b32 s20, -1, 0
	s_cmp_eq_u32 s16, 0
	s_cselect_b32 s16, s20, -1
	s_cmp_lg_u32 s16, 0
	s_cselect_b32 s17, s17, s18
	s_cselect_b32 s16, s19, s3
	s_xor_b64 s[16:17], s[16:17], s[10:11]
	s_sub_u32 s20, s16, s10
	s_load_dwordx4 s[16:19], s[4:5], 0x44
	s_cbranch_execnz .LBB45_3
.LBB45_2:
	v_cvt_f32_u32_e32 v1, s9
	s_sub_i32 s0, 0, s9
	v_rcp_iflag_f32_e32 v1, v1
	v_mul_f32_e32 v1, 0x4f7ffffe, v1
	v_cvt_u32_f32_e32 v1, v1
	v_readfirstlane_b32 s1, v1
	s_mul_i32 s0, s0, s1
	s_mul_hi_u32 s0, s1, s0
	s_add_i32 s1, s1, s0
	s_mul_hi_u32 s0, s2, s1
	s_mul_i32 s3, s0, s9
	s_sub_i32 s2, s2, s3
	s_add_i32 s1, s0, 1
	s_sub_i32 s3, s2, s9
	s_cmp_ge_u32 s2, s9
	s_cselect_b32 s0, s1, s0
	s_cselect_b32 s2, s3, s2
	s_add_i32 s1, s0, 1
	s_cmp_ge_u32 s2, s9
	s_cselect_b32 s20, s1, s0
.LBB45_3:
	s_add_i32 s0, s6, 1
	s_mul_hi_i32 s3, s15, s0
	s_mov_b32 s2, 0
	s_cmp_lg_u64 s[2:3], 0
	s_mul_i32 s2, s15, s0
	s_cbranch_scc0 .LBB45_22
; %bb.4:
	v_cvt_f32_u32_e32 v1, s9
	v_cvt_f32_ubyte0_e32 v2, 0
	s_sub_u32 s10, 0, s9
	s_subb_u32 s11, 0, 0
	v_madmk_f32 v1, v2, 0x4f800000, v1
	v_rcp_f32_e32 v1, v1
	v_mul_f32_e32 v1, 0x5f7ffffc, v1
	v_mul_f32_e32 v2, 0x2f800000, v1
	v_trunc_f32_e32 v2, v2
	v_madmk_f32 v1, v2, 0xcf800000, v1
	v_cvt_u32_f32_e32 v2, v2
	v_cvt_u32_f32_e32 v1, v1
	s_waitcnt lgkmcnt(0)
	v_readfirstlane_b32 s19, v2
	v_readfirstlane_b32 s21, v1
	s_mul_i32 s22, s10, s19
	s_mul_hi_u32 s24, s10, s21
	s_mul_i32 s23, s11, s21
	s_add_i32 s22, s24, s22
	s_add_i32 s22, s22, s23
	s_mul_i32 s25, s10, s21
	s_mul_hi_u32 s23, s21, s22
	s_mul_i32 s24, s21, s22
	s_mul_hi_u32 s21, s21, s25
	s_add_u32 s21, s21, s24
	s_addc_u32 s23, 0, s23
	s_mul_hi_u32 s26, s19, s25
	s_mul_i32 s25, s19, s25
	s_add_u32 s21, s21, s25
	s_mul_hi_u32 s24, s19, s22
	s_addc_u32 s21, s23, s26
	s_addc_u32 s23, s24, 0
	s_mul_i32 s22, s19, s22
	s_add_u32 s21, s21, s22
	s_addc_u32 s22, 0, s23
	v_add_co_u32_e32 v1, vcc, s21, v1
	s_cmp_lg_u64 vcc, 0
	s_addc_u32 s19, s19, s22
	v_readfirstlane_b32 s22, v1
	s_mul_i32 s21, s10, s19
	s_mul_hi_u32 s23, s10, s22
	s_add_i32 s21, s23, s21
	s_mul_i32 s11, s11, s22
	s_add_i32 s21, s21, s11
	s_mul_i32 s10, s10, s22
	s_mul_hi_u32 s23, s19, s10
	s_mul_i32 s24, s19, s10
	s_mul_i32 s26, s22, s21
	s_mul_hi_u32 s10, s22, s10
	s_mul_hi_u32 s25, s22, s21
	s_add_u32 s10, s10, s26
	s_addc_u32 s22, 0, s25
	s_add_u32 s10, s10, s24
	s_mul_hi_u32 s11, s19, s21
	s_addc_u32 s10, s22, s23
	s_addc_u32 s11, s11, 0
	s_mul_i32 s21, s19, s21
	s_add_u32 s10, s10, s21
	s_addc_u32 s11, 0, s11
	v_add_co_u32_e32 v1, vcc, s10, v1
	s_cmp_lg_u64 vcc, 0
	s_addc_u32 s19, s19, s11
	s_ashr_i32 s10, s3, 31
	s_add_u32 s22, s2, s10
	s_mov_b32 s11, s10
	s_addc_u32 s23, s3, s10
	s_xor_b64 s[22:23], s[22:23], s[10:11]
	v_readfirstlane_b32 s21, v1
	s_mul_i32 s11, s22, s19
	s_mul_hi_u32 s24, s22, s21
	s_mul_hi_u32 s3, s22, s19
	s_add_u32 s11, s24, s11
	s_addc_u32 s3, 0, s3
	s_mul_hi_u32 s25, s23, s21
	s_mul_i32 s21, s23, s21
	s_add_u32 s11, s11, s21
	s_mul_hi_u32 s24, s23, s19
	s_addc_u32 s3, s3, s25
	s_addc_u32 s11, s24, 0
	s_mul_i32 s19, s23, s19
	s_add_u32 s3, s3, s19
	s_addc_u32 s11, 0, s11
	s_mul_i32 s11, s9, s11
	s_mul_hi_u32 s24, s9, s3
	s_add_i32 s24, s24, s11
	s_mul_i32 s11, s9, s3
	v_mov_b32_e32 v1, s11
	s_add_u32 s19, s3, 1
	s_add_u32 s21, s3, 2
	v_sub_co_u32_e32 v1, vcc, s22, v1
	s_cmp_lg_u64 vcc, 0
	s_subb_u32 s11, s23, s24
	v_subrev_co_u32_e32 v2, vcc, s9, v1
	s_cmp_lg_u64 vcc, 0
	s_subb_u32 s22, s11, 0
	v_cmp_le_u32_e32 vcc, s9, v2
	s_cmp_eq_u32 s22, 0
	v_cndmask_b32_e64 v2, 0, -1, vcc
	s_cselect_b64 vcc, -1, 0
	v_cndmask_b32_e32 v2, -1, v2, vcc
	v_mov_b32_e32 v3, s19
	v_mov_b32_e32 v4, s21
	v_cmp_ne_u32_e32 vcc, 0, v2
	v_cndmask_b32_e32 v2, v3, v4, vcc
	v_cmp_le_u32_e32 vcc, s9, v1
	s_cmp_eq_u32 s11, 0
	v_cndmask_b32_e64 v1, 0, -1, vcc
	s_cselect_b64 vcc, -1, 0
	v_cndmask_b32_e32 v1, -1, v1, vcc
	v_mov_b32_e32 v3, s3
	v_cmp_ne_u32_e32 vcc, 0, v1
	v_cndmask_b32_e32 v1, v3, v2, vcc
	v_xor_b32_e32 v1, s10, v1
	v_subrev_co_u32_e32 v2, vcc, s10, v1
	s_cbranch_execnz .LBB45_6
.LBB45_5:
	v_cvt_f32_u32_e32 v1, s9
	s_sub_i32 s0, 0, s9
	s_mov_b32 s1, 0
	v_rcp_iflag_f32_e32 v1, v1
	v_mul_f32_e32 v1, 0x4f7ffffe, v1
	v_cvt_u32_f32_e32 v1, v1
	v_readfirstlane_b32 s3, v1
	s_mul_i32 s0, s0, s3
	s_mul_hi_u32 s0, s3, s0
	s_add_i32 s3, s3, s0
	s_mul_hi_u32 s0, s2, s3
	s_mul_i32 s10, s0, s9
	s_sub_i32 s2, s2, s10
	s_add_i32 s3, s0, 1
	s_sub_i32 s10, s2, s9
	s_cmp_ge_u32 s2, s9
	s_cselect_b32 s0, s3, s0
	s_cselect_b32 s2, s10, s2
	s_add_i32 s3, s0, 1
	s_cmp_ge_u32 s2, s9
	s_cselect_b32 s0, s3, s0
	v_pk_mov_b32 v[2:3], s[0:1], s[0:1] op_sel:[0,1]
.LBB45_6:
	s_waitcnt lgkmcnt(0)
	s_mul_hi_u32 s0, s20, s16
	s_add_i32 s0, s0, s20
	v_mul_hi_u32 v1, v2, s16
	s_lshr_b32 s19, s0, s17
	v_add_u32_e32 v1, v1, v2
	s_mul_i32 s0, s19, s18
	v_lshrrev_b32_e32 v1, s17, v1
	s_cmp_eq_u32 s0, s20
	v_cmp_eq_u32_e64 s[0:1], s19, v1
	v_mul_lo_u32 v1, v1, s18
	v_cmp_eq_u32_e32 vcc, s20, v2
	s_cselect_b64 s[10:11], -1, 0
	v_cmp_ne_u32_e64 s[2:3], v1, v2
	s_and_b64 s[0:1], s[0:1], s[2:3]
	s_or_b64 s[2:3], vcc, s[10:11]
	s_or_b64 s[0:1], s[2:3], s[0:1]
	s_and_b64 vcc, exec, s[0:1]
	s_cbranch_vccnz .LBB45_24
; %bb.7:
	s_load_dwordx8 s[24:31], s[4:5], 0x20
	s_load_dword s0, s[4:5], 0x40
	s_mov_b32 s10, 0
	s_waitcnt lgkmcnt(0)
	s_mul_hi_u32 s1, s20, s24
	s_add_i32 s1, s1, s20
	s_lshr_b32 s11, s1, s25
	s_mul_i32 s1, s11, s26
	s_sub_i32 s1, s20, s1
	s_mul_hi_u32 s2, s1, s27
	s_add_i32 s2, s1, s2
	s_lshr_b32 s25, s2, s28
	s_mul_i32 s2, s25, s29
	s_sub_i32 s1, s1, s2
	;; [unrolled: 5-line block ×3, first 2 shown]
	s_mul_hi_u32 s1, s0, s16
	s_add_i32 s0, s0, s1
	s_lshr_b32 s26, s0, s17
	s_lshl_b32 s0, s26, 5
	s_add_i32 s0, s0, s7
	s_cmp_lt_i32 s0, s12
	s_cselect_b64 s[0:1], -1, 0
	s_add_i32 s2, s24, s8
	s_cmp_lt_i32 s2, s14
	s_cselect_b64 s[2:3], -1, 0
	s_and_b64 s[0:1], s[0:1], s[2:3]
	s_andn2_b64 vcc, exec, s[0:1]
	s_cbranch_vccnz .LBB45_24
; %bb.8:
	s_load_dwordx4 s[0:3], s[4:5], 0x0
	s_lshl_b32 s4, s9, 7
	s_mov_b32 s5, s10
	s_add_i32 s21, s7, s8
	s_lshl_b64 s[4:5], s[4:5], 2
	s_waitcnt lgkmcnt(0)
	s_add_u32 s22, s2, s4
	s_mul_i32 s4, s11, s12
	s_addc_u32 s23, s3, s5
	s_add_i32 s4, s4, s7
	s_mul_i32 s4, s4, s13
	s_mul_i32 s25, s25, s14
	s_add_i32 s4, s4, s8
	s_add_i32 s4, s4, s25
	s_mul_i32 s5, s13, s26
	s_add_i32 s4, s4, s24
	s_lshl_b32 s5, s5, 13
	s_lshl_b32 s4, s4, 8
	s_add_i32 s5, s5, s4
	v_or_b32_e32 v2, s5, v0
	v_ashrrev_i32_e32 v3, 31, v2
	v_lshlrev_b64 v[2:3], 2, v[2:3]
	v_mov_b32_e32 v1, s1
	v_add_co_u32_e32 v2, vcc, s0, v2
	v_addc_co_u32_e32 v3, vcc, v1, v3, vcc
	global_load_dword v5, v[2:3], off
	v_lshl_or_b32 v4, s21, 8, v0
	v_cvt_f32_u32_e32 v0, s9
	v_cvt_f32_ubyte0_e32 v1, 0
	s_lshl_b32 s0, s6, 5
	s_add_i32 s0, s0, s21
	v_mac_f32_e32 v0, 0x4f800000, v1
	v_rcp_f32_e32 v0, v0
	v_cvt_f32_u32_e32 v1, s9
	s_ashr_i32 s1, s0, 31
	s_lshl_b64 s[0:1], s[0:1], 3
	v_mul_f32_e32 v0, 0x5f7ffffc, v0
	v_rcp_iflag_f32_e32 v1, v1
	s_add_u32 s0, s2, s0
	v_mul_f32_e32 v9, 0x2f800000, v0
	s_addc_u32 s1, s3, s1
	v_trunc_f32_e32 v10, v9
	s_load_dwordx2 s[0:1], s[0:1], 0x0
	v_mac_f32_e32 v0, 0xcf800000, v10
	v_cvt_u32_f32_e32 v9, v0
	v_mul_f32_e32 v0, 0x4f7ffffe, v1
	v_cvt_u32_f32_e32 v10, v10
	v_cvt_u32_f32_e32 v11, v0
	s_add_i32 s8, s6, -1
	s_waitcnt lgkmcnt(0)
	v_mov_b32_e32 v6, s1
	v_mov_b32_e32 v7, s0
	;; [unrolled: 1-line block ×3, first 2 shown]
	s_mov_b32 s6, 0x3fb8aa3b
	s_mov_b32 s7, 0xc2ce8ed0
	;; [unrolled: 1-line block ×4, first 2 shown]
	v_mov_b32_e32 v12, 0x7f800000
	s_mul_hi_i32 s11, s8, s15
	s_cmp_lg_u64 s[10:11], 0
	s_mul_i32 s4, s8, s15
	s_cbranch_scc0 .LBB45_15
.LBB45_9:
	s_sub_u32 s0, 0, s9
	v_readfirstlane_b32 s5, v9
	v_readfirstlane_b32 s24, v10
	s_subb_u32 s1, 0, 0
	s_mul_hi_u32 s20, s0, s5
	s_mul_i32 s25, s0, s24
	s_mul_i32 s14, s1, s5
	s_add_i32 s20, s20, s25
	s_add_i32 s20, s20, s14
	s_mul_i32 s26, s0, s5
	s_mul_hi_u32 s14, s5, s20
	s_mul_i32 s25, s5, s20
	s_mul_hi_u32 s5, s5, s26
	s_add_u32 s5, s5, s25
	s_addc_u32 s14, 0, s14
	s_mul_hi_u32 s27, s24, s26
	s_mul_i32 s26, s24, s26
	s_add_u32 s5, s5, s26
	s_mul_hi_u32 s25, s24, s20
	s_addc_u32 s5, s14, s27
	s_addc_u32 s14, s25, 0
	s_mul_i32 s20, s24, s20
	s_add_u32 s5, s5, s20
	s_addc_u32 s14, 0, s14
	v_add_co_u32_e32 v0, vcc, s5, v9
	s_cmp_lg_u64 vcc, 0
	s_addc_u32 s5, s24, s14
	v_readfirstlane_b32 s20, v0
	s_mul_i32 s14, s0, s5
	s_mul_hi_u32 s24, s0, s20
	s_add_i32 s14, s24, s14
	s_mul_i32 s1, s1, s20
	s_add_i32 s14, s14, s1
	s_mul_i32 s0, s0, s20
	s_mul_hi_u32 s24, s5, s0
	s_mul_i32 s25, s5, s0
	s_mul_i32 s27, s20, s14
	s_mul_hi_u32 s0, s20, s0
	s_mul_hi_u32 s26, s20, s14
	s_add_u32 s0, s0, s27
	s_addc_u32 s20, 0, s26
	s_add_u32 s0, s0, s25
	s_mul_hi_u32 s1, s5, s14
	s_addc_u32 s0, s20, s24
	s_addc_u32 s1, s1, 0
	s_mul_i32 s14, s5, s14
	s_add_u32 s0, s0, s14
	s_addc_u32 s1, 0, s1
	v_add_co_u32_e32 v0, vcc, s0, v0
	s_cmp_lg_u64 vcc, 0
	s_addc_u32 s5, s5, s1
	s_ashr_i32 s0, s11, 31
	s_add_u32 s24, s4, s0
	s_mov_b32 s1, s0
	s_addc_u32 s25, s11, s0
	s_xor_b64 s[24:25], s[24:25], s[0:1]
	v_readfirstlane_b32 s14, v0
	s_mul_i32 s11, s24, s5
	s_mul_hi_u32 s20, s24, s14
	s_mul_hi_u32 s1, s24, s5
	s_add_u32 s11, s20, s11
	s_addc_u32 s1, 0, s1
	s_mul_hi_u32 s26, s25, s14
	s_mul_i32 s14, s25, s14
	s_add_u32 s11, s11, s14
	s_mul_hi_u32 s20, s25, s5
	s_addc_u32 s1, s1, s26
	s_addc_u32 s11, s20, 0
	s_mul_i32 s5, s25, s5
	s_add_u32 s1, s1, s5
	s_addc_u32 s5, 0, s11
	s_mul_i32 s5, s9, s5
	s_mul_hi_u32 s20, s9, s1
	s_add_i32 s20, s20, s5
	s_mul_i32 s5, s9, s1
	v_mov_b32_e32 v0, s5
	s_add_u32 s11, s1, 1
	s_add_u32 s14, s1, 2
	v_sub_co_u32_e32 v0, vcc, s24, v0
	s_cmp_lg_u64 vcc, 0
	s_subb_u32 s5, s25, s20
	v_subrev_co_u32_e32 v1, vcc, s9, v0
	s_cmp_lg_u64 vcc, 0
	s_subb_u32 s20, s5, 0
	v_cmp_le_u32_e32 vcc, s9, v1
	s_cmp_eq_u32 s20, 0
	v_cndmask_b32_e64 v1, 0, -1, vcc
	s_cselect_b64 vcc, -1, 0
	v_cndmask_b32_e32 v1, -1, v1, vcc
	v_mov_b32_e32 v13, s11
	v_mov_b32_e32 v14, s14
	v_cmp_ne_u32_e32 vcc, 0, v1
	v_cndmask_b32_e32 v1, v13, v14, vcc
	v_cmp_le_u32_e32 vcc, s9, v0
	s_cmp_eq_u32 s5, 0
	v_cndmask_b32_e64 v0, 0, -1, vcc
	s_cselect_b64 vcc, -1, 0
	v_cndmask_b32_e32 v0, -1, v0, vcc
	v_mov_b32_e32 v13, s1
	v_cmp_ne_u32_e32 vcc, 0, v0
	v_cndmask_b32_e32 v0, v13, v1, vcc
	v_xor_b32_e32 v0, s0, v0
	v_subrev_co_u32_e32 v0, vcc, s0, v0
	s_cbranch_execnz .LBB45_11
.LBB45_10:
	s_sub_i32 s0, 0, s9
	v_mul_lo_u32 v0, s0, v11
	v_mul_hi_u32 v0, v11, v0
	v_add_u32_e32 v0, v11, v0
	v_mul_hi_u32 v0, s4, v0
	v_mul_lo_u32 v13, v0, s9
	v_sub_u32_e32 v13, s4, v13
	v_add_u32_e32 v1, 1, v0
	v_subrev_u32_e32 v14, s9, v13
	v_cmp_le_u32_e32 vcc, s9, v13
	v_cndmask_b32_e32 v13, v13, v14, vcc
	v_cndmask_b32_e32 v0, v0, v1, vcc
	v_add_u32_e32 v1, 1, v0
	v_cmp_le_u32_e32 vcc, s9, v13
	v_cndmask_b32_e32 v0, v0, v1, vcc
.LBB45_11:
	v_cmp_ne_u32_e32 vcc, v8, v0
	s_cbranch_vccz .LBB45_14
; %bb.12:
	s_add_i32 s0, s8, s9
	s_lshl_b32 s0, s0, 5
	v_mul_hi_u32 v1, v0, s16
	s_add_i32 s0, s0, s21
	s_mov_b32 s1, s10
	v_add_u32_e32 v1, v1, v0
	s_lshl_b64 s[0:1], s[0:1], 3
	v_lshrrev_b32_e32 v1, s17, v1
	s_add_u32 s4, s2, s0
	v_mul_lo_u32 v13, v1, s18
	s_addc_u32 s5, s3, s1
	v_cmp_eq_u32_e32 vcc, v13, v0
	v_cmp_gt_u32_e64 s[0:1], s19, v1
	s_or_b64 s[0:1], s[0:1], vcc
	s_and_b64 vcc, exec, s[0:1]
	s_cbranch_vccnz .LBB45_16
; %bb.13:
	s_add_i32 s11, s8, -1
	s_mov_b64 s[0:1], 0
	s_branch .LBB45_17
.LBB45_14:
                                        ; implicit-def: $sgpr0_sgpr1
                                        ; implicit-def: $vgpr14
                                        ; implicit-def: $vgpr1
                                        ; implicit-def: $vgpr13
                                        ; implicit-def: $sgpr11
                                        ; implicit-def: $vgpr0
	s_branch .LBB45_18
.LBB45_15:
                                        ; implicit-def: $vgpr0_vgpr1
	s_branch .LBB45_10
.LBB45_16:
	s_mov_b64 s[0:1], -1
	s_mov_b32 s11, s8
	v_mov_b32_e32 v0, v8
.LBB45_17:
	v_lshl_add_u32 v14, s8, 13, v4
	v_ashrrev_i32_e32 v15, 31, v14
	v_lshlrev_b64 v[14:15], 2, v[14:15]
	v_mov_b32_e32 v1, s23
	v_add_co_u32_e32 v14, vcc, s22, v14
	v_addc_co_u32_e32 v15, vcc, v1, v15, vcc
	global_load_dword v14, v[14:15], off
	s_load_dwordx2 s[4:5], s[4:5], 0x0
	v_max_f32_e32 v1, v7, v7
	s_waitcnt lgkmcnt(0)
	v_max_f32_e64 v13, s4, s4
	v_max_f32_e32 v1, v1, v13
	v_sub_f32_e32 v13, v7, v1
	v_sub_f32_e32 v15, s4, v1
	v_mul_f32_e32 v16, 0x3fb8aa3b, v13
	v_mul_f32_e32 v17, 0x3fb8aa3b, v15
	v_fma_f32 v18, v13, s6, -v16
	v_rndne_f32_e32 v19, v16
	v_fma_f32 v20, v15, s6, -v17
	v_rndne_f32_e32 v21, v17
	v_fmac_f32_e32 v18, 0x32a5705f, v13
	v_sub_f32_e32 v16, v16, v19
	v_fmac_f32_e32 v20, 0x32a5705f, v15
	v_sub_f32_e32 v17, v17, v21
	v_add_f32_e32 v16, v16, v18
	v_cvt_i32_f32_e32 v19, v19
	v_add_f32_e32 v17, v17, v20
	v_exp_f32_e32 v16, v16
	v_cvt_i32_f32_e32 v21, v21
	v_exp_f32_e32 v17, v17
	v_cmp_ngt_f32_e32 vcc, s7, v13
	v_ldexp_f32 v16, v16, v19
	v_cndmask_b32_e32 v16, 0, v16, vcc
	v_ldexp_f32 v17, v17, v21
	v_cmp_ngt_f32_e32 vcc, s7, v15
	v_cndmask_b32_e32 v17, 0, v17, vcc
	v_cmp_nlt_f32_e32 vcc, s12, v13
	v_cndmask_b32_e32 v16, v12, v16, vcc
	v_cmp_nlt_f32_e32 vcc, s12, v15
	v_cndmask_b32_e32 v17, v12, v17, vcc
	v_cmp_le_f32_e32 vcc, s13, v13
	v_cndmask_b32_e32 v16, 0, v16, vcc
	v_cmp_le_f32_e32 vcc, s13, v15
	v_cndmask_b32_e32 v15, 0, v17, vcc
	v_mul_f32_e32 v13, s5, v15
	v_fmac_f32_e32 v13, v6, v16
	s_waitcnt vmcnt(0)
	v_mul_f32_e32 v14, v14, v15
	v_fmac_f32_e32 v14, v5, v16
	s_cbranch_execnz .LBB45_19
.LBB45_18:
	s_add_i32 s11, s8, -1
	s_mov_b64 s[0:1], 0
	v_mov_b32_e32 v0, v8
	v_mov_b32_e32 v13, v6
	;; [unrolled: 1-line block ×3, first 2 shown]
	s_waitcnt vmcnt(0)
	v_mov_b32_e32 v14, v5
.LBB45_19:
	s_andn2_b64 vcc, exec, s[0:1]
	s_cbranch_vccz .LBB45_23
; %bb.20:
	v_mov_b32_e32 v8, v0
	s_mov_b32 s8, s11
	v_mov_b32_e32 v6, v13
	v_mov_b32_e32 v7, v1
	s_waitcnt vmcnt(0)
	v_mov_b32_e32 v5, v14
	s_mul_hi_i32 s11, s8, s15
	s_cmp_lg_u64 s[10:11], 0
	s_mul_i32 s4, s8, s15
	s_cbranch_scc1 .LBB45_9
	s_branch .LBB45_15
.LBB45_21:
                                        ; implicit-def: $sgpr20_sgpr21
	s_load_dwordx4 s[16:19], s[4:5], 0x44
	s_branch .LBB45_2
.LBB45_22:
                                        ; implicit-def: $vgpr2_vgpr3
	s_branch .LBB45_5
.LBB45_23:
	v_div_scale_f32 v0, s[0:1], v13, v13, v14
	v_rcp_f32_e32 v1, v0
	v_div_scale_f32 v4, vcc, v14, v13, v14
	s_waitcnt vmcnt(0)
	v_fma_f32 v5, -v0, v1, 1.0
	v_fmac_f32_e32 v1, v5, v1
	v_mul_f32_e32 v5, v4, v1
	v_fma_f32 v6, -v0, v5, v4
	v_fmac_f32_e32 v5, v6, v1
	v_fma_f32 v0, -v0, v5, v4
	v_div_fmas_f32 v0, v0, v1, v5
	v_div_fixup_f32 v0, v0, v13, v14
	global_store_dword v[2:3], v0, off
.LBB45_24:
	s_endpgm
	.section	.rodata,"a",@progbits
	.p2align	6, 0x0
	.amdhsa_kernel _ZL33flash_attn_stream_k_fixup_generalILi256ELi32ELi1EEvPfPK15HIP_vector_typeIfLj2EEiiiiS1_IjLj3EES5_S5_S5_
		.amdhsa_group_segment_fixed_size 0
		.amdhsa_private_segment_fixed_size 0
		.amdhsa_kernarg_size 336
		.amdhsa_user_sgpr_count 6
		.amdhsa_user_sgpr_private_segment_buffer 1
		.amdhsa_user_sgpr_dispatch_ptr 0
		.amdhsa_user_sgpr_queue_ptr 0
		.amdhsa_user_sgpr_kernarg_segment_ptr 1
		.amdhsa_user_sgpr_dispatch_id 0
		.amdhsa_user_sgpr_flat_scratch_init 0
		.amdhsa_user_sgpr_kernarg_preload_length 0
		.amdhsa_user_sgpr_kernarg_preload_offset 0
		.amdhsa_user_sgpr_private_segment_size 0
		.amdhsa_uses_dynamic_stack 0
		.amdhsa_system_sgpr_private_segment_wavefront_offset 0
		.amdhsa_system_sgpr_workgroup_id_x 1
		.amdhsa_system_sgpr_workgroup_id_y 1
		.amdhsa_system_sgpr_workgroup_id_z 1
		.amdhsa_system_sgpr_workgroup_info 0
		.amdhsa_system_vgpr_workitem_id 0
		.amdhsa_next_free_vgpr 22
		.amdhsa_next_free_sgpr 32
		.amdhsa_accum_offset 24
		.amdhsa_reserve_vcc 1
		.amdhsa_reserve_flat_scratch 0
		.amdhsa_float_round_mode_32 0
		.amdhsa_float_round_mode_16_64 0
		.amdhsa_float_denorm_mode_32 3
		.amdhsa_float_denorm_mode_16_64 3
		.amdhsa_dx10_clamp 1
		.amdhsa_ieee_mode 1
		.amdhsa_fp16_overflow 0
		.amdhsa_tg_split 0
		.amdhsa_exception_fp_ieee_invalid_op 0
		.amdhsa_exception_fp_denorm_src 0
		.amdhsa_exception_fp_ieee_div_zero 0
		.amdhsa_exception_fp_ieee_overflow 0
		.amdhsa_exception_fp_ieee_underflow 0
		.amdhsa_exception_fp_ieee_inexact 0
		.amdhsa_exception_int_div_zero 0
	.end_amdhsa_kernel
	.section	.text._ZL33flash_attn_stream_k_fixup_generalILi256ELi32ELi1EEvPfPK15HIP_vector_typeIfLj2EEiiiiS1_IjLj3EES5_S5_S5_,"axG",@progbits,_ZL33flash_attn_stream_k_fixup_generalILi256ELi32ELi1EEvPfPK15HIP_vector_typeIfLj2EEiiiiS1_IjLj3EES5_S5_S5_,comdat
.Lfunc_end45:
	.size	_ZL33flash_attn_stream_k_fixup_generalILi256ELi32ELi1EEvPfPK15HIP_vector_typeIfLj2EEiiiiS1_IjLj3EES5_S5_S5_, .Lfunc_end45-_ZL33flash_attn_stream_k_fixup_generalILi256ELi32ELi1EEvPfPK15HIP_vector_typeIfLj2EEiiiiS1_IjLj3EES5_S5_S5_
                                        ; -- End function
	.section	.AMDGPU.csdata,"",@progbits
; Kernel info:
; codeLenInByte = 2816
; NumSgprs: 36
; NumVgprs: 22
; NumAgprs: 0
; TotalNumVgprs: 22
; ScratchSize: 0
; MemoryBound: 0
; FloatMode: 240
; IeeeMode: 1
; LDSByteSize: 0 bytes/workgroup (compile time only)
; SGPRBlocks: 4
; VGPRBlocks: 2
; NumSGPRsForWavesPerEU: 36
; NumVGPRsForWavesPerEU: 22
; AccumOffset: 24
; Occupancy: 8
; WaveLimiterHint : 0
; COMPUTE_PGM_RSRC2:SCRATCH_EN: 0
; COMPUTE_PGM_RSRC2:USER_SGPR: 6
; COMPUTE_PGM_RSRC2:TRAP_HANDLER: 0
; COMPUTE_PGM_RSRC2:TGID_X_EN: 1
; COMPUTE_PGM_RSRC2:TGID_Y_EN: 1
; COMPUTE_PGM_RSRC2:TGID_Z_EN: 1
; COMPUTE_PGM_RSRC2:TIDIG_COMP_CNT: 0
; COMPUTE_PGM_RSRC3_GFX90A:ACCUM_OFFSET: 5
; COMPUTE_PGM_RSRC3_GFX90A:TG_SPLIT: 0
	.section	.text._ZL15flash_attn_tileILi256ELi256ELi16ELi1ELb0EEvPKcS1_S1_S1_S1_PKiPfP15HIP_vector_typeIfLj2EEffffjfiS5_IjLj3EEiiiiiiiiiiiliiliiiiil,"axG",@progbits,_ZL15flash_attn_tileILi256ELi256ELi16ELi1ELb0EEvPKcS1_S1_S1_S1_PKiPfP15HIP_vector_typeIfLj2EEffffjfiS5_IjLj3EEiiiiiiiiiiiliiliiiiil,comdat
	.globl	_ZL15flash_attn_tileILi256ELi256ELi16ELi1ELb0EEvPKcS1_S1_S1_S1_PKiPfP15HIP_vector_typeIfLj2EEffffjfiS5_IjLj3EEiiiiiiiiiiiliiliiiiil ; -- Begin function _ZL15flash_attn_tileILi256ELi256ELi16ELi1ELb0EEvPKcS1_S1_S1_S1_PKiPfP15HIP_vector_typeIfLj2EEffffjfiS5_IjLj3EEiiiiiiiiiiiliiliiiiil
	.p2align	8
	.type	_ZL15flash_attn_tileILi256ELi256ELi16ELi1ELb0EEvPKcS1_S1_S1_S1_PKiPfP15HIP_vector_typeIfLj2EEffffjfiS5_IjLj3EEiiiiiiiiiiiliiliiiiil,@function
_ZL15flash_attn_tileILi256ELi256ELi16ELi1ELb0EEvPKcS1_S1_S1_S1_PKiPfP15HIP_vector_typeIfLj2EEffffjfiS5_IjLj3EEiiiiiiiiiiiliiliiiiil: ; @_ZL15flash_attn_tileILi256ELi256ELi16ELi1ELb0EEvPKcS1_S1_S1_S1_PKiPfP15HIP_vector_typeIfLj2EEffffjfiS5_IjLj3EEiiiiiiiiiiiliiliiiiil
; %bb.0:
	s_load_dwordx4 s[36:39], s[4:5], 0x5c
	s_load_dwordx2 s[44:45], s[4:5], 0x80
	s_add_u32 flat_scratch_lo, s6, s11
	s_addc_u32 flat_scratch_hi, s7, 0
	s_add_u32 s0, s0, s11
	s_waitcnt lgkmcnt(0)
	v_cvt_f32_u32_e32 v1, s39
	s_addc_u32 s1, s1, 0
	s_sub_i32 s6, 0, s39
	s_load_dwordx16 s[16:31], s[4:5], 0x0
	v_rcp_iflag_f32_e32 v1, v1
	s_load_dwordx2 s[46:47], s[4:5], 0xb8
	s_mov_b64 s[34:35], 0
	v_mul_f32_e32 v1, 0x4f7ffffe, v1
	v_cvt_u32_f32_e32 v1, v1
	v_readfirstlane_b32 s7, v1
	s_mul_i32 s6, s6, s7
	s_mul_hi_u32 s6, s7, s6
	s_add_i32 s7, s7, s6
	s_mul_hi_u32 s6, s10, s7
	s_mul_i32 s7, s6, s39
	s_sub_i32 s7, s10, s7
	s_add_i32 s11, s6, 1
	s_sub_i32 s12, s7, s39
	s_cmp_ge_u32 s7, s39
	s_cselect_b32 s6, s11, s6
	s_cselect_b32 s7, s12, s7
	s_add_i32 s11, s6, 1
	s_cmp_ge_u32 s7, s39
	s_cselect_b32 s33, s11, s6
	s_abs_i32 s6, s45
	v_cvt_f32_u32_e32 v1, s6
	s_mul_i32 s12, s33, s39
	s_sub_i32 s13, 0, s6
	s_sub_i32 s14, s10, s12
	v_rcp_iflag_f32_e32 v1, v1
	s_abs_i32 s11, s39
	s_xor_b32 s7, s39, s45
	s_ashr_i32 s7, s7, 31
	v_mul_f32_e32 v1, 0x4f7ffffe, v1
	v_cvt_u32_f32_e32 v1, v1
	v_readfirstlane_b32 s10, v1
	s_mul_i32 s13, s13, s10
	s_mul_hi_u32 s12, s10, s13
	s_add_i32 s10, s10, s12
	s_mul_hi_u32 s10, s11, s10
	s_mul_i32 s12, s10, s6
	s_sub_i32 s11, s11, s12
	s_add_i32 s13, s10, 1
	s_sub_i32 s12, s11, s6
	s_cmp_ge_u32 s11, s6
	s_cselect_b32 s10, s13, s10
	s_cselect_b32 s11, s12, s11
	s_add_i32 s12, s10, 1
	s_cmp_ge_u32 s11, s6
	s_cselect_b32 s6, s12, s10
	s_xor_b32 s6, s6, s7
	s_sub_i32 s49, s6, s7
	s_abs_i32 s45, s49
	v_cvt_f32_u32_e32 v1, s45
	s_sub_i32 s6, 0, s45
	s_abs_i32 s48, s14
	v_rcp_iflag_f32_e32 v1, v1
	v_mul_f32_e32 v1, 0x4f7ffffe, v1
	v_cvt_u32_f32_e32 v1, v1
	v_readfirstlane_b32 s7, v1
	s_mul_i32 s6, s6, s7
	s_mul_hi_u32 s6, s7, s6
	s_add_i32 s6, s7, s6
	s_waitcnt lgkmcnt(0)
	s_cmp_eq_u64 s[22:23], 0
	s_cbranch_scc1 .LBB46_2
; %bb.1:
	s_abs_i32 s7, s46
	v_cvt_f32_u32_e32 v1, s7
	s_sub_i32 s15, 0, s7
	s_abs_i32 s13, s33
	s_ashr_i32 s12, s33, 31
	v_rcp_iflag_f32_e32 v1, v1
	s_load_dwordx2 s[10:11], s[4:5], 0xc8
	v_mul_f32_e32 v1, 0x4f7ffffe, v1
	v_cvt_u32_f32_e32 v1, v1
	v_readfirstlane_b32 s34, v1
	s_mul_i32 s15, s15, s34
	s_mul_hi_u32 s15, s34, s15
	s_add_i32 s34, s34, s15
	s_mul_hi_u32 s15, s13, s34
	s_mul_i32 s15, s15, s7
	s_sub_i32 s13, s13, s15
	s_sub_i32 s15, s13, s7
	s_cmp_ge_u32 s13, s7
	s_cselect_b32 s13, s15, s13
	s_sub_i32 s15, s13, s7
	s_cmp_ge_u32 s13, s7
	s_cselect_b32 s7, s15, s13
	s_xor_b32 s7, s7, s12
	s_sub_i32 s7, s7, s12
	s_ashr_i32 s12, s7, 31
	s_waitcnt lgkmcnt(0)
	s_mul_i32 s11, s7, s11
	s_mul_hi_u32 s13, s7, s10
	s_add_i32 s11, s13, s11
	s_mul_i32 s12, s12, s10
	s_add_i32 s11, s11, s12
	s_mul_i32 s7, s7, s10
	s_add_u32 s34, s22, s7
	s_addc_u32 s35, s23, s11
.LBB46_2:
	s_load_dwordx4 s[40:43], s[4:5], 0x40
	s_mul_hi_u32 s46, s48, s6
	s_load_dword s6, s[4:5], 0x50
	v_mov_b32_e32 v41, 1.0
	s_waitcnt lgkmcnt(0)
	v_cmp_le_f32_e64 s[10:11], s41, 0
	s_and_b64 vcc, exec, s[10:11]
	s_cbranch_vccnz .LBB46_4
; %bb.3:
	s_sub_i32 s7, s14, s6
	s_lshl_b32 s7, s7, 1
	s_add_i32 s10, s14, 1
	s_or_b32 s11, s7, 1
	s_cmp_lt_u32 s14, s6
	s_cselect_b64 vcc, -1, 0
	s_and_b64 s[6:7], vcc, exec
	v_mov_b32_e32 v1, s43
	v_mov_b32_e32 v2, s42
	s_cselect_b32 s6, s10, s11
	v_cndmask_b32_e32 v18, v1, v2, vcc
	v_cvt_f32_i32_e32 v1, s6
	v_cmp_neq_f32_e32 vcc, 1.0, v18
	s_mov_b32 s6, 0x3f2aaaab
	s_movk_i32 s10, 0x204
	v_cndmask_b32_e32 v19, 1.0, v1, vcc
	v_cmp_eq_f32_e32 vcc, 0, v19
	v_cndmask_b32_e64 v20, |v18|, 1.0, vcc
	v_frexp_mant_f32_e32 v1, v20
	v_cmp_gt_f32_e64 s[6:7], s6, v1
	v_cndmask_b32_e64 v2, 1.0, 2.0, s[6:7]
	v_mul_f32_e32 v1, v1, v2
	v_add_f32_e32 v2, 1.0, v1
	v_rcp_f32_e32 v10, v2
	v_add_f32_e32 v3, -1.0, v2
	v_sub_f32_e32 v5, v1, v3
	v_add_f32_e32 v3, -1.0, v1
	v_mul_f32_e32 v1, v3, v10
	v_mul_f32_e32 v4, v2, v1
	v_fma_f32 v6, v1, v2, -v4
	v_fmac_f32_e32 v6, v1, v5
	v_add_f32_e32 v2, v4, v6
	v_sub_f32_e32 v5, v3, v2
	v_pk_add_f32 v[8:9], v[2:3], v[4:5] neg_lo:[0,1] neg_hi:[0,1]
	v_mov_b32_e32 v7, v2
	v_pk_add_f32 v[2:3], v[8:9], v[6:7] neg_lo:[0,1] neg_hi:[0,1]
	v_add_f32_e32 v2, v2, v3
	v_add_f32_e32 v2, v5, v2
	v_mul_f32_e32 v3, v10, v2
	v_add_f32_e32 v2, v1, v3
	v_sub_f32_e32 v1, v2, v1
	v_sub_f32_e32 v1, v3, v1
	v_mul_f32_e32 v3, v2, v2
	v_fma_f32 v5, v2, v2, -v3
	v_add_f32_e32 v4, v1, v1
	v_fmac_f32_e32 v5, v2, v4
	v_add_f32_e32 v4, v3, v5
	v_mov_b32_e32 v6, 0x3e91f4c4
	v_fmac_f32_e32 v6, 0x3e76c4e1, v4
	v_mov_b32_e32 v7, 0x3ecccdef
	v_fmac_f32_e32 v7, v4, v6
	v_sub_f32_e32 v3, v4, v3
	v_sub_f32_e32 v12, v5, v3
	v_mul_f32_e32 v3, v4, v7
	v_fma_f32 v5, v4, v7, -v3
	v_fmac_f32_e32 v5, v12, v7
	v_add_f32_e32 v6, v3, v5
	v_add_f32_e32 v7, 0x3f2aaaaa, v6
	v_sub_f32_e32 v3, v6, v3
	v_sub_f32_e32 v3, v5, v3
	v_add_f32_e32 v5, 0xbf2aaaaa, v7
	v_add_f32_e32 v3, 0x31739010, v3
	v_sub_f32_e32 v5, v6, v5
	v_pk_mul_f32 v[8:9], v[2:3], v[4:5]
	v_fma_f32 v6, v4, v2, -v8
	v_pk_add_f32 v[10:11], v[2:3], v[4:5]
	v_fmac_f32_e32 v6, v4, v1
	v_mov_b32_e32 v9, v11
	v_fmac_f32_e32 v6, v12, v2
	v_pk_add_f32 v[4:5], v[8:9], v[6:7]
	v_sub_f32_e32 v3, v4, v8
	v_sub_f32_e32 v3, v6, v3
	;; [unrolled: 1-line block ×3, first 2 shown]
	v_add_f32_e32 v9, v11, v6
	v_mov_b32_e32 v6, v5
	v_pk_mul_f32 v[6:7], v[4:5], v[6:7]
	v_cvt_f64_f32_e32 v[10:11], v20
	v_frexp_exp_i32_f64_e32 v7, v[10:11]
	v_subbrev_co_u32_e64 v7, s[6:7], 0, v7, s[6:7]
	v_cvt_f32_i32_e32 v7, v7
	v_fma_f32 v8, v4, v5, -v6
	v_fmac_f32_e32 v8, v4, v9
	s_mov_b32 s6, 0x3f317218
	v_mul_f32_e32 v4, 0x3f317218, v7
	v_fmac_f32_e32 v8, v3, v5
	v_fma_f32 v10, v7, s6, -v4
	v_fmac_f32_e32 v10, 0xb102e308, v7
	v_ldexp_f32 v11, v2, 1
	v_add_f32_e32 v5, v6, v8
	v_pk_add_f32 v[2:3], v[4:5], v[10:11]
	v_mov_b32_e32 v12, v5
	v_mov_b32_e32 v13, v3
	;; [unrolled: 1-line block ×3, first 2 shown]
	v_pk_add_f32 v[6:7], v[12:13], v[6:7] neg_lo:[0,1] neg_hi:[0,1]
	v_mov_b32_e32 v9, v5
	v_ldexp_f32 v1, v1, 1
	v_pk_add_f32 v[6:7], v[8:9], v[6:7] neg_lo:[0,1] neg_hi:[0,1]
	v_add_f32_e32 v1, v1, v6
	v_add_f32_e32 v5, v1, v7
	v_pk_add_f32 v[6:7], v[2:3], v[4:5] neg_lo:[0,1] neg_hi:[0,1]
	v_pk_add_f32 v[8:9], v[2:3], v[4:5]
	v_mov_b32_e32 v12, v6
	v_mov_b32_e32 v13, v9
	;; [unrolled: 1-line block ×3, first 2 shown]
	v_pk_add_f32 v[12:13], v[10:11], v[12:13]
	v_mov_b32_e32 v4, v13
	v_pk_add_f32 v[14:15], v[4:5], v[2:3] neg_lo:[0,1] neg_hi:[0,1]
	v_mov_b32_e32 v1, v14
	v_mov_b32_e32 v12, v9
	;; [unrolled: 1-line block ×4, first 2 shown]
	v_pk_add_f32 v[6:7], v[10:11], v[6:7] neg_lo:[0,1] neg_hi:[0,1]
	v_pk_add_f32 v[16:17], v[8:9], v[0:1] neg_lo:[0,1] neg_hi:[0,1]
	;; [unrolled: 1-line block ×3, first 2 shown]
	v_mov_b32_e32 v10, v5
	v_pk_add_f32 v[2:3], v[10:11], v[2:3] neg_lo:[0,1] neg_hi:[0,1]
	v_mov_b32_e32 v16, v6
	v_pk_add_f32 v[8:9], v[16:17], v[2:3]
	v_mov_b32_e32 v10, v9
	v_pk_add_f32 v[10:11], v[8:9], v[10:11]
	v_pk_add_f32 v[4:5], v[4:5], v[10:11]
	v_mov_b32_e32 v7, v13
	v_mov_b32_e32 v9, v4
	v_pk_add_f32 v[12:13], v[8:9], v[6:7] neg_lo:[0,1] neg_hi:[0,1]
	v_mov_b32_e32 v3, v10
	v_sub_f32_e32 v1, v8, v12
	v_pk_add_f32 v[2:3], v[2:3], v[12:13] neg_lo:[0,1] neg_hi:[0,1]
	v_sub_f32_e32 v1, v6, v1
	v_add_f32_e32 v1, v2, v1
	v_add_f32_e32 v1, v1, v3
	;; [unrolled: 1-line block ×3, first 2 shown]
	v_sub_f32_e32 v3, v2, v4
	v_sub_f32_e32 v1, v1, v3
	v_mul_f32_e32 v3, v19, v2
	v_fma_f32 v2, v19, v2, -v3
	v_fmac_f32_e32 v2, v19, v1
	v_add_f32_e32 v1, v3, v2
	v_cmp_class_f32_e64 s[6:7], v3, s10
	v_sub_f32_e32 v4, v1, v3
	v_cndmask_b32_e64 v1, v1, v3, s[6:7]
	s_mov_b32 s12, 0x42b17218
	v_mov_b32_e32 v3, 0x37000000
	v_cmp_eq_f32_e64 s[6:7], s12, v1
	v_cndmask_b32_e64 v3, 0, v3, s[6:7]
	v_sub_f32_e32 v2, v2, v4
	v_sub_f32_e32 v4, v1, v3
	s_mov_b32 s6, 0x3fb8aa3b
	v_mul_f32_e32 v5, 0x3fb8aa3b, v4
	v_fma_f32 v6, v4, s6, -v5
	v_rndne_f32_e32 v7, v5
	v_fmac_f32_e32 v6, 0x32a5705f, v4
	v_sub_f32_e32 v5, v5, v7
	v_add_f32_e32 v5, v5, v6
	v_exp_f32_e32 v5, v5
	v_cvt_i32_f32_e32 v6, v7
	s_mov_b32 s11, 0x7f800000
	v_cmp_neq_f32_e64 s[6:7], |v1|, s11
	v_cndmask_b32_e64 v1, 0, v2, s[6:7]
	s_mov_b32 s6, 0xc2ce8ed0
	v_ldexp_f32 v2, v5, v6
	v_cmp_ngt_f32_e64 s[6:7], s6, v4
	v_add_f32_e32 v1, v3, v1
	v_cndmask_b32_e64 v2, 0, v2, s[6:7]
	v_mov_b32_e32 v3, 0x7f800000
	v_cmp_nlt_f32_e64 s[6:7], s12, v4
	v_cndmask_b32_e64 v2, v3, v2, s[6:7]
	v_fma_f32 v1, v2, v1, v2
	v_cmp_class_f32_e64 s[6:7], v2, s10
	v_trunc_f32_e32 v4, v19
	v_cndmask_b32_e64 v1, v1, v2, s[6:7]
	v_cndmask_b32_e64 v2, v18, 1.0, vcc
	v_cmp_eq_f32_e32 vcc, v4, v19
	v_mul_f32_e32 v4, 0.5, v19
	v_trunc_f32_e32 v6, v4
	v_cmp_neq_f32_e64 s[6:7], v6, v4
	s_and_b64 s[6:7], vcc, s[6:7]
	v_cndmask_b32_e64 v4, 1.0, v2, s[6:7]
	s_brev_b32 s15, -2
	v_mov_b32_e32 v5, 0x7fc00000
	v_bfi_b32 v1, s15, v1, v4
	v_cndmask_b32_e32 v4, v5, v1, vcc
	v_cmp_gt_f32_e32 vcc, 0, v2
	v_cndmask_b32_e32 v1, v1, v4, vcc
	v_cmp_eq_f32_e32 vcc, s11, v20
	v_cmp_eq_f32_e64 s[10:11], 0, v2
	v_cmp_gt_f32_e64 s[12:13], 0, v19
	s_xor_b64 s[12:13], s[12:13], s[10:11]
	v_cndmask_b32_e64 v3, v3, 0, s[12:13]
	v_cndmask_b32_e64 v4, 0, v2, s[6:7]
	v_bfi_b32 v3, s15, v3, v4
	s_or_b64 vcc, vcc, s[10:11]
	v_cndmask_b32_e32 v1, v1, v3, vcc
	v_cmp_o_f32_e32 vcc, v2, v2
	v_cndmask_b32_e32 v41, v5, v1, vcc
.LBB46_4:
	s_load_dwordx4 s[52:55], s[4:5], 0x70
	s_ashr_i32 s15, s14, 31
	s_ashr_i32 s6, s49, 31
	s_lshl_b32 s22, s8, 4
	v_bfe_u32 v31, v0, 10, 10
	s_waitcnt lgkmcnt(0)
	s_mul_i32 s7, s33, s54
	s_ashr_i32 s11, s7, 31
	s_mul_i32 s10, s14, s53
	s_add_u32 s7, s16, s7
	s_addc_u32 s11, s17, s11
	s_ashr_i32 s12, s10, 31
	v_lshlrev_b32_e32 v28, 1, v31
	v_and_b32_e32 v29, 0x3ff, v0
	s_add_u32 s7, s7, s10
	v_lshlrev_b32_e32 v0, 4, v29
	v_add_u32_e32 v30, s22, v28
	v_add_co_u32_e32 v12, vcc, s7, v0
	v_mul_hi_u32 v0, v30, s36
	v_add_u32_e32 v0, v30, v0
	v_lshrrev_b32_e32 v0, s37, v0
	v_mul_lo_u32 v0, v0, s38
	s_addc_u32 s10, s11, s12
	s_ashr_i32 s12, s52, 31
	v_sub_u32_e32 v44, v30, v0
	v_mov_b32_e32 v0, s52
	v_mov_b32_e32 v1, s10
	v_alignbit_b32 v10, s12, v0, 2
	v_addc_co_u32_e32 v13, vcc, 0, v1, vcc
	v_mad_u64_u32 v[0:1], s[10:11], v10, v44, 0
	v_mov_b32_e32 v2, v1
	s_lshr_b32 s7, s12, 2
	v_mad_u64_u32 v[2:3], s[10:11], s7, v44, v[2:3]
	v_mov_b32_e32 v1, v2
	v_lshlrev_b64 v[0:1], 2, v[0:1]
	v_add_co_u32_e32 v8, vcc, v12, v0
	v_or_b32_e32 v17, 1, v28
	v_addc_co_u32_e32 v9, vcc, v13, v1, vcc
	v_add_u32_e32 v27, s22, v17
	global_load_dwordx4 v[0:3], v[8:9], off
	global_load_dwordx4 v[4:7], v[8:9], off offset:512
	v_mul_hi_u32 v8, v27, s36
	v_add_u32_e32 v8, v27, v8
	v_lshrrev_b32_e32 v8, s37, v8
	v_mul_lo_u32 v8, v8, s38
	v_sub_u32_e32 v11, v27, v8
	v_mad_u64_u32 v[8:9], s[10:11], v10, v11, 0
	v_mov_b32_e32 v10, v9
	v_mad_u64_u32 v[10:11], s[10:11], s7, v11, v[10:11]
	v_mov_b32_e32 v9, v10
	v_lshlrev_b64 v[8:9], 2, v[8:9]
	v_add_co_u32_e32 v18, vcc, v12, v8
	v_addc_co_u32_e32 v19, vcc, v13, v9, vcc
	global_load_dwordx4 v[8:11], v[18:19], off
	global_load_dwordx4 v[12:15], v[18:19], off offset:512
	v_lshlrev_b32_e32 v38, 1, v29
	v_lshlrev_b32_e32 v16, 8, v31
	v_add_lshl_u32 v16, v16, v38, 2
	v_lshlrev_b32_e32 v18, 7, v17
	v_lshlrev_b32_e32 v26, 2, v29
	v_add_u32_e32 v16, 0x2000, v16
	v_add_lshl_u32 v18, v18, v38, 2
	s_cmp_eq_u64 s[26:27], 0
	v_add_u32_e32 v18, 0x2000, v18
	s_waitcnt vmcnt(3)
	v_pk_mul_f32 v[0:1], v[0:1], s[40:41] op_sel_hi:[1,0]
	v_pk_mul_f32 v[2:3], v[2:3], s[40:41] op_sel_hi:[1,0]
	s_waitcnt vmcnt(2)
	v_pk_mul_f32 v[4:5], v[4:5], s[40:41] op_sel_hi:[1,0]
	v_pk_mul_f32 v[6:7], v[6:7], s[40:41] op_sel_hi:[1,0]
	v_cvt_f16_f32_e32 v19, v1
	v_cvt_f16_f32_e32 v0, v0
	;; [unrolled: 1-line block ×8, first 2 shown]
	v_pack_b32_f16 v1, v2, v1
	v_pack_b32_f16 v0, v0, v19
	;; [unrolled: 1-line block ×4, first 2 shown]
	s_waitcnt vmcnt(1)
	v_pk_mul_f32 v[8:9], v[8:9], s[40:41] op_sel_hi:[1,0]
	v_pk_mul_f32 v[10:11], v[10:11], s[40:41] op_sel_hi:[1,0]
	s_waitcnt vmcnt(0)
	v_pk_mul_f32 v[12:13], v[12:13], s[40:41] op_sel_hi:[1,0]
	v_pk_mul_f32 v[14:15], v[14:15], s[40:41] op_sel_hi:[1,0]
	v_cvt_f16_f32_e32 v7, v9
	v_cvt_f16_f32_e32 v8, v8
	;; [unrolled: 1-line block ×8, first 2 shown]
	v_pack_b32_f16 v5, v10, v9
	v_pack_b32_f16 v4, v8, v7
	;; [unrolled: 1-line block ×4, first 2 shown]
	ds_write2_b64 v16, v[0:1], v[2:3] offset0:64 offset1:96
	ds_write2_b64 v18, v[4:5], v[6:7] offset0:64 offset1:96
	s_waitcnt lgkmcnt(0)
	s_barrier
	s_cbranch_scc1 .LBB46_6
; %bb.5:
	s_load_dword s7, s[4:5], 0xd0
	s_mov_b32 s11, 0
	s_waitcnt lgkmcnt(0)
	s_mul_i32 s7, s7, s33
	s_add_i32 s10, s7, s8
	s_lshl_b64 s[10:11], s[10:11], 2
	s_add_u32 s10, s26, s10
	s_addc_u32 s11, s27, s11
	s_load_dword s44, s[10:11], 0x0
.LBB46_6:
	s_nop 0
	s_load_dwordx2 s[10:11], s[4:5], 0x8c
	s_load_dwordx4 s[40:43], s[4:5], 0x98
	s_load_dwordx2 s[16:17], s[4:5], 0xa8
	s_ashr_i32 s7, s33, 31
	s_ashr_i32 s23, s47, 1
	s_waitcnt lgkmcnt(0)
	s_ashr_i32 s12, s10, 2
	s_mul_i32 s10, s33, s41
	s_mul_hi_u32 s13, s33, s40
	s_add_i32 s10, s13, s10
	s_mul_i32 s13, s7, s40
	s_ashr_i32 s8, s42, 2
	s_add_i32 s10, s10, s13
	s_mul_i32 s13, s33, s40
	s_add_u32 s13, s18, s13
	s_mul_i32 s18, s46, s45
	s_addc_u32 s10, s19, s10
	s_sub_i32 s18, s48, s18
	s_xor_b32 s6, s15, s6
	s_add_i32 s19, s46, 1
	s_sub_i32 s26, s18, s45
	s_cmp_ge_u32 s18, s45
	s_cselect_b32 s19, s19, s46
	s_cselect_b32 s18, s26, s18
	s_add_i32 s26, s19, 1
	s_cmp_ge_u32 s18, s45
	s_cselect_b32 s18, s26, s19
	s_xor_b32 s18, s18, s6
	s_sub_i32 s6, s18, s6
	s_mul_i32 s11, s6, s11
	s_ashr_i32 s18, s11, 31
	s_add_u32 s13, s13, s11
	s_addc_u32 s19, s10, s18
	s_mul_i32 s10, s33, s17
	s_mul_hi_u32 s11, s33, s16
	s_add_i32 s10, s11, s10
	s_mul_i32 s7, s7, s16
	s_add_i32 s10, s10, s7
	s_mul_i32 s7, s33, s16
	s_add_u32 s7, s20, s7
	s_mul_i32 s6, s6, s43
	s_addc_u32 s10, s21, s10
	s_ashr_i32 s11, s6, 31
	s_add_u32 s16, s7, s6
	s_addc_u32 s17, s10, s11
	s_lshl_b32 s18, s9, 5
	s_sub_i32 s20, s44, 32
	v_mul_lo_u32 v14, s8, v31
	s_mov_b32 s6, 0xfeffffff
	s_cmp_ge_i32 s18, s20
	v_mov_b32_e32 v11, 0
	v_mov_b32_e32 v39, 0
	v_lshrrev_b32_e32 v46, 4, v29
	v_and_b32_e32 v16, 60, v26
	v_lshlrev_b32_e32 v33, 2, v26
	v_ashrrev_i32_e32 v15, 31, v14
	v_lshl_add_u32 v12, s8, 3, v14
	v_lshlrev_b32_e32 v32, 2, v38
	v_mbcnt_lo_u32_b32 v45, -1, 0
	s_cbranch_scc1 .LBB46_14
; %bb.7:
	v_mov_b32_e32 v4, 0x2200
	v_lshl_add_u32 v50, v31, 10, v4
	v_or_b32_e32 v4, 1, v30
	v_mul_hi_u32 v5, s36, v4
	v_add_u32_e32 v5, v4, v5
	v_lshrrev_b32_e32 v5, s37, v5
	v_add_u32_e32 v0, v46, v28
	v_lshlrev_b32_e32 v1, 2, v16
	s_movk_i32 s6, 0x110
	v_mul_lo_u32 v5, v5, s38
	v_mad_u32_u24 v47, v0, s6, v1
	v_mul_lo_u32 v0, s12, v0
	s_cmp_lg_u64 s[34:35], 0
	v_sub_u32_e32 v4, v4, v5
	v_ashrrev_i32_e32 v1, 31, v0
	v_lshl_add_u32 v2, s12, 4, v0
	v_mul_lo_u32 v52, v4, s23
	v_mov_b32_e32 v4, 0x4200
	s_cselect_b64 s[6:7], -1, 0
	v_mov_b32_e32 v34, 0
	v_ashrrev_i32_e32 v3, 31, v2
	v_lshl_add_u32 v53, v31, 7, v4
	v_lshl_add_u32 v55, v31, 9, v33
	v_ashrrev_i32_e32 v13, 31, v12
	s_add_u32 s10, s4, 0xd0
	v_mov_b32_e32 v8, 0xfeffffff
	v_lshlrev_b64 v[18:19], 2, v[0:1]
	v_cndmask_b32_e64 v0, 0, 1, s[6:7]
	v_add_u32_e32 v48, 0x1100, v47
	v_mul_u32_u24_e32 v49, 0x110, v29
	v_mul_lo_u32 v51, v44, s23
	v_lshl_add_u32 v54, v38, 1, v53
	v_add_u32_e32 v56, 0x1000, v55
	s_addc_u32 s11, s5, 0
	v_lshlrev_b32_e32 v57, 2, v16
	v_lshlrev_b64 v[20:21], 2, v[2:3]
	v_mbcnt_hi_u32_b32 v58, -1, v45
	s_mov_b32 s21, 0x3fb8aa3b
	s_mov_b32 s26, 0xc2ce8ed0
	;; [unrolled: 1-line block ×3, first 2 shown]
	v_lshlrev_b64 v[22:23], 2, v[14:15]
	v_lshlrev_b64 v[24:25], 2, v[12:13]
	v_cmp_ne_u32_e64 s[6:7], 1, v0
	v_mov_b32_e32 v13, 0x7f800000
	v_mov_b32_e32 v36, 0
	;; [unrolled: 1-line block ×11, first 2 shown]
	s_branch .LBB46_10
.LBB46_8:                               ;   in Loop: Header=BB46_10 Depth=1
	v_add_u32_e32 v62, v1, v52
	v_ashrrev_i32_e32 v63, 31, v62
	v_lshlrev_b64 v[62:63], 1, v[62:63]
	v_mov_b32_e32 v1, s35
	v_add_co_u32_e32 v62, vcc, s34, v62
	v_addc_co_u32_e32 v63, vcc, v1, v63, vcc
	flat_load_ushort v1, v[62:63]
	s_waitcnt vmcnt(0) lgkmcnt(0)
	v_cvt_f32_f16_e32 v1, v1
	v_mul_f32_e32 v1, v41, v1
.LBB46_9:                               ;   in Loop: Header=BB46_10 Depth=1
	v_add_f32_e32 v1, v4, v1
	v_add_f32_e32 v4, 0x40051340, v1
	v_max_f32_e32 v61, v9, v9
	v_max_f32_e32 v4, v61, v4
	ds_bpermute_b32 v59, v59, v4
	s_mul_hi_i32 s41, s18, s8
	s_mul_i32 s40, s18, s8
	s_lshl_b64 s[40:41], s[40:41], 2
	s_add_u32 s40, s16, s40
	s_waitcnt lgkmcnt(0)
	v_max_f32_e32 v59, v59, v59
	v_max_f32_e32 v4, v4, v59
	ds_bpermute_b32 v59, v60, v4
	s_addc_u32 s41, s17, s41
	s_waitcnt lgkmcnt(0)
	s_barrier
	v_max_f32_e32 v59, v59, v59
	v_max_f32_e32 v4, v4, v59
	ds_bpermute_b32 v7, v7, v4
	v_mov_b32_e32 v59, s41
	v_max_f32_e32 v3, v3, v3
	v_max_f32_e32 v2, v2, v2
	v_add_u32_e32 v108, 0x800, v32
	s_waitcnt lgkmcnt(0)
	v_max_f32_e32 v7, v7, v7
	v_max_f32_e32 v4, v4, v7
	ds_bpermute_b32 v5, v5, v4
	v_add_co_u32_e32 v7, vcc, s40, v22
	v_addc_co_u32_e32 v59, vcc, v59, v23, vcc
	v_add_co_u32_e32 v64, vcc, v7, v33
	s_waitcnt lgkmcnt(0)
	v_max_f32_e32 v5, v5, v5
	v_addc_co_u32_e32 v65, vcc, 0, v59, vcc
	v_max_f32_e32 v68, v4, v5
	v_mov_b32_e32 v4, s41
	v_add_co_u32_e32 v5, vcc, s40, v24
	v_addc_co_u32_e32 v4, vcc, v4, v25, vcc
	v_add_co_u32_e32 v66, vcc, v5, v33
	ds_bpermute_b32 v69, v6, v68
	v_addc_co_u32_e32 v67, vcc, 0, v4, vcc
	global_load_dwordx4 v[4:7], v[64:65], off
	global_load_dwordx4 v[60:63], v[66:67], off
	v_mov_b32_e32 v64, v8
	s_waitcnt lgkmcnt(0)
	v_max_f32_e32 v8, v69, v69
	v_mov_b32_e32 v65, v9
	v_max_f32_e32 v9, v68, v8
	v_max_f32_e32 v8, v2, v3
	v_pk_add_f32 v[0:1], v[0:1], v[8:9] neg_lo:[0,1] neg_hi:[0,1]
	v_mul_f32_e32 v2, 0x3fb8aa3b, v1
	v_fma_f32 v3, v1, s21, -v2
	v_rndne_f32_e32 v59, v2
	v_fmac_f32_e32 v3, 0x32a5705f, v1
	v_sub_f32_e32 v2, v2, v59
	v_add_f32_e32 v2, v2, v3
	v_exp_f32_e32 v2, v2
	v_cvt_i32_f32_e32 v3, v59
	v_cmp_ngt_f32_e32 vcc, s26, v1
	s_or_b32 s40, s18, 16
	s_mul_hi_i32 s41, s40, s8
	v_ldexp_f32 v2, v2, v3
	v_mul_f32_e32 v3, 0x3fb8aa3b, v0
	v_fma_f32 v59, v0, s21, -v3
	v_rndne_f32_e32 v66, v3
	v_fmac_f32_e32 v59, 0x32a5705f, v0
	v_sub_f32_e32 v3, v3, v66
	v_add_f32_e32 v3, v3, v59
	v_exp_f32_e32 v3, v3
	v_cvt_i32_f32_e32 v59, v66
	v_cndmask_b32_e32 v2, 0, v2, vcc
	v_cmp_nlt_f32_e32 vcc, s27, v1
	v_cndmask_b32_e32 v1, v13, v2, vcc
	v_ldexp_f32 v2, v3, v59
	v_cmp_ngt_f32_e32 vcc, s26, v0
	v_cndmask_b32_e32 v2, 0, v2, vcc
	v_cmp_nlt_f32_e32 vcc, s27, v0
	v_cndmask_b32_e32 v0, v13, v2, vcc
	v_cvt_f16_f32_e32 v2, v1
	v_cvt_f16_f32_e32 v3, v0
	s_mul_i32 s40, s40, s8
	s_lshl_b64 s[40:41], s[40:41], 2
	s_add_u32 s40, s16, s40
	v_pack_b32_f16 v59, v3, v2
	v_pk_add_f32 v[2:3], v[64:65], v[8:9] neg_lo:[0,1] neg_hi:[0,1]
	v_mul_f32_e32 v64, 0x3fb8aa3b, v3
	v_fma_f32 v65, v3, s21, -v64
	v_rndne_f32_e32 v66, v64
	v_fmac_f32_e32 v65, 0x32a5705f, v3
	v_sub_f32_e32 v64, v64, v66
	v_add_f32_e32 v64, v64, v65
	v_cvt_i32_f32_e32 v65, v66
	v_mul_f32_e32 v66, 0x3fb8aa3b, v2
	v_fma_f32 v67, v2, s21, -v66
	v_rndne_f32_e32 v68, v66
	v_fmac_f32_e32 v67, 0x32a5705f, v2
	v_sub_f32_e32 v66, v66, v68
	v_exp_f32_e32 v64, v64
	v_add_f32_e32 v66, v66, v67
	v_exp_f32_e32 v66, v66
	v_cvt_i32_f32_e32 v67, v68
	v_ldexp_f32 v64, v64, v65
	v_cmp_ngt_f32_e32 vcc, s26, v3
	v_cndmask_b32_e32 v64, 0, v64, vcc
	v_ldexp_f32 v65, v66, v67
	v_cmp_ngt_f32_e32 vcc, s26, v2
	v_cndmask_b32_e32 v65, 0, v65, vcc
	v_cmp_nlt_f32_e32 vcc, s27, v2
	v_cndmask_b32_e32 v2, v13, v65, vcc
	v_cmp_nlt_f32_e32 vcc, s27, v3
	v_cndmask_b32_e32 v3, v13, v64, vcc
	ds_write_b32 v54, v59
	s_waitcnt vmcnt(1)
	ds_write_b128 v55, v[4:7]
	s_waitcnt vmcnt(0)
	ds_write_b128 v56, v[60:63]
	s_waitcnt lgkmcnt(0)
	s_barrier
	ds_read2_b64 v[60:63], v32 offset1:32
	ds_read_b128 v[64:67], v53
	v_cvt_f16_f32_e32 v73, v3
	v_cvt_f16_f32_e32 v72, v2
	v_pk_fma_f32 v[10:11], v[10:11], v[2:3], v[0:1]
	ds_read_b128 v[68:71], v53 offset:16
	ds_read_b128 v[4:7], v53 offset:32
	;; [unrolled: 1-line block ×3, first 2 shown]
	v_pk_mul_f16 v59, v73, v34 op_sel_hi:[0,1]
	s_waitcnt lgkmcnt(3)
	v_pk_mul_f16 v34, v60, v64 op_sel_hi:[1,0]
	v_pk_fma_f16 v39, v72, v39, v34 op_sel_hi:[0,1,1]
	v_pk_mul_f16 v34, v60, v64 op_sel:[0,1]
	v_pk_mul_f16 v37, v73, v37 op_sel_hi:[0,1]
	v_pk_fma_f16 v60, v73, v35, v34 op_sel_hi:[0,1,1]
	v_pk_mul_f16 v34, v61, v64 op_sel_hi:[1,0]
	v_pk_mul_f16 v74, v73, v36 op_sel_hi:[0,1]
	v_pk_fma_f16 v40, v72, v40, v34 op_sel_hi:[0,1,1]
	v_pk_fma_f16 v61, v61, v64, v37 op_sel:[0,1,0]
	ds_read2_b64 v[34:37], v32 offset0:64 offset1:96
	v_pk_mul_f16 v43, v72, v43 op_sel_hi:[0,1]
	v_pk_mul_f16 v42, v72, v42 op_sel_hi:[0,1]
	v_pk_fma_f16 v43, v62, v64, v43 op_sel_hi:[1,0,1]
	v_pk_fma_f16 v72, v62, v64, v74 op_sel:[0,1,0]
	v_pk_fma_f16 v42, v63, v64, v42 op_sel_hi:[1,0,1]
	v_pk_fma_f16 v59, v63, v64, v59 op_sel:[0,1,0]
	s_waitcnt lgkmcnt(0)
	v_pk_fma_f16 v39, v34, v65, v39 op_sel_hi:[1,0,1]
	v_pk_fma_f16 v34, v34, v65, v60 op_sel:[0,1,0]
	v_pk_fma_f16 v40, v35, v65, v40 op_sel_hi:[1,0,1]
	v_pk_fma_f16 v35, v35, v65, v61 op_sel:[0,1,0]
	ds_read2_b64 v[60:63], v32 offset0:128 offset1:160
	v_pk_fma_f16 v43, v36, v65, v43 op_sel_hi:[1,0,1]
	v_pk_fma_f16 v64, v36, v65, v72 op_sel:[0,1,0]
	v_pk_fma_f16 v42, v37, v65, v42 op_sel_hi:[1,0,1]
	v_pk_fma_f16 v59, v37, v65, v59 op_sel:[0,1,0]
	s_waitcnt lgkmcnt(0)
	v_pk_fma_f16 v39, v60, v66, v39 op_sel_hi:[1,0,1]
	v_pk_fma_f16 v60, v60, v66, v34 op_sel:[0,1,0]
	v_pk_fma_f16 v40, v61, v66, v40 op_sel_hi:[1,0,1]
	v_pk_fma_f16 v61, v61, v66, v35 op_sel:[0,1,0]
	ds_read2_b64 v[34:37], v32 offset0:192 offset1:224
	v_pk_fma_f16 v43, v62, v66, v43 op_sel_hi:[1,0,1]
	v_pk_fma_f16 v64, v62, v66, v64 op_sel:[0,1,0]
	v_pk_fma_f16 v42, v63, v66, v42 op_sel_hi:[1,0,1]
	v_pk_fma_f16 v59, v63, v66, v59 op_sel:[0,1,0]
	s_waitcnt lgkmcnt(0)
	v_pk_fma_f16 v39, v34, v67, v39 op_sel_hi:[1,0,1]
	v_pk_fma_f16 v34, v34, v67, v60 op_sel:[0,1,0]
	v_pk_fma_f16 v40, v35, v67, v40 op_sel_hi:[1,0,1]
	v_pk_fma_f16 v35, v35, v67, v61 op_sel:[0,1,0]
	ds_read2_b64 v[60:63], v108 offset1:32
	v_pk_fma_f16 v43, v36, v67, v43 op_sel_hi:[1,0,1]
	v_pk_fma_f16 v64, v36, v67, v64 op_sel:[0,1,0]
	v_pk_fma_f16 v42, v37, v67, v42 op_sel_hi:[1,0,1]
	v_pk_fma_f16 v59, v37, v67, v59 op_sel:[0,1,0]
	s_waitcnt lgkmcnt(0)
	v_pk_fma_f16 v39, v60, v68, v39 op_sel_hi:[1,0,1]
	v_pk_fma_f16 v60, v60, v68, v34 op_sel:[0,1,0]
	v_pk_fma_f16 v40, v61, v68, v40 op_sel_hi:[1,0,1]
	v_pk_fma_f16 v61, v61, v68, v35 op_sel:[0,1,0]
	ds_read2_b64 v[34:37], v108 offset0:64 offset1:96
	v_pk_fma_f16 v43, v62, v68, v43 op_sel_hi:[1,0,1]
	v_pk_fma_f16 v42, v63, v68, v42 op_sel_hi:[1,0,1]
	s_addc_u32 s41, s17, s41
	v_pk_fma_f16 v64, v62, v68, v64 op_sel:[0,1,0]
	s_waitcnt lgkmcnt(0)
	v_pk_fma_f16 v111, v36, v69, v43 op_sel_hi:[1,0,1]
	v_pk_fma_f16 v113, v37, v69, v42 op_sel_hi:[1,0,1]
	v_mov_b32_e32 v42, s41
	v_add_co_u32_e32 v43, vcc, s40, v22
	v_pk_fma_f16 v59, v63, v68, v59 op_sel:[0,1,0]
	v_addc_co_u32_e32 v68, vcc, v42, v23, vcc
	v_add_co_u32_e32 v42, vcc, v43, v33
	v_addc_co_u32_e32 v43, vcc, 0, v68, vcc
	v_pk_fma_f16 v39, v34, v69, v39 op_sel_hi:[1,0,1]
	v_pk_fma_f16 v109, v34, v69, v60 op_sel:[0,1,0]
	v_pk_fma_f16 v40, v35, v69, v40 op_sel_hi:[1,0,1]
	v_pk_fma_f16 v110, v35, v69, v61 op_sel:[0,1,0]
	v_pk_fma_f16 v112, v36, v69, v64 op_sel:[0,1,0]
	;; [unrolled: 1-line block ×3, first 2 shown]
	v_mov_b32_e32 v68, s41
	v_add_co_u32_e32 v69, vcc, s40, v24
	v_addc_co_u32_e32 v100, vcc, v68, v25, vcc
	v_add_u32_e32 v114, 0x1000, v32
	v_add_u32_e32 v115, 0x1800, v32
	v_add_co_u32_e32 v68, vcc, v69, v33
	ds_read2_b64 v[60:63], v108 offset0:128 offset1:160
	ds_read2_b64 v[34:37], v108 offset0:192 offset1:224
	ds_read2_b64 v[64:67], v114 offset1:32
	ds_read2_b64 v[72:75], v114 offset0:64 offset1:96
	ds_read2_b64 v[76:79], v114 offset0:128 offset1:160
	;; [unrolled: 1-line block ×3, first 2 shown]
	ds_read2_b64 v[84:87], v115 offset1:32
	ds_read2_b64 v[88:91], v115 offset0:64 offset1:96
	ds_read2_b64 v[92:95], v115 offset0:128 offset1:160
	;; [unrolled: 1-line block ×3, first 2 shown]
	s_waitcnt lgkmcnt(0)
	s_barrier
	v_addc_co_u32_e32 v69, vcc, 0, v100, vcc
	global_load_dwordx4 v[100:103], v[42:43], off
	global_load_dwordx4 v[104:107], v[68:69], off
	v_pk_fma_f16 v39, v60, v70, v39 op_sel_hi:[1,0,1]
	v_pk_fma_f16 v42, v60, v70, v109 op_sel:[0,1,0]
	v_pk_fma_f16 v40, v61, v70, v40 op_sel_hi:[1,0,1]
	v_pk_fma_f16 v43, v61, v70, v110 op_sel:[0,1,0]
	;; [unrolled: 2-line block ×36, first 2 shown]
	v_pk_fma_f16 v40, v96, v3, v4 op_sel:[0,1,0]
	v_pk_fma_f16 v42, v97, v3, v5 op_sel_hi:[1,0,1]
	v_pk_fma_f16 v43, v97, v3, v6 op_sel:[0,1,0]
	v_pk_fma_f16 v59, v98, v3, v7 op_sel_hi:[1,0,1]
	;; [unrolled: 2-line block ×3, first 2 shown]
	s_waitcnt vmcnt(1)
	ds_write_b128 v55, v[100:103]
	s_waitcnt vmcnt(0)
	ds_write_b128 v56, v[104:107]
	s_waitcnt lgkmcnt(0)
	s_barrier
	ds_read2_b64 v[4:7], v32 offset1:32
	ds_read_b128 v[34:37], v53 offset:64
	v_pk_fma_f16 v39, v96, v3, v1 op_sel_hi:[1,0,1]
	v_pk_fma_f16 v74, v99, v3, v0 op_sel:[0,1,0]
	ds_read_b128 v[0:3], v53 offset:80
	ds_read_b128 v[60:63], v53 offset:96
	;; [unrolled: 1-line block ×3, first 2 shown]
	ds_read2_b64 v[68:71], v32 offset0:64 offset1:96
	s_waitcnt lgkmcnt(4)
	v_pk_fma_f16 v39, v4, v34, v39 op_sel_hi:[1,0,1]
	v_pk_fma_f16 v4, v4, v34, v40 op_sel:[0,1,0]
	v_pk_fma_f16 v40, v5, v34, v42 op_sel_hi:[1,0,1]
	v_pk_fma_f16 v5, v5, v34, v43 op_sel:[0,1,0]
	;; [unrolled: 2-line block ×4, first 2 shown]
	s_waitcnt lgkmcnt(0)
	v_pk_fma_f16 v39, v68, v35, v39 op_sel_hi:[1,0,1]
	v_pk_fma_f16 v68, v68, v35, v4 op_sel:[0,1,0]
	v_pk_fma_f16 v40, v69, v35, v40 op_sel_hi:[1,0,1]
	v_pk_fma_f16 v69, v69, v35, v5 op_sel:[0,1,0]
	ds_read2_b64 v[4:7], v32 offset0:128 offset1:160
	v_pk_fma_f16 v42, v70, v35, v42 op_sel_hi:[1,0,1]
	v_pk_fma_f16 v43, v70, v35, v43 op_sel:[0,1,0]
	v_pk_fma_f16 v59, v71, v35, v59 op_sel_hi:[1,0,1]
	v_pk_fma_f16 v34, v71, v35, v34 op_sel:[0,1,0]
	s_waitcnt lgkmcnt(0)
	v_pk_fma_f16 v35, v4, v36, v39 op_sel_hi:[1,0,1]
	v_pk_fma_f16 v4, v4, v36, v68 op_sel:[0,1,0]
	v_pk_fma_f16 v39, v5, v36, v40 op_sel_hi:[1,0,1]
	v_pk_fma_f16 v5, v5, v36, v69 op_sel:[0,1,0]
	ds_read2_b64 v[68:71], v32 offset0:192 offset1:224
	v_pk_fma_f16 v40, v6, v36, v42 op_sel_hi:[1,0,1]
	v_pk_fma_f16 v42, v6, v36, v43 op_sel:[0,1,0]
	v_pk_fma_f16 v43, v7, v36, v59 op_sel_hi:[1,0,1]
	v_pk_fma_f16 v34, v7, v36, v34 op_sel:[0,1,0]
	s_waitcnt lgkmcnt(0)
	v_pk_fma_f16 v36, v68, v37, v4 op_sel:[0,1,0]
	v_pk_fma_f16 v59, v69, v37, v5 op_sel:[0,1,0]
	ds_read2_b64 v[4:7], v108 offset1:32
	v_pk_fma_f16 v35, v68, v37, v35 op_sel_hi:[1,0,1]
	v_pk_fma_f16 v39, v69, v37, v39 op_sel_hi:[1,0,1]
	;; [unrolled: 1-line block ×3, first 2 shown]
	v_pk_fma_f16 v42, v70, v37, v42 op_sel:[0,1,0]
	v_pk_fma_f16 v43, v71, v37, v43 op_sel_hi:[1,0,1]
	v_pk_fma_f16 v68, v71, v37, v34 op_sel:[0,1,0]
	s_waitcnt lgkmcnt(0)
	v_pk_fma_f16 v69, v4, v0, v35 op_sel_hi:[1,0,1]
	v_pk_fma_f16 v4, v4, v0, v36 op_sel:[0,1,0]
	ds_read2_b64 v[34:37], v108 offset0:64 offset1:96
	v_pk_fma_f16 v39, v5, v0, v39 op_sel_hi:[1,0,1]
	v_pk_fma_f16 v5, v5, v0, v59 op_sel:[0,1,0]
	v_pk_fma_f16 v40, v6, v0, v40 op_sel_hi:[1,0,1]
	v_pk_fma_f16 v42, v6, v0, v42 op_sel:[0,1,0]
	;; [unrolled: 2-line block ×3, first 2 shown]
	s_waitcnt lgkmcnt(0)
	v_pk_fma_f16 v59, v34, v1, v69 op_sel_hi:[1,0,1]
	v_pk_fma_f16 v34, v34, v1, v4 op_sel:[0,1,0]
	v_pk_fma_f16 v39, v35, v1, v39 op_sel_hi:[1,0,1]
	v_pk_fma_f16 v35, v35, v1, v5 op_sel:[0,1,0]
	ds_read2_b64 v[4:7], v108 offset0:128 offset1:160
	v_pk_fma_f16 v40, v36, v1, v40 op_sel_hi:[1,0,1]
	v_pk_fma_f16 v42, v36, v1, v42 op_sel:[0,1,0]
	v_pk_fma_f16 v43, v37, v1, v43 op_sel_hi:[1,0,1]
	v_pk_fma_f16 v0, v37, v1, v0 op_sel:[0,1,0]
	s_waitcnt lgkmcnt(0)
	v_pk_fma_f16 v1, v4, v2, v59 op_sel_hi:[1,0,1]
	v_pk_fma_f16 v4, v4, v2, v34 op_sel:[0,1,0]
	v_pk_fma_f16 v39, v5, v2, v39 op_sel_hi:[1,0,1]
	v_pk_fma_f16 v5, v5, v2, v35 op_sel:[0,1,0]
	ds_read2_b64 v[34:37], v108 offset0:192 offset1:224
	v_pk_fma_f16 v40, v6, v2, v40 op_sel_hi:[1,0,1]
	v_pk_fma_f16 v42, v6, v2, v42 op_sel:[0,1,0]
	v_pk_fma_f16 v43, v7, v2, v43 op_sel_hi:[1,0,1]
	v_pk_fma_f16 v0, v7, v2, v0 op_sel:[0,1,0]
	s_waitcnt lgkmcnt(0)
	v_pk_fma_f16 v1, v34, v3, v1 op_sel_hi:[1,0,1]
	v_pk_fma_f16 v2, v34, v3, v4 op_sel:[0,1,0]
	v_pk_fma_f16 v34, v35, v3, v39 op_sel_hi:[1,0,1]
	v_pk_fma_f16 v35, v35, v3, v5 op_sel:[0,1,0]
	ds_read2_b64 v[4:7], v114 offset1:32
	v_pk_fma_f16 v39, v36, v3, v40 op_sel_hi:[1,0,1]
	v_pk_fma_f16 v36, v36, v3, v42 op_sel:[0,1,0]
	v_pk_fma_f16 v40, v37, v3, v43 op_sel_hi:[1,0,1]
	v_pk_fma_f16 v37, v37, v3, v0 op_sel:[0,1,0]
	s_waitcnt lgkmcnt(0)
	v_pk_fma_f16 v42, v4, v60, v1 op_sel_hi:[1,0,1]
	v_pk_fma_f16 v4, v4, v60, v2 op_sel:[0,1,0]
	ds_read2_b64 v[0:3], v114 offset0:64 offset1:96
	v_pk_fma_f16 v34, v5, v60, v34 op_sel_hi:[1,0,1]
	v_pk_fma_f16 v5, v5, v60, v35 op_sel:[0,1,0]
	v_pk_fma_f16 v35, v6, v60, v39 op_sel_hi:[1,0,1]
	v_pk_fma_f16 v36, v6, v60, v36 op_sel:[0,1,0]
	;; [unrolled: 2-line block ×3, first 2 shown]
	s_waitcnt lgkmcnt(0)
	v_pk_fma_f16 v40, v0, v61, v42 op_sel_hi:[1,0,1]
	v_pk_fma_f16 v0, v0, v61, v4 op_sel:[0,1,0]
	v_pk_fma_f16 v34, v1, v61, v34 op_sel_hi:[1,0,1]
	v_pk_fma_f16 v1, v1, v61, v5 op_sel:[0,1,0]
	ds_read2_b64 v[4:7], v114 offset0:128 offset1:160
	v_pk_fma_f16 v35, v2, v61, v35 op_sel_hi:[1,0,1]
	v_pk_fma_f16 v36, v2, v61, v36 op_sel:[0,1,0]
	v_pk_fma_f16 v39, v3, v61, v39 op_sel_hi:[1,0,1]
	v_pk_fma_f16 v37, v3, v61, v37 op_sel:[0,1,0]
	s_waitcnt lgkmcnt(0)
	v_pk_fma_f16 v40, v4, v62, v40 op_sel_hi:[1,0,1]
	v_pk_fma_f16 v4, v4, v62, v0 op_sel:[0,1,0]
	v_pk_fma_f16 v34, v5, v62, v34 op_sel_hi:[1,0,1]
	v_pk_fma_f16 v5, v5, v62, v1 op_sel:[0,1,0]
	ds_read2_b64 v[0:3], v114 offset0:192 offset1:224
	v_pk_fma_f16 v35, v6, v62, v35 op_sel_hi:[1,0,1]
	v_pk_fma_f16 v36, v6, v62, v36 op_sel:[0,1,0]
	v_pk_fma_f16 v39, v7, v62, v39 op_sel_hi:[1,0,1]
	v_pk_fma_f16 v37, v7, v62, v37 op_sel:[0,1,0]
	s_waitcnt lgkmcnt(0)
	v_pk_fma_f16 v40, v0, v63, v40 op_sel_hi:[1,0,1]
	v_pk_fma_f16 v0, v0, v63, v4 op_sel:[0,1,0]
	v_pk_fma_f16 v34, v1, v63, v34 op_sel_hi:[1,0,1]
	v_pk_fma_f16 v1, v1, v63, v5 op_sel:[0,1,0]
	ds_read2_b64 v[4:7], v115 offset1:32
	v_pk_fma_f16 v35, v2, v63, v35 op_sel_hi:[1,0,1]
	v_pk_fma_f16 v36, v2, v63, v36 op_sel:[0,1,0]
	v_pk_fma_f16 v39, v3, v63, v39 op_sel_hi:[1,0,1]
	v_pk_fma_f16 v37, v3, v63, v37 op_sel:[0,1,0]
	s_waitcnt lgkmcnt(0)
	v_pk_fma_f16 v40, v4, v64, v40 op_sel_hi:[1,0,1]
	v_pk_fma_f16 v4, v4, v64, v0 op_sel:[0,1,0]
	v_pk_fma_f16 v34, v5, v64, v34 op_sel_hi:[1,0,1]
	v_pk_fma_f16 v5, v5, v64, v1 op_sel:[0,1,0]
	ds_read2_b64 v[0:3], v115 offset0:64 offset1:96
	v_pk_fma_f16 v35, v6, v64, v35 op_sel_hi:[1,0,1]
	v_pk_fma_f16 v36, v6, v64, v36 op_sel:[0,1,0]
	v_pk_fma_f16 v39, v7, v64, v39 op_sel_hi:[1,0,1]
	v_pk_fma_f16 v37, v7, v64, v37 op_sel:[0,1,0]
	s_waitcnt lgkmcnt(0)
	v_pk_fma_f16 v40, v0, v65, v40 op_sel_hi:[1,0,1]
	v_pk_fma_f16 v0, v0, v65, v4 op_sel:[0,1,0]
	v_pk_fma_f16 v34, v1, v65, v34 op_sel_hi:[1,0,1]
	v_pk_fma_f16 v1, v1, v65, v5 op_sel:[0,1,0]
	ds_read2_b64 v[4:7], v115 offset0:128 offset1:160
	;; [unrolled: 10-line block ×3, first 2 shown]
	s_waitcnt lgkmcnt(0)
	s_barrier
	s_load_dword s40, s[10:11], 0x4
	v_pk_fma_f16 v42, v6, v66, v35 op_sel_hi:[1,0,1]
	v_pk_fma_f16 v6, v6, v66, v36 op_sel:[0,1,0]
	v_pk_fma_f16 v59, v7, v66, v39 op_sel_hi:[1,0,1]
	v_pk_fma_f16 v7, v7, v66, v37 op_sel:[0,1,0]
	s_waitcnt lgkmcnt(0)
	s_lshl_b32 s40, s40, 5
	s_add_i32 s18, s40, s18
	v_pk_fma_f16 v39, v0, v67, v40 op_sel_hi:[1,0,1]
	v_pk_fma_f16 v35, v0, v67, v4 op_sel:[0,1,0]
	v_pk_fma_f16 v40, v1, v67, v34 op_sel_hi:[1,0,1]
	v_pk_fma_f16 v37, v1, v67, v5 op_sel:[0,1,0]
	;; [unrolled: 2-line block ×3, first 2 shown]
	v_pk_fma_f16 v42, v3, v67, v59 op_sel_hi:[1,0,1]
	s_cmp_lt_i32 s18, s20
	v_pk_fma_f16 v34, v3, v67, v7 op_sel:[0,1,0]
	s_cbranch_scc0 .LBB46_15
.LBB46_10:                              ; =>This Inner Loop Header: Depth=1
	s_mul_hi_i32 s41, s18, s12
	s_mul_i32 s40, s18, s12
	s_lshl_b64 s[40:41], s[40:41], 2
	s_add_u32 s40, s13, s40
	s_addc_u32 s41, s19, s41
	v_mov_b32_e32 v0, s41
	v_add_co_u32_e32 v1, vcc, s40, v18
	v_addc_co_u32_e32 v2, vcc, v0, v19, vcc
	v_add_co_u32_e32 v0, vcc, v1, v57
	v_addc_co_u32_e32 v1, vcc, 0, v2, vcc
	v_mov_b32_e32 v2, s41
	v_add_co_u32_e32 v3, vcc, s40, v20
	v_addc_co_u32_e32 v4, vcc, v2, v21, vcc
	v_add_co_u32_e32 v2, vcc, v3, v57
	v_addc_co_u32_e32 v3, vcc, 0, v4, vcc
	global_load_dwordx4 v[4:7], v[0:1], off
	global_load_dwordx4 v[60:63], v[2:3], off
	s_and_b64 vcc, exec, s[6:7]
	s_waitcnt vmcnt(1)
	ds_write_b128 v47, v[4:7]
	s_waitcnt vmcnt(0)
	ds_write_b128 v48, v[60:63]
	s_waitcnt lgkmcnt(0)
	s_barrier
	ds_read_b128 v[60:63], v49
	ds_read_b128 v[64:67], v50
	v_mov_b32_e32 v5, 0
	ds_read_b128 v[68:71], v50 offset:512
	s_waitcnt lgkmcnt(1)
	;;#ASMSTART
	v_dot2_f32_f16 v5, v60, v64, v5
	;;#ASMEND
	;;#ASMSTART
	v_dot2_f32_f16 v5, v61, v65, v5
	;;#ASMEND
	v_mov_b32_e32 v4, 0
	;;#ASMSTART
	v_dot2_f32_f16 v5, v62, v66, v5
	;;#ASMEND
	;;#ASMSTART
	v_dot2_f32_f16 v5, v63, v67, v5
	;;#ASMEND
	s_waitcnt lgkmcnt(0)
	;;#ASMSTART
	v_dot2_f32_f16 v4, v60, v68, v4
	;;#ASMEND
	;;#ASMSTART
	v_dot2_f32_f16 v4, v61, v69, v4
	;;#ASMEND
	;;#ASMSTART
	v_dot2_f32_f16 v4, v62, v70, v4
	;;#ASMEND
	;;#ASMSTART
	v_dot2_f32_f16 v4, v63, v71, v4
	;;#ASMEND
	ds_read_b128 v[60:63], v49 offset:16
	ds_read_b128 v[64:67], v50 offset:16
	ds_read_b128 v[68:71], v50 offset:528
	s_waitcnt lgkmcnt(1)
	;;#ASMSTART
	v_dot2_f32_f16 v5, v60, v64, v5
	;;#ASMEND
	;;#ASMSTART
	v_dot2_f32_f16 v5, v61, v65, v5
	;;#ASMEND
	;;#ASMSTART
	v_dot2_f32_f16 v5, v62, v66, v5
	;;#ASMEND
	;;#ASMSTART
	v_dot2_f32_f16 v5, v63, v67, v5
	;;#ASMEND
	s_waitcnt lgkmcnt(0)
	;;#ASMSTART
	v_dot2_f32_f16 v4, v60, v68, v4
	;;#ASMEND
	;;#ASMSTART
	v_dot2_f32_f16 v4, v61, v69, v4
	;;#ASMEND
	;;#ASMSTART
	v_dot2_f32_f16 v4, v62, v70, v4
	;;#ASMEND
	;;#ASMSTART
	v_dot2_f32_f16 v4, v63, v71, v4
	;;#ASMEND
	ds_read_b128 v[60:63], v49 offset:32
	ds_read_b128 v[64:67], v50 offset:32
	ds_read_b128 v[68:71], v50 offset:544
	s_waitcnt lgkmcnt(1)
	;;#ASMSTART
	v_dot2_f32_f16 v5, v60, v64, v5
	;;#ASMEND
	;;#ASMSTART
	v_dot2_f32_f16 v5, v61, v65, v5
	;;#ASMEND
	;; [unrolled: 29-line block ×15, first 2 shown]
	;;#ASMSTART
	v_dot2_f32_f16 v5, v62, v66, v5
	;;#ASMEND
	;;#ASMSTART
	v_dot2_f32_f16 v5, v63, v67, v5
	;;#ASMEND
	s_waitcnt lgkmcnt(0)
	;;#ASMSTART
	v_dot2_f32_f16 v4, v60, v68, v4
	;;#ASMEND
	;;#ASMSTART
	v_dot2_f32_f16 v4, v61, v69, v4
	;;#ASMEND
	;; [unrolled: 3-line block ×4, first 2 shown]
	s_barrier
	global_load_dwordx4 v[60:63], v[0:1], off offset:256
	global_load_dwordx4 v[64:67], v[2:3], off offset:256
	s_waitcnt vmcnt(1)
	ds_write_b128 v47, v[60:63]
	s_waitcnt vmcnt(0)
	ds_write_b128 v48, v[64:67]
	s_waitcnt lgkmcnt(0)
	s_barrier
	ds_read_b128 v[0:3], v49
	ds_read_b128 v[60:63], v50 offset:256
	ds_read_b128 v[64:67], v50 offset:768
	s_waitcnt lgkmcnt(1)
	;;#ASMSTART
	v_dot2_f32_f16 v5, v0, v60, v5
	;;#ASMEND
	;;#ASMSTART
	v_dot2_f32_f16 v5, v1, v61, v5
	;;#ASMEND
	;;#ASMSTART
	v_dot2_f32_f16 v5, v2, v62, v5
	;;#ASMEND
	;;#ASMSTART
	v_dot2_f32_f16 v5, v3, v63, v5
	;;#ASMEND
	s_waitcnt lgkmcnt(0)
	;;#ASMSTART
	v_dot2_f32_f16 v4, v0, v64, v4
	;;#ASMEND
	;;#ASMSTART
	v_dot2_f32_f16 v4, v1, v65, v4
	;;#ASMEND
	;;#ASMSTART
	v_dot2_f32_f16 v4, v2, v66, v4
	;;#ASMEND
	;;#ASMSTART
	v_dot2_f32_f16 v4, v3, v67, v4
	;;#ASMEND
	ds_read_b128 v[0:3], v49 offset:16
	ds_read_b128 v[60:63], v50 offset:272
	ds_read_b128 v[64:67], v50 offset:784
	s_waitcnt lgkmcnt(1)
	;;#ASMSTART
	v_dot2_f32_f16 v5, v0, v60, v5
	;;#ASMEND
	;;#ASMSTART
	v_dot2_f32_f16 v5, v1, v61, v5
	;;#ASMEND
	;;#ASMSTART
	v_dot2_f32_f16 v5, v2, v62, v5
	;;#ASMEND
	;;#ASMSTART
	v_dot2_f32_f16 v5, v3, v63, v5
	;;#ASMEND
	s_waitcnt lgkmcnt(0)
	;;#ASMSTART
	v_dot2_f32_f16 v4, v0, v64, v4
	;;#ASMEND
	;;#ASMSTART
	v_dot2_f32_f16 v4, v1, v65, v4
	;;#ASMEND
	;;#ASMSTART
	v_dot2_f32_f16 v4, v2, v66, v4
	;;#ASMEND
	;;#ASMSTART
	v_dot2_f32_f16 v4, v3, v67, v4
	;;#ASMEND
	ds_read_b128 v[0:3], v49 offset:32
	;; [unrolled: 29-line block ×15, first 2 shown]
	ds_read_b128 v[64:67], v50 offset:496
	ds_read_b128 v[68:71], v50 offset:1008
	s_waitcnt lgkmcnt(1)
	;;#ASMSTART
	v_dot2_f32_f16 v5, v60, v64, v5
	;;#ASMEND
	;;#ASMSTART
	v_dot2_f32_f16 v5, v61, v65, v5
	;;#ASMEND
	;; [unrolled: 3-line block ×4, first 2 shown]
	s_waitcnt lgkmcnt(0)
	;;#ASMSTART
	v_dot2_f32_f16 v4, v60, v68, v4
	;;#ASMEND
	;;#ASMSTART
	v_dot2_f32_f16 v4, v61, v69, v4
	;;#ASMEND
	v_add_u32_e32 v1, s18, v29
	;;#ASMSTART
	v_dot2_f32_f16 v4, v62, v70, v4
	;;#ASMEND
	v_mov_b32_e32 v0, 0
	;;#ASMSTART
	v_dot2_f32_f16 v4, v63, v71, v4
	;;#ASMEND
	s_cbranch_vccnz .LBB46_12
; %bb.11:                               ;   in Loop: Header=BB46_10 Depth=1
	v_add_u32_e32 v2, v1, v51
	v_ashrrev_i32_e32 v3, 31, v2
	v_lshlrev_b64 v[2:3], 1, v[2:3]
	v_mov_b32_e32 v0, s35
	v_add_co_u32_e32 v2, vcc, s34, v2
	v_addc_co_u32_e32 v3, vcc, v0, v3, vcc
	flat_load_ushort v0, v[2:3]
	s_waitcnt vmcnt(0) lgkmcnt(0)
	v_cvt_f32_f16_e32 v0, v0
	v_mul_f32_e32 v0, v41, v0
.LBB46_12:                              ;   in Loop: Header=BB46_10 Depth=1
	v_and_b32_e32 v2, 0x60, v58
	v_add_u32_e32 v2, 32, v2
	v_xor_b32_e32 v3, 16, v58
	v_cmp_lt_i32_e32 vcc, v3, v2
	v_cndmask_b32_e32 v3, v58, v3, vcc
	v_add_f32_e32 v0, v5, v0
	v_lshlrev_b32_e32 v59, 2, v3
	v_add_f32_e32 v3, 0x40051340, v0
	v_max_f32_e32 v5, v8, v8
	v_max_f32_e32 v3, v5, v3
	ds_bpermute_b32 v5, v59, v3
	v_xor_b32_e32 v6, 8, v58
	v_cmp_lt_i32_e32 vcc, v6, v2
	v_cndmask_b32_e32 v6, v58, v6, vcc
	v_lshlrev_b32_e32 v60, 2, v6
	s_waitcnt lgkmcnt(0)
	v_max_f32_e32 v5, v5, v5
	v_max_f32_e32 v3, v3, v5
	ds_bpermute_b32 v5, v60, v3
	v_xor_b32_e32 v6, 4, v58
	v_cmp_lt_i32_e32 vcc, v6, v2
	v_cndmask_b32_e32 v6, v58, v6, vcc
	v_lshlrev_b32_e32 v7, 2, v6
	s_waitcnt lgkmcnt(0)
	v_max_f32_e32 v5, v5, v5
	v_max_f32_e32 v3, v3, v5
	ds_bpermute_b32 v6, v7, v3
	v_xor_b32_e32 v5, 2, v58
	v_cmp_lt_i32_e32 vcc, v5, v2
	v_cndmask_b32_e32 v5, v58, v5, vcc
	v_lshlrev_b32_e32 v5, 2, v5
	s_waitcnt lgkmcnt(0)
	v_max_f32_e32 v6, v6, v6
	v_max_f32_e32 v3, v3, v6
	ds_bpermute_b32 v61, v5, v3
	v_xor_b32_e32 v6, 1, v58
	v_cmp_lt_i32_e32 vcc, v6, v2
	v_cndmask_b32_e32 v2, v58, v6, vcc
	v_lshlrev_b32_e32 v6, 2, v2
	s_waitcnt lgkmcnt(0)
	v_max_f32_e32 v2, v61, v61
	v_max_f32_e32 v2, v3, v2
	ds_bpermute_b32 v3, v6, v2
	s_and_b64 vcc, exec, s[6:7]
	s_cbranch_vccz .LBB46_8
; %bb.13:                               ;   in Loop: Header=BB46_10 Depth=1
	v_mov_b32_e32 v1, 0
	s_branch .LBB46_9
.LBB46_14:
	s_mov_b32 s7, s6
	v_pk_mov_b32 v[8:9], s[6:7], s[6:7] op_sel:[0,1]
	v_mov_b32_e32 v10, v11
	v_mov_b32_e32 v40, 0
	;; [unrolled: 1-line block ×8, first 2 shown]
.LBB46_15:
	s_cmp_gt_i32 s44, s18
	s_cbranch_scc1 .LBB46_17
; %bb.16:
	v_mbcnt_hi_u32_b32 v18, -1, v45
	v_and_b32_e32 v0, 0x60, v18
	v_add_u32_e32 v19, 32, v0
	v_xor_b32_e32 v20, 16, v18
	v_xor_b32_e32 v21, 8, v18
	;; [unrolled: 1-line block ×5, first 2 shown]
	s_cbranch_execz .LBB46_18
	s_branch .LBB46_28
.LBB46_17:
                                        ; implicit-def: $vgpr18
                                        ; implicit-def: $vgpr19
                                        ; implicit-def: $vgpr20
                                        ; implicit-def: $vgpr21
                                        ; implicit-def: $vgpr22
                                        ; implicit-def: $vgpr23
                                        ; implicit-def: $vgpr24
.LBB46_18:
	s_mul_hi_i32 s7, s18, s12
	s_mul_i32 s6, s18, s12
	v_add_u32_e32 v13, v46, v28
	s_sub_i32 s20, s44, s18
	s_lshl_b64 s[6:7], s[6:7], 2
	v_mul_lo_u32 v0, s12, v13
	s_add_u32 s10, s13, s6
	v_ashrrev_i32_e32 v1, 31, v0
	s_addc_u32 s11, s19, s7
	v_lshlrev_b64 v[4:5], 2, v[0:1]
	v_mov_b32_e32 v1, s11
	v_add_co_u32_e32 v2, vcc, s10, v4
	v_lshlrev_b32_e32 v16, 2, v16
	v_addc_co_u32_e32 v1, vcc, v1, v5, vcc
	s_mov_b64 s[6:7], src_private_base
	v_add_co_u32_e32 v18, vcc, v2, v16
	v_mov_b32_e32 v3, 0
	v_addc_co_u32_e32 v19, vcc, 0, v1, vcc
	v_mov_b32_e32 v6, s7
	v_cmp_gt_i32_e64 s[6:7], s20, v13
	v_mov_b32_e32 v7, 0
	buffer_store_dword v3, off, s[0:3], 0
	buffer_store_dword v3, off, s[0:3], 0 offset:8
	buffer_store_dword v3, off, s[0:3], 0 offset:4
	;; [unrolled: 1-line block ×3, first 2 shown]
	v_cndmask_b32_e64 v5, v6, v19, s[6:7]
	v_cndmask_b32_e64 v4, v7, v18, s[6:7]
	flat_load_dwordx4 v[20:23], v[4:5]
	v_lshl_add_u32 v0, s12, 4, v0
	v_ashrrev_i32_e32 v1, 31, v0
	v_lshlrev_b64 v[0:1], 2, v[0:1]
	v_mov_b32_e32 v5, s11
	v_add_co_u32_e32 v0, vcc, s10, v0
	s_movk_i32 s13, 0x110
	v_addc_co_u32_e32 v1, vcc, v5, v1, vcc
	v_mad_u32_u24 v2, v13, s13, v16
	v_add_u32_e32 v4, 16, v13
	v_add_co_u32_e32 v13, vcc, v0, v16
	v_addc_co_u32_e32 v16, vcc, 0, v1, vcc
	v_cmp_gt_i32_e32 vcc, s20, v4
	v_cndmask_b32_e32 v1, v6, v16, vcc
	v_cndmask_b32_e32 v0, v7, v13, vcc
	buffer_store_dword v3, off, s[0:3], 0
	buffer_store_dword v3, off, s[0:3], 0 offset:8
	buffer_store_dword v3, off, s[0:3], 0 offset:4
	buffer_store_dword v3, off, s[0:3], 0 offset:12
	v_mul_u32_u24_e32 v5, 0x110, v29
	v_lshlrev_b32_e32 v4, 10, v31
	s_movk_i32 s12, 0x100
	v_add_co_u32_e64 v18, s[10:11], s12, v18
	v_addc_co_u32_e64 v19, s[10:11], 0, v19, s[10:11]
	v_cndmask_b32_e64 v18, v7, v18, s[6:7]
	v_cndmask_b32_e64 v19, v6, v19, s[6:7]
	v_add_co_u32_e64 v13, s[6:7], s12, v13
	v_addc_co_u32_e64 v16, s[6:7], 0, v16, s[6:7]
	s_cmp_lg_u64 s[34:35], 0
	s_cselect_b64 s[10:11], -1, 0
	v_cmp_gt_i32_e64 s[6:7], s20, v29
	s_waitcnt vmcnt(0) lgkmcnt(0)
	ds_write_b128 v2, v[20:23]
	flat_load_dwordx4 v[20:23], v[0:1]
	v_mov_b32_e32 v0, 0
	v_mov_b32_e32 v1, 0
	s_waitcnt vmcnt(0) lgkmcnt(0)
	ds_write_b128 v2, v[20:23] offset:4352
	s_waitcnt lgkmcnt(0)
	s_barrier
	ds_read_b128 v[20:23], v5
	ds_read_b128 v[46:49], v4 offset:8704
	ds_read_b128 v[50:53], v4 offset:9216
	s_waitcnt lgkmcnt(1)
	;;#ASMSTART
	v_dot2_f32_f16 v0, v20, v46, v0
	;;#ASMEND
	;;#ASMSTART
	v_dot2_f32_f16 v0, v21, v47, v0
	;;#ASMEND
	;;#ASMSTART
	v_dot2_f32_f16 v0, v22, v48, v0
	;;#ASMEND
	;;#ASMSTART
	v_dot2_f32_f16 v0, v23, v49, v0
	;;#ASMEND
	s_waitcnt lgkmcnt(0)
	;;#ASMSTART
	v_dot2_f32_f16 v1, v20, v50, v1
	;;#ASMEND
	;;#ASMSTART
	v_dot2_f32_f16 v1, v21, v51, v1
	;;#ASMEND
	;;#ASMSTART
	v_dot2_f32_f16 v1, v22, v52, v1
	;;#ASMEND
	;;#ASMSTART
	v_dot2_f32_f16 v1, v23, v53, v1
	;;#ASMEND
	ds_read_b128 v[20:23], v5 offset:16
	ds_read_b128 v[46:49], v4 offset:8720
	ds_read_b128 v[50:53], v4 offset:9232
	s_waitcnt lgkmcnt(1)
	;;#ASMSTART
	v_dot2_f32_f16 v0, v20, v46, v0
	;;#ASMEND
	;;#ASMSTART
	v_dot2_f32_f16 v0, v21, v47, v0
	;;#ASMEND
	;;#ASMSTART
	v_dot2_f32_f16 v0, v22, v48, v0
	;;#ASMEND
	;;#ASMSTART
	v_dot2_f32_f16 v0, v23, v49, v0
	;;#ASMEND
	s_waitcnt lgkmcnt(0)
	;;#ASMSTART
	v_dot2_f32_f16 v1, v20, v50, v1
	;;#ASMEND
	;;#ASMSTART
	v_dot2_f32_f16 v1, v21, v51, v1
	;;#ASMEND
	;;#ASMSTART
	v_dot2_f32_f16 v1, v22, v52, v1
	;;#ASMEND
	;;#ASMSTART
	v_dot2_f32_f16 v1, v23, v53, v1
	;;#ASMEND
	ds_read_b128 v[20:23], v5 offset:32
	;; [unrolled: 29-line block ×15, first 2 shown]
	ds_read_b128 v[46:49], v4 offset:8944
	ds_read_b128 v[50:53], v4 offset:9456
	s_waitcnt lgkmcnt(1)
	;;#ASMSTART
	v_dot2_f32_f16 v0, v20, v46, v0
	;;#ASMEND
	;;#ASMSTART
	v_dot2_f32_f16 v0, v21, v47, v0
	;;#ASMEND
	;; [unrolled: 3-line block ×4, first 2 shown]
	s_waitcnt lgkmcnt(0)
	;;#ASMSTART
	v_dot2_f32_f16 v1, v20, v50, v1
	;;#ASMEND
	;;#ASMSTART
	v_dot2_f32_f16 v1, v21, v51, v1
	;;#ASMEND
	;; [unrolled: 3-line block ×4, first 2 shown]
	s_barrier
	buffer_store_dword v3, off, s[0:3], 0
	buffer_store_dword v3, off, s[0:3], 0 offset:8
	buffer_store_dword v3, off, s[0:3], 0 offset:4
	buffer_store_dword v3, off, s[0:3], 0 offset:12
	flat_load_dwordx4 v[18:21], v[18:19]
	v_cndmask_b32_e32 v23, v6, v16, vcc
	v_cndmask_b32_e32 v22, v7, v13, vcc
	buffer_store_dword v3, off, s[0:3], 0
	buffer_store_dword v3, off, s[0:3], 0 offset:8
	buffer_store_dword v3, off, s[0:3], 0 offset:4
	;; [unrolled: 1-line block ×3, first 2 shown]
	s_waitcnt vmcnt(0) lgkmcnt(0)
	ds_write_b128 v2, v[18:21]
	flat_load_dwordx4 v[18:21], v[22:23]
	s_waitcnt vmcnt(0) lgkmcnt(0)
	ds_write_b128 v2, v[18:21] offset:4352
	s_waitcnt lgkmcnt(0)
	s_barrier
	ds_read_b128 v[18:21], v5
	ds_read_b128 v[22:25], v4 offset:8960
	ds_read_b128 v[46:49], v4 offset:9472
	s_waitcnt lgkmcnt(1)
	;;#ASMSTART
	v_dot2_f32_f16 v0, v18, v22, v0
	;;#ASMEND
	;;#ASMSTART
	v_dot2_f32_f16 v0, v19, v23, v0
	;;#ASMEND
	;;#ASMSTART
	v_dot2_f32_f16 v0, v20, v24, v0
	;;#ASMEND
	;;#ASMSTART
	v_dot2_f32_f16 v0, v21, v25, v0
	;;#ASMEND
	s_waitcnt lgkmcnt(0)
	;;#ASMSTART
	v_dot2_f32_f16 v1, v18, v46, v1
	;;#ASMEND
	;;#ASMSTART
	v_dot2_f32_f16 v1, v19, v47, v1
	;;#ASMEND
	;;#ASMSTART
	v_dot2_f32_f16 v1, v20, v48, v1
	;;#ASMEND
	;;#ASMSTART
	v_dot2_f32_f16 v1, v21, v49, v1
	;;#ASMEND
	ds_read_b128 v[18:21], v5 offset:16
	ds_read_b128 v[22:25], v4 offset:8976
	ds_read_b128 v[46:49], v4 offset:9488
	s_waitcnt lgkmcnt(1)
	;;#ASMSTART
	v_dot2_f32_f16 v0, v18, v22, v0
	;;#ASMEND
	;;#ASMSTART
	v_dot2_f32_f16 v0, v19, v23, v0
	;;#ASMEND
	;;#ASMSTART
	v_dot2_f32_f16 v0, v20, v24, v0
	;;#ASMEND
	;;#ASMSTART
	v_dot2_f32_f16 v0, v21, v25, v0
	;;#ASMEND
	s_waitcnt lgkmcnt(0)
	;;#ASMSTART
	v_dot2_f32_f16 v1, v18, v46, v1
	;;#ASMEND
	;;#ASMSTART
	v_dot2_f32_f16 v1, v19, v47, v1
	;;#ASMEND
	;;#ASMSTART
	v_dot2_f32_f16 v1, v20, v48, v1
	;;#ASMEND
	;;#ASMSTART
	v_dot2_f32_f16 v1, v21, v49, v1
	;;#ASMEND
	ds_read_b128 v[18:21], v5 offset:32
	;; [unrolled: 29-line block ×15, first 2 shown]
	ds_read_b128 v[22:25], v4 offset:9200
	v_cndmask_b32_e64 v5, 0, 1, s[10:11]
	v_cmp_ne_u32_e64 s[10:11], 1, v5
	ds_read_b128 v[4:7], v4 offset:9712
	s_waitcnt lgkmcnt(1)
	;;#ASMSTART
	v_dot2_f32_f16 v0, v18, v22, v0
	;;#ASMEND
	;;#ASMSTART
	v_dot2_f32_f16 v0, v19, v23, v0
	;;#ASMEND
	;; [unrolled: 3-line block ×4, first 2 shown]
	s_waitcnt lgkmcnt(0)
	;;#ASMSTART
	v_dot2_f32_f16 v1, v18, v4, v1
	;;#ASMEND
	;;#ASMSTART
	v_dot2_f32_f16 v1, v19, v5, v1
	;;#ASMEND
	v_add_u32_e32 v2, s18, v29
	;;#ASMSTART
	v_dot2_f32_f16 v1, v20, v6, v1
	;;#ASMEND
	v_mov_b32_e32 v4, v8
	;;#ASMSTART
	v_dot2_f32_f16 v1, v21, v7, v1
	;;#ASMEND
	s_and_saveexec_b64 s[12:13], s[6:7]
	s_cbranch_execz .LBB46_22
; %bb.19:
	s_and_b64 vcc, exec, s[10:11]
	s_cbranch_vccnz .LBB46_21
; %bb.20:
	v_mad_u64_u32 v[4:5], s[26:27], v44, s23, v[2:3]
	v_ashrrev_i32_e32 v5, 31, v4
	v_lshlrev_b64 v[4:5], 1, v[4:5]
	v_mov_b32_e32 v3, s35
	v_add_co_u32_e32 v4, vcc, s34, v4
	v_addc_co_u32_e32 v5, vcc, v3, v5, vcc
	flat_load_ushort v3, v[4:5]
	s_waitcnt vmcnt(0) lgkmcnt(0)
	v_cvt_f32_f16_e32 v3, v3
	v_mul_f32_e32 v3, v41, v3
.LBB46_21:
	v_add_f32_e32 v0, v0, v3
	v_add_f32_e32 v3, 0x40051340, v0
	v_max_f32_e32 v4, v8, v8
	v_max_f32_e32 v4, v4, v3
.LBB46_22:
	s_or_b64 exec, exec, s[12:13]
	v_mbcnt_hi_u32_b32 v18, -1, v45
	v_and_b32_e32 v3, 0x60, v18
	v_add_u32_e32 v19, 32, v3
	v_xor_b32_e32 v20, 16, v18
	v_cmp_lt_i32_e32 vcc, v20, v19
	v_cndmask_b32_e32 v3, v18, v20, vcc
	v_lshlrev_b32_e32 v13, 2, v3
	ds_bpermute_b32 v3, v13, v4
	v_xor_b32_e32 v21, 8, v18
	v_cmp_lt_i32_e32 vcc, v21, v19
	v_cndmask_b32_e32 v5, v18, v21, vcc
	v_max_f32_e32 v4, v4, v4
	s_waitcnt lgkmcnt(0)
	v_max_f32_e32 v3, v3, v3
	v_lshlrev_b32_e32 v16, 2, v5
	v_max_f32_e32 v3, v4, v3
	ds_bpermute_b32 v4, v16, v3
	v_xor_b32_e32 v22, 4, v18
	v_cmp_lt_i32_e32 vcc, v22, v19
	v_cndmask_b32_e32 v5, v18, v22, vcc
	v_lshlrev_b32_e32 v7, 2, v5
	s_waitcnt lgkmcnt(0)
	v_max_f32_e32 v4, v4, v4
	v_max_f32_e32 v3, v3, v4
	ds_bpermute_b32 v4, v7, v3
	v_xor_b32_e32 v23, 2, v18
	v_cmp_lt_i32_e32 vcc, v23, v19
	v_cndmask_b32_e32 v5, v18, v23, vcc
	v_lshlrev_b32_e32 v6, 2, v5
	s_waitcnt lgkmcnt(0)
	v_max_f32_e32 v4, v4, v4
	;; [unrolled: 8-line block ×3, first 2 shown]
	v_max_f32_e32 v3, v3, v4
	ds_bpermute_b32 v4, v5, v3
	s_waitcnt lgkmcnt(0)
	v_max_f32_e32 v4, v4, v4
	v_max_f32_e32 v4, v3, v4
	v_mov_b32_e32 v3, v9
	s_and_saveexec_b64 s[12:13], s[6:7]
	s_cbranch_execz .LBB46_27
; %bb.23:
	s_and_b64 vcc, exec, s[10:11]
	s_cbranch_vccnz .LBB46_25
; %bb.24:
	v_or_b32_e32 v3, 1, v30
	v_mul_hi_u32 v25, s36, v3
	v_add_u32_e32 v25, v3, v25
	v_lshrrev_b32_e32 v25, s37, v25
	v_mul_lo_u32 v25, v25, s38
	v_sub_u32_e32 v3, v3, v25
	v_mad_u64_u32 v[2:3], s[6:7], v3, s23, v[2:3]
	v_ashrrev_i32_e32 v3, 31, v2
	v_lshlrev_b64 v[2:3], 1, v[2:3]
	v_mov_b32_e32 v25, s35
	v_add_co_u32_e32 v2, vcc, s34, v2
	v_addc_co_u32_e32 v3, vcc, v25, v3, vcc
	flat_load_ushort v2, v[2:3]
	s_waitcnt vmcnt(0) lgkmcnt(0)
	v_cvt_f32_f16_e32 v2, v2
	v_mul_f32_e32 v2, v41, v2
	s_branch .LBB46_26
.LBB46_25:
	v_mov_b32_e32 v2, 0
.LBB46_26:
	v_add_f32_e32 v1, v1, v2
	v_add_f32_e32 v2, 0x40051340, v1
	v_max_f32_e32 v3, v9, v9
	v_max_f32_e32 v3, v3, v2
.LBB46_27:
	s_or_b64 exec, exec, s[12:13]
	ds_bpermute_b32 v2, v13, v3
	v_max_f32_e32 v3, v3, v3
	v_sub_f32_e32 v0, v0, v4
	s_mov_b32 s10, 0x3fb8aa3b
	s_mov_b32 s11, 0xc2ce8ed0
	s_waitcnt lgkmcnt(0)
	v_max_f32_e32 v2, v2, v2
	v_max_f32_e32 v2, v3, v2
	ds_bpermute_b32 v3, v16, v2
	v_cmp_ngt_f32_e32 vcc, s11, v0
	s_mov_b32 s12, 0x42b17218
	v_mov_b32_e32 v41, 0x7f800000
	s_mul_hi_i32 s27, s18, s8
	s_waitcnt lgkmcnt(0)
	v_max_f32_e32 v3, v3, v3
	v_max_f32_e32 v2, v2, v3
	ds_bpermute_b32 v3, v7, v2
	v_mul_f32_e32 v7, 0x3fb8aa3b, v0
	v_fma_f32 v13, v0, s10, -v7
	v_rndne_f32_e32 v16, v7
	v_fmac_f32_e32 v13, 0x32a5705f, v0
	s_waitcnt lgkmcnt(0)
	v_max_f32_e32 v3, v3, v3
	v_max_f32_e32 v2, v2, v3
	ds_bpermute_b32 v3, v6, v2
	v_sub_f32_e32 v6, v7, v16
	v_add_f32_e32 v6, v6, v13
	v_cvt_i32_f32_e32 v7, v16
	v_exp_f32_e32 v6, v6
	s_waitcnt lgkmcnt(0)
	v_max_f32_e32 v3, v3, v3
	v_max_f32_e32 v2, v2, v3
	ds_bpermute_b32 v3, v5, v2
	v_ldexp_f32 v5, v6, v7
	v_cndmask_b32_e32 v6, 0, v5, vcc
	v_cmp_nlt_f32_e32 vcc, s12, v0
	v_cndmask_b32_e32 v0, v41, v6, vcc
	s_waitcnt lgkmcnt(0)
	v_max_f32_e32 v3, v3, v3
	v_max_f32_e32 v5, v2, v3
	v_sub_f32_e32 v1, v1, v5
	v_mul_f32_e32 v2, 0x3fb8aa3b, v1
	v_fma_f32 v3, v1, s10, -v2
	v_rndne_f32_e32 v6, v2
	v_fmac_f32_e32 v3, 0x32a5705f, v1
	v_sub_f32_e32 v2, v2, v6
	v_add_f32_e32 v2, v2, v3
	v_exp_f32_e32 v2, v2
	v_cvt_i32_f32_e32 v3, v6
	v_cmp_ngt_f32_e64 s[6:7], s11, v1
	v_cmp_gt_u32_e32 vcc, s20, v29
	v_cndmask_b32_e32 v6, 0, v0, vcc
	v_ldexp_f32 v2, v2, v3
	v_cndmask_b32_e64 v2, 0, v2, s[6:7]
	v_cmp_nlt_f32_e64 s[6:7], s12, v1
	v_cndmask_b32_e64 v1, v41, v2, s[6:7]
	v_cndmask_b32_e32 v7, 0, v1, vcc
	v_cvt_f16_f32_e32 v0, v6
	v_cvt_f16_f32_e32 v1, v7
	v_lshlrev_b32_e32 v16, 7, v31
	v_lshlrev_b32_e32 v2, 1, v38
	s_movk_i32 s6, 0x4200
	s_mul_i32 s26, s18, s8
	v_add3_u32 v2, v16, s6, v2
	s_mov_b64 s[6:7], src_private_base
	s_lshl_b64 s[26:27], s[26:27], 2
	s_add_u32 s6, s16, s26
	v_pack_b32_f16 v0, v0, v1
	s_addc_u32 s13, s17, s27
	v_lshlrev_b64 v[14:15], 2, v[14:15]
	s_barrier
	ds_write_b32 v2, v0
	v_mov_b32_e32 v0, s13
	v_add_co_u32_e32 v1, vcc, s6, v14
	v_addc_co_u32_e32 v0, vcc, v0, v15, vcc
	v_add_co_u32_e32 v2, vcc, v1, v33
	v_addc_co_u32_e32 v0, vcc, 0, v0, vcc
	v_mov_b32_e32 v122, 0
	v_mov_b32_e32 v46, s7
	v_cmp_gt_i32_e32 vcc, s20, v31
	v_mov_b32_e32 v120, 0
	buffer_store_dword v122, off, s[0:3], 0
	buffer_store_dword v122, off, s[0:3], 0 offset:8
	buffer_store_dword v122, off, s[0:3], 0 offset:4
	;; [unrolled: 1-line block ×3, first 2 shown]
	v_cndmask_b32_e32 v1, v46, v0, vcc
	v_cndmask_b32_e32 v0, v120, v2, vcc
	flat_load_dwordx4 v[0:3], v[0:1]
	v_ashrrev_i32_e32 v13, 31, v12
	v_lshlrev_b64 v[12:13], 2, v[12:13]
	v_mov_b32_e32 v25, s13
	v_add_co_u32_e32 v38, vcc, s6, v12
	v_addc_co_u32_e32 v25, vcc, v25, v13, vcc
	v_add_co_u32_e32 v38, vcc, v38, v33
	v_add_u32_e32 v47, 8, v31
	v_addc_co_u32_e32 v25, vcc, 0, v25, vcc
	v_lshl_add_u32 v123, v31, 9, v33
	v_cmp_gt_i32_e32 vcc, s20, v47
	v_cndmask_b32_e32 v45, v46, v25, vcc
	v_cndmask_b32_e32 v44, v120, v38, vcc
	buffer_store_dword v122, off, s[0:3], 0
	buffer_store_dword v122, off, s[0:3], 0 offset:8
	buffer_store_dword v122, off, s[0:3], 0 offset:4
	;; [unrolled: 1-line block ×3, first 2 shown]
	s_or_b32 s6, s18, 16
	s_mul_hi_i32 s7, s6, s8
	s_mul_i32 s6, s6, s8
	s_lshl_b64 s[6:7], s[6:7], 2
	s_add_u32 s6, s16, s6
	s_addc_u32 s7, s17, s7
	v_add_co_u32_e32 v14, vcc, s6, v14
	v_mov_b32_e32 v50, s7
	v_lshl_add_u32 v124, v47, 9, v33
	s_add_i32 s20, s20, -16
	v_add_u32_e32 v38, 0x800, v32
	v_add_u32_e32 v25, 0x1000, v32
	v_sub_f32_e32 v9, v9, v5
	s_waitcnt vmcnt(0) lgkmcnt(0)
	ds_write_b128 v123, v[0:3]
	flat_load_dwordx4 v[0:3], v[44:45]
	v_sub_f32_e32 v44, v8, v4
	v_mul_f32_e32 v45, 0x3fb8aa3b, v44
	v_fma_f32 v48, v44, s10, -v45
	v_rndne_f32_e32 v49, v45
	v_fmac_f32_e32 v48, 0x32a5705f, v44
	v_sub_f32_e32 v45, v45, v49
	v_add_f32_e32 v45, v45, v48
	v_cvt_i32_f32_e32 v49, v49
	v_exp_f32_e32 v45, v45
	v_mov_b32_e32 v48, s7
	v_addc_co_u32_e32 v15, vcc, v48, v15, vcc
	v_add_co_u32_e32 v12, vcc, s6, v12
	v_addc_co_u32_e32 v13, vcc, v50, v13, vcc
	v_ldexp_f32 v45, v45, v49
	v_cmp_ngt_f32_e32 vcc, s11, v44
	v_cndmask_b32_e32 v45, 0, v45, vcc
	v_add_co_u32_e32 v14, vcc, v14, v33
	v_addc_co_u32_e32 v15, vcc, 0, v15, vcc
	v_add_co_u32_e32 v33, vcc, v12, v33
	v_addc_co_u32_e32 v12, vcc, 0, v13, vcc
	v_cmp_nlt_f32_e32 vcc, s12, v44
	v_cndmask_b32_e32 v125, v41, v45, vcc
	v_cmp_gt_i32_e32 vcc, s20, v31
	v_cndmask_b32_e32 v117, v46, v15, vcc
	v_cndmask_b32_e32 v116, v120, v14, vcc
	v_cmp_gt_i32_e32 vcc, s20, v47
	v_add_u32_e32 v8, 0x1800, v32
	v_cndmask_b32_e32 v121, v46, v12, vcc
	v_mul_f32_e32 v31, 0x3fb8aa3b, v9
	v_fma_f32 v126, v9, s10, -v31
	v_rndne_f32_e32 v127, v31
	v_fmac_f32_e32 v126, 0x32a5705f, v9
	v_sub_f32_e32 v31, v31, v127
	v_add_f32_e32 v31, v31, v126
	v_cvt_i32_f32_e32 v127, v127
	v_exp_f32_e32 v31, v31
	v_cndmask_b32_e32 v120, v120, v33, vcc
	v_fmac_f32_e32 v6, v10, v125
	v_cmp_ngt_f32_e32 vcc, s11, v9
	v_ldexp_f32 v10, v31, v127
	v_cndmask_b32_e32 v10, 0, v10, vcc
	v_cmp_nlt_f32_e32 vcc, s12, v9
	v_cndmask_b32_e32 v9, v41, v10, vcc
	v_cvt_f16_f32_e32 v10, v9
	v_cvt_f16_f32_e32 v33, v125
	v_fmac_f32_e32 v7, v11, v9
	v_pk_mul_f16 v9, v10, v37 op_sel_hi:[0,1]
	v_pk_mul_f16 v31, v33, v43 op_sel_hi:[0,1]
	;; [unrolled: 1-line block ×5, first 2 shown]
	s_waitcnt vmcnt(0) lgkmcnt(0)
	ds_write_b128 v124, v[0:3]
	s_waitcnt lgkmcnt(0)
	s_barrier
	ds_read2_b64 v[0:3], v32 offset1:32
	ds_read_b128 v[12:15], v16 offset:16896
	ds_read_b128 v[44:47], v16 offset:16912
	;; [unrolled: 1-line block ×4, first 2 shown]
	ds_read2_b64 v[56:59], v32 offset0:64 offset1:96
	ds_read2_b64 v[60:63], v32 offset0:128 offset1:160
	ds_read2_b64 v[64:67], v32 offset0:192 offset1:224
	ds_read2_b64 v[68:71], v38 offset1:32
	ds_read2_b64 v[72:75], v38 offset0:64 offset1:96
	ds_read2_b64 v[76:79], v38 offset0:128 offset1:160
	ds_read2_b64 v[80:83], v38 offset0:192 offset1:224
	ds_read2_b64 v[84:87], v25 offset1:32
	;; [unrolled: 4-line block ×3, first 2 shown]
	ds_read2_b64 v[104:107], v8 offset0:64 offset1:96
	ds_read2_b64 v[108:111], v8 offset0:128 offset1:160
	ds_read2_b64 v[112:115], v8 offset0:192 offset1:224
	s_waitcnt lgkmcnt(0)
	s_barrier
	buffer_store_dword v122, off, s[0:3], 0
	buffer_store_dword v122, off, s[0:3], 0 offset:8
	buffer_store_dword v122, off, s[0:3], 0 offset:4
	buffer_store_dword v122, off, s[0:3], 0 offset:12
	flat_load_dwordx4 v[116:119], v[116:117]
	v_pk_mul_f16 v36, v0, v12 op_sel_hi:[1,0]
	v_pk_mul_f16 v0, v0, v12 op_sel:[0,1]
	v_pk_mul_f16 v37, v1, v12 op_sel_hi:[1,0]
	v_pk_fma_f16 v1, v1, v12, v9 op_sel:[0,1,0]
	v_pk_fma_f16 v9, v2, v12, v31 op_sel_hi:[1,0,1]
	v_pk_fma_f16 v2, v2, v12, v11 op_sel:[0,1,0]
	v_pk_fma_f16 v11, v3, v12, v41 op_sel_hi:[1,0,1]
	;; [unrolled: 2-line block ×3, first 2 shown]
	v_pk_fma_f16 v1, v57, v13, v1 op_sel:[0,1,0]
	v_pk_fma_f16 v2, v58, v13, v2 op_sel:[0,1,0]
	;; [unrolled: 1-line block ×5, first 2 shown]
	v_pk_fma_f16 v12, v33, v39, v36 op_sel_hi:[0,1,1]
	v_pk_fma_f16 v10, v33, v40, v37 op_sel_hi:[0,1,1]
	v_pk_fma_f16 v2, v62, v14, v2 op_sel:[0,1,0]
	v_pk_fma_f16 v3, v63, v14, v3 op_sel:[0,1,0]
	;; [unrolled: 1-line block ×4, first 2 shown]
	v_pk_fma_f16 v9, v58, v13, v9 op_sel_hi:[1,0,1]
	v_pk_fma_f16 v11, v59, v13, v11 op_sel_hi:[1,0,1]
	;; [unrolled: 1-line block ×4, first 2 shown]
	v_pk_fma_f16 v2, v66, v15, v2 op_sel:[0,1,0]
	v_pk_fma_f16 v3, v67, v15, v3 op_sel:[0,1,0]
	;; [unrolled: 1-line block ×4, first 2 shown]
	buffer_store_dword v122, off, s[0:3], 0
	buffer_store_dword v122, off, s[0:3], 0 offset:8
	buffer_store_dword v122, off, s[0:3], 0 offset:4
	;; [unrolled: 1-line block ×3, first 2 shown]
	v_pk_fma_f16 v9, v62, v14, v9 op_sel_hi:[1,0,1]
	v_pk_fma_f16 v11, v63, v14, v11 op_sel_hi:[1,0,1]
	;; [unrolled: 1-line block ×4, first 2 shown]
	v_pk_fma_f16 v2, v70, v44, v2 op_sel:[0,1,0]
	v_pk_fma_f16 v3, v71, v44, v3 op_sel:[0,1,0]
	v_pk_fma_f16 v0, v68, v44, v0 op_sel:[0,1,0]
	v_pk_fma_f16 v1, v73, v45, v1 op_sel:[0,1,0]
	v_pk_fma_f16 v9, v66, v15, v9 op_sel_hi:[1,0,1]
	v_pk_fma_f16 v11, v67, v15, v11 op_sel_hi:[1,0,1]
	v_pk_fma_f16 v12, v64, v15, v12 op_sel_hi:[1,0,1]
	v_pk_fma_f16 v10, v65, v15, v10 op_sel_hi:[1,0,1]
	v_pk_fma_f16 v13, v74, v45, v2 op_sel:[0,1,0]
	v_pk_fma_f16 v14, v75, v45, v3 op_sel:[0,1,0]
	;; [unrolled: 1-line block ×4, first 2 shown]
	v_pk_fma_f16 v9, v70, v44, v9 op_sel_hi:[1,0,1]
	v_pk_fma_f16 v11, v71, v44, v11 op_sel_hi:[1,0,1]
	;; [unrolled: 1-line block ×9, first 2 shown]
	v_pk_fma_f16 v13, v78, v46, v13 op_sel:[0,1,0]
	v_pk_fma_f16 v11, v79, v46, v11 op_sel_hi:[1,0,1]
	v_pk_fma_f16 v14, v79, v46, v14 op_sel:[0,1,0]
	v_pk_fma_f16 v12, v76, v46, v12 op_sel_hi:[1,0,1]
	v_pk_fma_f16 v15, v76, v46, v15 op_sel:[0,1,0]
	v_pk_fma_f16 v10, v77, v46, v10 op_sel_hi:[1,0,1]
	v_pk_fma_f16 v31, v81, v47, v31 op_sel:[0,1,0]
	v_pk_fma_f16 v9, v82, v47, v9 op_sel_hi:[1,0,1]
	v_pk_fma_f16 v13, v82, v47, v13 op_sel:[0,1,0]
	v_pk_fma_f16 v11, v83, v47, v11 op_sel_hi:[1,0,1]
	v_pk_fma_f16 v14, v83, v47, v14 op_sel:[0,1,0]
	v_pk_fma_f16 v12, v80, v47, v12 op_sel_hi:[1,0,1]
	v_pk_fma_f16 v15, v80, v47, v15 op_sel:[0,1,0]
	v_pk_fma_f16 v10, v81, v47, v10 op_sel_hi:[1,0,1]
	v_pk_fma_f16 v31, v85, v48, v31 op_sel:[0,1,0]
	v_pk_fma_f16 v9, v86, v48, v9 op_sel_hi:[1,0,1]
	v_pk_fma_f16 v13, v86, v48, v13 op_sel:[0,1,0]
	v_pk_fma_f16 v11, v87, v48, v11 op_sel_hi:[1,0,1]
	v_pk_fma_f16 v14, v87, v48, v14 op_sel:[0,1,0]
	v_pk_fma_f16 v12, v84, v48, v12 op_sel_hi:[1,0,1]
	v_pk_fma_f16 v15, v84, v48, v15 op_sel:[0,1,0]
	v_pk_fma_f16 v10, v85, v48, v10 op_sel_hi:[1,0,1]
	v_pk_fma_f16 v31, v89, v49, v31 op_sel:[0,1,0]
	v_pk_fma_f16 v9, v90, v49, v9 op_sel_hi:[1,0,1]
	v_pk_fma_f16 v13, v90, v49, v13 op_sel:[0,1,0]
	s_waitcnt vmcnt(0) lgkmcnt(0)
	ds_write_b128 v123, v[116:119]
	flat_load_dwordx4 v[0:3], v[120:121]
	v_pk_fma_f16 v11, v91, v49, v11 op_sel_hi:[1,0,1]
	v_pk_fma_f16 v14, v91, v49, v14 op_sel:[0,1,0]
	v_pk_fma_f16 v12, v88, v49, v12 op_sel_hi:[1,0,1]
	v_pk_fma_f16 v15, v88, v49, v15 op_sel:[0,1,0]
	v_pk_fma_f16 v10, v89, v49, v10 op_sel_hi:[1,0,1]
	v_pk_fma_f16 v31, v93, v50, v31 op_sel:[0,1,0]
	v_pk_fma_f16 v9, v94, v50, v9 op_sel_hi:[1,0,1]
	v_pk_fma_f16 v13, v94, v50, v13 op_sel:[0,1,0]
	v_pk_fma_f16 v11, v95, v50, v11 op_sel_hi:[1,0,1]
	v_pk_fma_f16 v14, v95, v50, v14 op_sel:[0,1,0]
	v_pk_fma_f16 v12, v92, v50, v12 op_sel_hi:[1,0,1]
	v_pk_fma_f16 v15, v92, v50, v15 op_sel:[0,1,0]
	v_pk_fma_f16 v10, v93, v50, v10 op_sel_hi:[1,0,1]
	v_pk_fma_f16 v31, v97, v51, v31 op_sel:[0,1,0]
	v_pk_fma_f16 v9, v98, v51, v9 op_sel_hi:[1,0,1]
	v_pk_fma_f16 v13, v98, v51, v13 op_sel:[0,1,0]
	v_pk_fma_f16 v11, v99, v51, v11 op_sel_hi:[1,0,1]
	v_pk_fma_f16 v14, v99, v51, v14 op_sel:[0,1,0]
	v_pk_fma_f16 v12, v96, v51, v12 op_sel_hi:[1,0,1]
	v_pk_fma_f16 v15, v96, v51, v15 op_sel:[0,1,0]
	v_pk_fma_f16 v10, v97, v51, v10 op_sel_hi:[1,0,1]
	v_pk_fma_f16 v31, v101, v52, v31 op_sel:[0,1,0]
	v_pk_fma_f16 v9, v102, v52, v9 op_sel_hi:[1,0,1]
	v_pk_fma_f16 v13, v102, v52, v13 op_sel:[0,1,0]
	v_pk_fma_f16 v11, v103, v52, v11 op_sel_hi:[1,0,1]
	v_pk_fma_f16 v14, v103, v52, v14 op_sel:[0,1,0]
	v_pk_fma_f16 v12, v100, v52, v12 op_sel_hi:[1,0,1]
	v_pk_fma_f16 v15, v100, v52, v15 op_sel:[0,1,0]
	v_pk_fma_f16 v10, v101, v52, v10 op_sel_hi:[1,0,1]
	v_pk_fma_f16 v31, v105, v53, v31 op_sel:[0,1,0]
	v_pk_fma_f16 v9, v106, v53, v9 op_sel_hi:[1,0,1]
	v_pk_fma_f16 v13, v106, v53, v13 op_sel:[0,1,0]
	v_pk_fma_f16 v11, v107, v53, v11 op_sel_hi:[1,0,1]
	v_pk_fma_f16 v14, v107, v53, v14 op_sel:[0,1,0]
	v_pk_fma_f16 v12, v104, v53, v12 op_sel_hi:[1,0,1]
	v_pk_fma_f16 v15, v104, v53, v15 op_sel:[0,1,0]
	v_pk_fma_f16 v10, v105, v53, v10 op_sel_hi:[1,0,1]
	v_pk_fma_f16 v31, v109, v54, v31 op_sel:[0,1,0]
	v_pk_fma_f16 v9, v110, v54, v9 op_sel_hi:[1,0,1]
	v_pk_fma_f16 v13, v110, v54, v13 op_sel:[0,1,0]
	v_pk_fma_f16 v11, v111, v54, v11 op_sel_hi:[1,0,1]
	v_pk_fma_f16 v14, v111, v54, v14 op_sel:[0,1,0]
	v_pk_fma_f16 v12, v108, v54, v12 op_sel_hi:[1,0,1]
	v_pk_fma_f16 v15, v108, v54, v15 op_sel:[0,1,0]
	v_pk_fma_f16 v10, v109, v54, v10 op_sel_hi:[1,0,1]
	v_pk_fma_f16 v31, v113, v55, v31 op_sel:[0,1,0]
	v_pk_fma_f16 v9, v114, v55, v9 op_sel_hi:[1,0,1]
	v_pk_fma_f16 v33, v114, v55, v13 op_sel:[0,1,0]
	v_pk_fma_f16 v39, v115, v55, v11 op_sel_hi:[1,0,1]
	v_pk_fma_f16 v14, v115, v55, v14 op_sel:[0,1,0]
	v_pk_fma_f16 v60, v112, v55, v12 op_sel_hi:[1,0,1]
	v_pk_fma_f16 v15, v112, v55, v15 op_sel:[0,1,0]
	v_pk_fma_f16 v61, v113, v55, v10 op_sel_hi:[1,0,1]
	s_waitcnt vmcnt(0) lgkmcnt(0)
	ds_write_b128 v124, v[0:3]
	s_waitcnt lgkmcnt(0)
	s_barrier
	ds_read2_b64 v[0:3], v32 offset1:32
	ds_read_b128 v[10:13], v16 offset:16960
	ds_read_b128 v[34:37], v16 offset:16976
	;; [unrolled: 1-line block ×4, first 2 shown]
	ds_read2_b64 v[48:51], v32 offset0:64 offset1:96
	ds_read2_b64 v[52:55], v32 offset0:128 offset1:160
	ds_read2_b64 v[56:59], v32 offset0:192 offset1:224
	s_waitcnt lgkmcnt(6)
	v_pk_fma_f16 v16, v0, v10, v60 op_sel_hi:[1,0,1]
	v_pk_fma_f16 v0, v0, v10, v15 op_sel:[0,1,0]
	v_pk_fma_f16 v15, v1, v10, v61 op_sel_hi:[1,0,1]
	v_pk_fma_f16 v1, v1, v10, v31 op_sel:[0,1,0]
	;; [unrolled: 2-line block ×4, first 2 shown]
	s_waitcnt lgkmcnt(2)
	v_pk_fma_f16 v0, v48, v11, v0 op_sel:[0,1,0]
	v_pk_fma_f16 v1, v49, v11, v1 op_sel:[0,1,0]
	v_pk_fma_f16 v10, v48, v11, v16 op_sel_hi:[1,0,1]
	v_pk_fma_f16 v14, v49, v11, v15 op_sel_hi:[1,0,1]
	;; [unrolled: 1-line block ×3, first 2 shown]
	v_pk_fma_f16 v2, v50, v11, v2 op_sel:[0,1,0]
	v_pk_fma_f16 v15, v51, v11, v31 op_sel_hi:[1,0,1]
	v_pk_fma_f16 v3, v51, v11, v3 op_sel:[0,1,0]
	s_waitcnt lgkmcnt(1)
	v_pk_fma_f16 v0, v52, v12, v0 op_sel:[0,1,0]
	v_pk_fma_f16 v1, v53, v12, v1 op_sel:[0,1,0]
	v_pk_fma_f16 v10, v52, v12, v10 op_sel_hi:[1,0,1]
	v_pk_fma_f16 v11, v53, v12, v14 op_sel_hi:[1,0,1]
	;; [unrolled: 1-line block ×3, first 2 shown]
	v_pk_fma_f16 v14, v54, v12, v2 op_sel:[0,1,0]
	v_pk_fma_f16 v15, v55, v12, v15 op_sel_hi:[1,0,1]
	v_pk_fma_f16 v12, v55, v12, v3 op_sel:[0,1,0]
	s_waitcnt lgkmcnt(0)
	v_pk_fma_f16 v16, v56, v13, v0 op_sel:[0,1,0]
	v_pk_fma_f16 v31, v57, v13, v1 op_sel:[0,1,0]
	ds_read2_b64 v[0:3], v38 offset1:32
	v_pk_fma_f16 v10, v56, v13, v10 op_sel_hi:[1,0,1]
	v_pk_fma_f16 v11, v57, v13, v11 op_sel_hi:[1,0,1]
	;; [unrolled: 1-line block ×3, first 2 shown]
	v_pk_fma_f16 v14, v58, v13, v14 op_sel:[0,1,0]
	v_pk_fma_f16 v15, v59, v13, v15 op_sel_hi:[1,0,1]
	v_pk_fma_f16 v32, v59, v13, v12 op_sel:[0,1,0]
	s_waitcnt lgkmcnt(0)
	v_pk_fma_f16 v33, v0, v34, v10 op_sel_hi:[1,0,1]
	v_pk_fma_f16 v0, v0, v34, v16 op_sel:[0,1,0]
	v_pk_fma_f16 v16, v1, v34, v11 op_sel_hi:[1,0,1]
	ds_read2_b64 v[10:13], v38 offset0:64 offset1:96
	v_pk_fma_f16 v1, v1, v34, v31 op_sel:[0,1,0]
	v_pk_fma_f16 v9, v2, v34, v9 op_sel_hi:[1,0,1]
	v_pk_fma_f16 v14, v2, v34, v14 op_sel:[0,1,0]
	v_pk_fma_f16 v15, v3, v34, v15 op_sel_hi:[1,0,1]
	v_pk_fma_f16 v31, v3, v34, v32 op_sel:[0,1,0]
	s_waitcnt lgkmcnt(0)
	v_pk_fma_f16 v32, v10, v35, v33 op_sel_hi:[1,0,1]
	v_pk_fma_f16 v10, v10, v35, v0 op_sel:[0,1,0]
	v_pk_fma_f16 v16, v11, v35, v16 op_sel_hi:[1,0,1]
	v_pk_fma_f16 v11, v11, v35, v1 op_sel:[0,1,0]
	ds_read2_b64 v[0:3], v38 offset0:128 offset1:160
	v_pk_fma_f16 v9, v12, v35, v9 op_sel_hi:[1,0,1]
	v_pk_fma_f16 v14, v12, v35, v14 op_sel:[0,1,0]
	v_pk_fma_f16 v15, v13, v35, v15 op_sel_hi:[1,0,1]
	v_pk_fma_f16 v31, v13, v35, v31 op_sel:[0,1,0]
	s_waitcnt lgkmcnt(0)
	v_pk_fma_f16 v32, v0, v36, v32 op_sel_hi:[1,0,1]
	v_pk_fma_f16 v0, v0, v36, v10 op_sel:[0,1,0]
	v_pk_fma_f16 v16, v1, v36, v16 op_sel_hi:[1,0,1]
	v_pk_fma_f16 v1, v1, v36, v11 op_sel:[0,1,0]
	ds_read2_b64 v[10:13], v38 offset0:192 offset1:224
	v_pk_fma_f16 v9, v2, v36, v9 op_sel_hi:[1,0,1]
	v_pk_fma_f16 v14, v2, v36, v14 op_sel:[0,1,0]
	v_pk_fma_f16 v15, v3, v36, v15 op_sel_hi:[1,0,1]
	v_pk_fma_f16 v31, v3, v36, v31 op_sel:[0,1,0]
	s_waitcnt lgkmcnt(0)
	v_pk_fma_f16 v32, v10, v37, v32 op_sel_hi:[1,0,1]
	v_pk_fma_f16 v10, v10, v37, v0 op_sel:[0,1,0]
	v_pk_fma_f16 v16, v11, v37, v16 op_sel_hi:[1,0,1]
	v_pk_fma_f16 v11, v11, v37, v1 op_sel:[0,1,0]
	ds_read2_b64 v[0:3], v25 offset1:32
	v_pk_fma_f16 v9, v12, v37, v9 op_sel_hi:[1,0,1]
	v_pk_fma_f16 v14, v12, v37, v14 op_sel:[0,1,0]
	v_pk_fma_f16 v15, v13, v37, v15 op_sel_hi:[1,0,1]
	v_pk_fma_f16 v31, v13, v37, v31 op_sel:[0,1,0]
	s_waitcnt lgkmcnt(0)
	v_pk_fma_f16 v32, v0, v40, v32 op_sel_hi:[1,0,1]
	v_pk_fma_f16 v0, v0, v40, v10 op_sel:[0,1,0]
	v_pk_fma_f16 v16, v1, v40, v16 op_sel_hi:[1,0,1]
	v_pk_fma_f16 v1, v1, v40, v11 op_sel:[0,1,0]
	ds_read2_b64 v[10:13], v25 offset0:64 offset1:96
	v_pk_fma_f16 v9, v2, v40, v9 op_sel_hi:[1,0,1]
	v_pk_fma_f16 v14, v2, v40, v14 op_sel:[0,1,0]
	v_pk_fma_f16 v15, v3, v40, v15 op_sel_hi:[1,0,1]
	v_pk_fma_f16 v31, v3, v40, v31 op_sel:[0,1,0]
	s_waitcnt lgkmcnt(0)
	v_pk_fma_f16 v32, v10, v41, v32 op_sel_hi:[1,0,1]
	v_pk_fma_f16 v10, v10, v41, v0 op_sel:[0,1,0]
	v_pk_fma_f16 v16, v11, v41, v16 op_sel_hi:[1,0,1]
	v_pk_fma_f16 v11, v11, v41, v1 op_sel:[0,1,0]
	ds_read2_b64 v[0:3], v25 offset0:128 offset1:160
	;; [unrolled: 10-line block ×3, first 2 shown]
	v_pk_fma_f16 v9, v2, v42, v9 op_sel_hi:[1,0,1]
	v_pk_fma_f16 v14, v2, v42, v14 op_sel:[0,1,0]
	v_pk_fma_f16 v15, v3, v42, v15 op_sel_hi:[1,0,1]
	v_pk_fma_f16 v25, v3, v42, v31 op_sel:[0,1,0]
	s_waitcnt lgkmcnt(0)
	v_pk_fma_f16 v31, v10, v43, v32 op_sel_hi:[1,0,1]
	v_pk_fma_f16 v10, v10, v43, v0 op_sel:[0,1,0]
	v_pk_fma_f16 v16, v11, v43, v16 op_sel_hi:[1,0,1]
	v_pk_fma_f16 v11, v11, v43, v1 op_sel:[0,1,0]
	ds_read2_b64 v[0:3], v8 offset1:32
	v_pk_fma_f16 v9, v12, v43, v9 op_sel_hi:[1,0,1]
	v_pk_fma_f16 v14, v12, v43, v14 op_sel:[0,1,0]
	v_pk_fma_f16 v15, v13, v43, v15 op_sel_hi:[1,0,1]
	v_pk_fma_f16 v25, v13, v43, v25 op_sel:[0,1,0]
	s_waitcnt lgkmcnt(0)
	v_pk_fma_f16 v31, v0, v44, v31 op_sel_hi:[1,0,1]
	v_pk_fma_f16 v0, v0, v44, v10 op_sel:[0,1,0]
	v_pk_fma_f16 v16, v1, v44, v16 op_sel_hi:[1,0,1]
	v_pk_fma_f16 v1, v1, v44, v11 op_sel:[0,1,0]
	ds_read2_b64 v[10:13], v8 offset0:64 offset1:96
	v_pk_fma_f16 v9, v2, v44, v9 op_sel_hi:[1,0,1]
	v_pk_fma_f16 v14, v2, v44, v14 op_sel:[0,1,0]
	v_pk_fma_f16 v15, v3, v44, v15 op_sel_hi:[1,0,1]
	v_pk_fma_f16 v25, v3, v44, v25 op_sel:[0,1,0]
	s_waitcnt lgkmcnt(0)
	v_pk_fma_f16 v31, v10, v45, v31 op_sel_hi:[1,0,1]
	v_pk_fma_f16 v10, v10, v45, v0 op_sel:[0,1,0]
	v_pk_fma_f16 v16, v11, v45, v16 op_sel_hi:[1,0,1]
	v_pk_fma_f16 v11, v11, v45, v1 op_sel:[0,1,0]
	ds_read2_b64 v[0:3], v8 offset0:128 offset1:160
	;; [unrolled: 10-line block ×3, first 2 shown]
	v_pk_fma_f16 v25, v2, v46, v32 op_sel_hi:[1,0,1]
	v_pk_fma_f16 v2, v2, v46, v12 op_sel:[0,1,0]
	v_pk_fma_f16 v12, v3, v46, v14 op_sel_hi:[1,0,1]
	v_pk_fma_f16 v3, v3, v46, v13 op_sel:[0,1,0]
	s_waitcnt lgkmcnt(0)
	v_pk_fma_f16 v39, v8, v47, v15 op_sel_hi:[1,0,1]
	v_pk_fma_f16 v35, v8, v47, v0 op_sel:[0,1,0]
	v_pk_fma_f16 v40, v9, v47, v16 op_sel_hi:[1,0,1]
	v_pk_fma_f16 v37, v9, v47, v1 op_sel:[0,1,0]
	;; [unrolled: 2-line block ×4, first 2 shown]
	v_pk_mov_b32 v[8:9], v[4:5], v[4:5] op_sel:[0,1]
	v_pk_mov_b32 v[10:11], v[6:7], v[6:7] op_sel:[0,1]
	s_barrier
.LBB46_28:
	v_cmp_lt_i32_e32 vcc, v20, v19
	v_cndmask_b32_e32 v0, v18, v20, vcc
	v_lshlrev_b32_e32 v1, 2, v0
	ds_bpermute_b32 v0, v1, v10
	ds_bpermute_b32 v1, v1, v11
	v_cmp_lt_i32_e32 vcc, v21, v19
	v_cndmask_b32_e32 v2, v18, v21, vcc
	v_lshlrev_b32_e32 v3, 2, v2
	v_cmp_lt_i32_e32 vcc, v22, v19
	s_waitcnt lgkmcnt(0)
	v_pk_add_f32 v[0:1], v[10:11], v[0:1]
	ds_bpermute_b32 v2, v3, v0
	ds_bpermute_b32 v3, v3, v1
	v_cndmask_b32_e32 v4, v18, v22, vcc
	v_lshlrev_b32_e32 v4, 2, v4
	v_cmp_lt_i32_e32 vcc, v23, v19
	s_cmp_eq_u64 s[24:25], 0
	s_waitcnt lgkmcnt(0)
	v_pk_add_f32 v[0:1], v[0:1], v[2:3]
	ds_bpermute_b32 v2, v4, v0
	ds_bpermute_b32 v3, v4, v1
	v_cndmask_b32_e32 v4, v18, v23, vcc
	v_lshlrev_b32_e32 v4, 2, v4
	v_cmp_lt_i32_e32 vcc, v24, v19
	s_cselect_b64 s[6:7], -1, 0
	s_waitcnt lgkmcnt(0)
	v_pk_add_f32 v[0:1], v[0:1], v[2:3]
	ds_bpermute_b32 v2, v4, v0
	ds_bpermute_b32 v3, v4, v1
	v_cndmask_b32_e32 v4, v18, v24, vcc
	v_lshlrev_b32_e32 v4, 2, v4
	s_cmp_lg_u32 s9, 0
	s_cselect_b64 s[10:11], -1, 0
	s_waitcnt lgkmcnt(0)
	v_pk_add_f32 v[0:1], v[0:1], v[2:3]
	ds_bpermute_b32 v2, v4, v0
	ds_bpermute_b32 v3, v4, v1
	s_or_b64 s[6:7], s[10:11], s[6:7]
	s_and_b64 vcc, exec, s[6:7]
	s_waitcnt lgkmcnt(0)
	v_pk_add_f32 v[0:1], v[0:1], v[2:3]
	s_cbranch_vccnz .LBB46_30
; %bb.29:
	s_lshl_b64 s[6:7], s[14:15], 2
	s_add_u32 s6, s24, s6
	s_addc_u32 s7, s25, s7
	v_mov_b32_e32 v2, 0
	global_load_dword v2, v2, s[6:7]
	v_max_f32_e32 v3, v9, v9
	v_max_f32_e32 v4, v8, v8
	s_mov_b32 s6, 0x3fb8aa3b
	s_mov_b32 s7, 0xc2ce8ed0
	;; [unrolled: 1-line block ×3, first 2 shown]
	v_mov_b32_e32 v10, 0x7f800000
	s_waitcnt vmcnt(0)
	v_max_f32_e32 v6, v2, v2
	v_max_f32_e32 v5, v3, v6
	;; [unrolled: 1-line block ×3, first 2 shown]
	v_pk_add_f32 v[6:7], v[8:9], v[4:5] neg_lo:[0,1] neg_hi:[0,1]
	v_mul_f32_e32 v8, 0x3fb8aa3b, v7
	v_pk_add_f32 v[2:3], v[2:3], v[4:5] op_sel_hi:[0,1] neg_lo:[0,1] neg_hi:[0,1]
	v_mul_f32_e32 v9, 0x3fb8aa3b, v6
	v_fma_f32 v13, v7, s6, -v8
	v_rndne_f32_e32 v14, v8
	v_mul_f32_e32 v11, 0x3fb8aa3b, v3
	v_fma_f32 v15, v6, s6, -v9
	v_rndne_f32_e32 v16, v9
	v_fmac_f32_e32 v13, 0x32a5705f, v7
	v_sub_f32_e32 v8, v8, v14
	v_mul_f32_e32 v12, 0x3fb8aa3b, v2
	v_fma_f32 v18, v3, s6, -v11
	v_rndne_f32_e32 v19, v11
	v_fmac_f32_e32 v15, 0x32a5705f, v6
	v_sub_f32_e32 v9, v9, v16
	v_add_f32_e32 v8, v8, v13
	v_fma_f32 v20, v2, s6, -v12
	v_rndne_f32_e32 v21, v12
	v_cvt_i32_f32_e32 v14, v14
	v_fmac_f32_e32 v18, 0x32a5705f, v3
	v_sub_f32_e32 v11, v11, v19
	v_add_f32_e32 v9, v9, v15
	v_exp_f32_e32 v8, v8
	v_cvt_i32_f32_e32 v16, v16
	v_fmac_f32_e32 v20, 0x32a5705f, v2
	v_sub_f32_e32 v12, v12, v21
	v_add_f32_e32 v11, v11, v18
	v_exp_f32_e32 v9, v9
	v_cvt_i32_f32_e32 v19, v19
	v_add_f32_e32 v12, v12, v20
	v_exp_f32_e32 v11, v11
	v_cvt_i32_f32_e32 v21, v21
	v_exp_f32_e32 v12, v12
	v_ldexp_f32 v8, v8, v14
	v_cmp_ngt_f32_e32 vcc, s7, v7
	v_ldexp_f32 v9, v9, v16
	v_cndmask_b32_e32 v8, 0, v8, vcc
	v_cmp_ngt_f32_e32 vcc, s7, v6
	v_ldexp_f32 v11, v11, v19
	v_cndmask_b32_e32 v9, 0, v9, vcc
	;; [unrolled: 3-line block ×3, first 2 shown]
	v_cmp_ngt_f32_e32 vcc, s7, v2
	v_cndmask_b32_e32 v12, 0, v12, vcc
	v_cmp_nlt_f32_e32 vcc, s8, v7
	v_cndmask_b32_e32 v7, v10, v8, vcc
	v_cmp_nlt_f32_e32 vcc, s8, v6
	;; [unrolled: 2-line block ×4, first 2 shown]
	v_cndmask_b32_e32 v2, v10, v12, vcc
	v_cvt_f16_f32_e32 v8, v6
	v_pk_fma_f32 v[0:1], v[0:1], v[6:7], v[2:3]
	v_cvt_f16_f32_e32 v2, v7
	v_pk_mul_f16 v39, v8, v39 op_sel_hi:[0,1]
	v_pk_mul_f16 v40, v8, v40 op_sel_hi:[0,1]
	;; [unrolled: 1-line block ×8, first 2 shown]
	v_pk_mov_b32 v[8:9], v[4:5], v[4:5] op_sel:[0,1]
.LBB46_30:
	v_cmp_gt_i32_e32 vcc, s38, v30
	s_and_saveexec_b64 s[6:7], vcc
	s_cbranch_execz .LBB46_40
; %bb.31:
	s_load_dword s8, s[4:5], 0xd4
	v_mov_b32_e32 v2, 1.0
	s_waitcnt lgkmcnt(0)
	s_cmp_lg_u32 s8, 1
	s_cselect_b64 s[10:11], -1, 0
	s_cmp_eq_u32 s8, 1
	s_cselect_b64 s[6:7], -1, 0
	s_and_b64 vcc, exec, s[10:11]
	s_cbranch_vccnz .LBB46_33
; %bb.32:
	v_div_scale_f32 v2, s[4:5], v0, v0, 1.0
	v_rcp_f32_e32 v3, v2
	v_div_scale_f32 v4, vcc, 1.0, v0, 1.0
	v_fma_f32 v5, -v2, v3, 1.0
	v_fmac_f32_e32 v3, v5, v3
	v_mul_f32_e32 v5, v4, v3
	v_fma_f32 v6, -v2, v5, v4
	v_fmac_f32_e32 v5, v6, v3
	v_fma_f32 v2, -v2, v5, v4
	v_div_fmas_f32 v2, v2, v3, v5
	v_div_fixup_f32 v2, v2, v0, 1.0
.LBB46_33:
	s_mul_i32 s12, s33, s38
	s_add_i32 s12, s12, s22
	v_add_u32_e32 v3, s12, v28
	v_mul_lo_u32 v3, v3, s39
	v_add_u32_e32 v3, s14, v3
	v_mul_lo_u32 v3, s8, v3
	v_add_u32_e32 v4, s9, v3
	v_cvt_f32_f16_sdwa v13, v39 dst_sel:DWORD dst_unused:UNUSED_PAD src0_sel:WORD_1
	v_cvt_f32_f16_e32 v12, v39
	v_cvt_f32_f16_sdwa v15, v40 dst_sel:DWORD dst_unused:UNUSED_PAD src0_sel:WORD_1
	v_cvt_f32_f16_e32 v14, v40
	v_lshl_add_u32 v6, v4, 8, v26
	v_mov_b32_e32 v7, 0
	v_lshlrev_b64 v[10:11], 2, v[6:7]
	v_mov_b32_e32 v3, s29
	v_add_co_u32_e64 v18, s[4:5], s28, v10
	v_addc_co_u32_e64 v19, s[4:5], v3, v11, s[4:5]
	v_pk_mul_f32 v[10:11], v[2:3], v[12:13] op_sel_hi:[0,1]
	v_pk_mul_f32 v[12:13], v[2:3], v[14:15] op_sel_hi:[0,1]
	global_store_dwordx4 v[18:19], v[10:13], off
	v_add_u32_e32 v6, 0x80, v6
	v_cvt_f32_f16_sdwa v11, v43 dst_sel:DWORD dst_unused:UNUSED_PAD src0_sel:WORD_1
	v_cvt_f32_f16_e32 v10, v43
	v_cvt_f32_f16_sdwa v13, v42 dst_sel:DWORD dst_unused:UNUSED_PAD src0_sel:WORD_1
	v_cvt_f32_f16_e32 v12, v42
	v_lshlrev_b64 v[6:7], 2, v[6:7]
	v_add_co_u32_e64 v6, s[4:5], s28, v6
	v_cmp_eq_u32_e32 vcc, 0, v29
	v_addc_co_u32_e64 v7, s[4:5], v3, v7, s[4:5]
	v_pk_mul_f32 v[10:11], v[2:3], v[10:11] op_sel_hi:[0,1]
	v_pk_mul_f32 v[12:13], v[2:3], v[12:13] op_sel_hi:[0,1]
	s_and_b64 s[4:5], vcc, s[10:11]
	global_store_dwordx4 v[6:7], v[10:13], off
	s_and_saveexec_b64 s[10:11], s[4:5]
	s_cbranch_execz .LBB46_35
; %bb.34:
	v_ashrrev_i32_e32 v5, 31, v4
	v_lshlrev_b64 v[2:3], 3, v[4:5]
	v_mov_b32_e32 v4, s31
	v_add_co_u32_e32 v2, vcc, s30, v2
	v_addc_co_u32_e32 v3, vcc, v4, v3, vcc
	v_mov_b32_e32 v4, v8
	v_mov_b32_e32 v5, v0
	global_store_dwordx2 v[2:3], v[4:5], off
.LBB46_35:
	s_or_b64 exec, exec, s[10:11]
	v_cmp_gt_i32_e32 vcc, s38, v27
	s_and_b64 exec, exec, vcc
	s_cbranch_execz .LBB46_40
; %bb.36:
	s_andn2_b64 vcc, exec, s[6:7]
	v_mov_b32_e32 v0, 1.0
	s_cbranch_vccnz .LBB46_38
; %bb.37:
	v_div_scale_f32 v0, s[6:7], v1, v1, 1.0
	v_rcp_f32_e32 v2, v0
	v_div_scale_f32 v3, vcc, 1.0, v1, 1.0
	v_fma_f32 v4, -v0, v2, 1.0
	v_fmac_f32_e32 v2, v4, v2
	v_mul_f32_e32 v4, v3, v2
	v_fma_f32 v5, -v0, v4, v3
	v_fmac_f32_e32 v4, v5, v2
	v_fma_f32 v0, -v0, v4, v3
	v_div_fmas_f32 v0, v0, v2, v4
	v_div_fixup_f32 v0, v0, v1, 1.0
.LBB46_38:
	v_add_u32_e32 v2, s12, v17
	v_mul_lo_u32 v2, v2, s39
	v_add_u32_e32 v2, s14, v2
	v_mul_lo_u32 v2, s8, v2
	v_add_u32_e32 v2, s9, v2
	v_cvt_f32_f16_sdwa v7, v35 dst_sel:DWORD dst_unused:UNUSED_PAD src0_sel:WORD_1
	v_cvt_f32_f16_e32 v6, v35
	v_cvt_f32_f16_sdwa v13, v37 dst_sel:DWORD dst_unused:UNUSED_PAD src0_sel:WORD_1
	v_cvt_f32_f16_e32 v12, v37
	v_lshl_add_u32 v10, v2, 8, v26
	v_mov_b32_e32 v11, 0
	v_lshlrev_b64 v[4:5], 2, v[10:11]
	v_mov_b32_e32 v3, s29
	v_add_co_u32_e32 v14, vcc, s28, v4
	v_addc_co_u32_e32 v15, vcc, v3, v5, vcc
	v_pk_mul_f32 v[4:5], v[0:1], v[6:7] op_sel_hi:[0,1]
	v_pk_mul_f32 v[6:7], v[0:1], v[12:13] op_sel_hi:[0,1]
	v_add_u32_e32 v10, 0x80, v10
	global_store_dwordx4 v[14:15], v[4:7], off
	s_nop 0
	v_lshlrev_b64 v[4:5], 2, v[10:11]
	v_cvt_f32_f16_sdwa v7, v36 dst_sel:DWORD dst_unused:UNUSED_PAD src0_sel:WORD_1
	v_cvt_f32_f16_e32 v6, v36
	v_cvt_f32_f16_sdwa v11, v34 dst_sel:DWORD dst_unused:UNUSED_PAD src0_sel:WORD_1
	v_cvt_f32_f16_e32 v10, v34
	v_add_co_u32_e32 v12, vcc, s28, v4
	v_addc_co_u32_e32 v13, vcc, v3, v5, vcc
	v_pk_mul_f32 v[4:5], v[0:1], v[6:7] op_sel_hi:[0,1]
	v_pk_mul_f32 v[6:7], v[0:1], v[10:11] op_sel_hi:[0,1]
	global_store_dwordx4 v[12:13], v[4:7], off
	s_and_b64 exec, exec, s[4:5]
	s_cbranch_execz .LBB46_40
; %bb.39:
	v_ashrrev_i32_e32 v3, 31, v2
	v_lshlrev_b64 v[2:3], 3, v[2:3]
	v_mov_b32_e32 v0, s31
	v_add_co_u32_e32 v2, vcc, s30, v2
	v_addc_co_u32_e32 v3, vcc, v0, v3, vcc
	v_mov_b32_e32 v0, v9
	global_store_dwordx2 v[2:3], v[0:1], off
.LBB46_40:
	s_endpgm
	.section	.rodata,"a",@progbits
	.p2align	6, 0x0
	.amdhsa_kernel _ZL15flash_attn_tileILi256ELi256ELi16ELi1ELb0EEvPKcS1_S1_S1_S1_PKiPfP15HIP_vector_typeIfLj2EEffffjfiS5_IjLj3EEiiiiiiiiiiiliiliiiiil
		.amdhsa_group_segment_fixed_size 17920
		.amdhsa_private_segment_fixed_size 32
		.amdhsa_kernarg_size 464
		.amdhsa_user_sgpr_count 8
		.amdhsa_user_sgpr_private_segment_buffer 1
		.amdhsa_user_sgpr_dispatch_ptr 0
		.amdhsa_user_sgpr_queue_ptr 0
		.amdhsa_user_sgpr_kernarg_segment_ptr 1
		.amdhsa_user_sgpr_dispatch_id 0
		.amdhsa_user_sgpr_flat_scratch_init 1
		.amdhsa_user_sgpr_kernarg_preload_length 0
		.amdhsa_user_sgpr_kernarg_preload_offset 0
		.amdhsa_user_sgpr_private_segment_size 0
		.amdhsa_uses_dynamic_stack 0
		.amdhsa_system_sgpr_private_segment_wavefront_offset 1
		.amdhsa_system_sgpr_workgroup_id_x 1
		.amdhsa_system_sgpr_workgroup_id_y 1
		.amdhsa_system_sgpr_workgroup_id_z 1
		.amdhsa_system_sgpr_workgroup_info 0
		.amdhsa_system_vgpr_workitem_id 1
		.amdhsa_next_free_vgpr 128
		.amdhsa_next_free_sgpr 56
		.amdhsa_accum_offset 128
		.amdhsa_reserve_vcc 1
		.amdhsa_reserve_flat_scratch 1
		.amdhsa_float_round_mode_32 0
		.amdhsa_float_round_mode_16_64 0
		.amdhsa_float_denorm_mode_32 3
		.amdhsa_float_denorm_mode_16_64 3
		.amdhsa_dx10_clamp 1
		.amdhsa_ieee_mode 1
		.amdhsa_fp16_overflow 0
		.amdhsa_tg_split 0
		.amdhsa_exception_fp_ieee_invalid_op 0
		.amdhsa_exception_fp_denorm_src 0
		.amdhsa_exception_fp_ieee_div_zero 0
		.amdhsa_exception_fp_ieee_overflow 0
		.amdhsa_exception_fp_ieee_underflow 0
		.amdhsa_exception_fp_ieee_inexact 0
		.amdhsa_exception_int_div_zero 0
	.end_amdhsa_kernel
	.section	.text._ZL15flash_attn_tileILi256ELi256ELi16ELi1ELb0EEvPKcS1_S1_S1_S1_PKiPfP15HIP_vector_typeIfLj2EEffffjfiS5_IjLj3EEiiiiiiiiiiiliiliiiiil,"axG",@progbits,_ZL15flash_attn_tileILi256ELi256ELi16ELi1ELb0EEvPKcS1_S1_S1_S1_PKiPfP15HIP_vector_typeIfLj2EEffffjfiS5_IjLj3EEiiiiiiiiiiiliiliiiiil,comdat
.Lfunc_end46:
	.size	_ZL15flash_attn_tileILi256ELi256ELi16ELi1ELb0EEvPKcS1_S1_S1_S1_PKiPfP15HIP_vector_typeIfLj2EEffffjfiS5_IjLj3EEiiiiiiiiiiiliiliiiiil, .Lfunc_end46-_ZL15flash_attn_tileILi256ELi256ELi16ELi1ELb0EEvPKcS1_S1_S1_S1_PKiPfP15HIP_vector_typeIfLj2EEffffjfiS5_IjLj3EEiiiiiiiiiiiliiliiiiil
                                        ; -- End function
	.section	.AMDGPU.csdata,"",@progbits
; Kernel info:
; codeLenInByte = 18720
; NumSgprs: 62
; NumVgprs: 128
; NumAgprs: 0
; TotalNumVgprs: 128
; ScratchSize: 32
; MemoryBound: 0
; FloatMode: 240
; IeeeMode: 1
; LDSByteSize: 17920 bytes/workgroup (compile time only)
; SGPRBlocks: 7
; VGPRBlocks: 15
; NumSGPRsForWavesPerEU: 62
; NumVGPRsForWavesPerEU: 128
; AccumOffset: 128
; Occupancy: 3
; WaveLimiterHint : 1
; COMPUTE_PGM_RSRC2:SCRATCH_EN: 1
; COMPUTE_PGM_RSRC2:USER_SGPR: 8
; COMPUTE_PGM_RSRC2:TRAP_HANDLER: 0
; COMPUTE_PGM_RSRC2:TGID_X_EN: 1
; COMPUTE_PGM_RSRC2:TGID_Y_EN: 1
; COMPUTE_PGM_RSRC2:TGID_Z_EN: 1
; COMPUTE_PGM_RSRC2:TIDIG_COMP_CNT: 1
; COMPUTE_PGM_RSRC3_GFX90A:ACCUM_OFFSET: 31
; COMPUTE_PGM_RSRC3_GFX90A:TG_SPLIT: 0
	.section	.text._ZL33flash_attn_stream_k_fixup_uniformILi256ELi16ELi1EEvPfPK15HIP_vector_typeIfLj2EEiiiiiiS1_IjLj3EES5_S5_,"axG",@progbits,_ZL33flash_attn_stream_k_fixup_uniformILi256ELi16ELi1EEvPfPK15HIP_vector_typeIfLj2EEiiiiiiS1_IjLj3EES5_S5_,comdat
	.globl	_ZL33flash_attn_stream_k_fixup_uniformILi256ELi16ELi1EEvPfPK15HIP_vector_typeIfLj2EEiiiiiiS1_IjLj3EES5_S5_ ; -- Begin function _ZL33flash_attn_stream_k_fixup_uniformILi256ELi16ELi1EEvPfPK15HIP_vector_typeIfLj2EEiiiiiiS1_IjLj3EES5_S5_
	.p2align	8
	.type	_ZL33flash_attn_stream_k_fixup_uniformILi256ELi16ELi1EEvPfPK15HIP_vector_typeIfLj2EEiiiiiiS1_IjLj3EES5_S5_,@function
_ZL33flash_attn_stream_k_fixup_uniformILi256ELi16ELi1EEvPfPK15HIP_vector_typeIfLj2EEiiiiiiS1_IjLj3EES5_S5_: ; @_ZL33flash_attn_stream_k_fixup_uniformILi256ELi16ELi1EEvPfPK15HIP_vector_typeIfLj2EEiiiiiiS1_IjLj3EES5_S5_
; %bb.0:
	s_load_dwordx8 s[12:19], s[4:5], 0x1c
	s_load_dwordx2 s[10:11], s[4:5], 0x10
	s_load_dwordx4 s[0:3], s[4:5], 0x3c
	s_waitcnt lgkmcnt(0)
	s_mul_hi_u32 s9, s15, s6
	s_add_i32 s9, s6, s9
	s_lshr_b32 s9, s9, s16
	s_mul_i32 s15, s9, s17
	s_sub_i32 s15, s6, s15
	s_mul_hi_u32 s16, s15, s18
	s_add_i32 s16, s15, s16
	s_lshr_b32 s16, s16, s19
	s_mul_i32 s0, s16, s0
	s_sub_i32 s0, s15, s0
	;; [unrolled: 5-line block ×3, first 2 shown]
	s_lshl_b32 s0, s17, 4
	s_add_i32 s0, s0, s7
	s_cmp_lt_i32 s0, s10
	s_cselect_b64 s[0:1], -1, 0
	s_add_i32 s2, s15, s8
	s_cmp_lt_i32 s2, s13
	s_cselect_b64 s[2:3], -1, 0
	s_and_b64 s[0:1], s[0:1], s[2:3]
	s_andn2_b64 vcc, exec, s[0:1]
	s_cbranch_vccnz .LBB47_6
; %bb.1:
	s_load_dwordx4 s[0:3], s[4:5], 0x0
	s_mul_i32 s4, s9, s10
	s_add_i32 s4, s4, s7
	s_mul_i32 s4, s4, s11
	s_mul_i32 s16, s16, s13
	s_add_i32 s4, s4, s8
	s_add_i32 s4, s4, s16
	s_mul_i32 s5, s11, s17
	s_add_i32 s4, s4, s15
	s_lshl_b32 s5, s5, 12
	s_lshl_b32 s4, s4, 8
	s_add_i32 s5, s5, s4
	v_or_b32_e32 v2, s5, v0
	v_ashrrev_i32_e32 v3, 31, v2
	v_lshlrev_b64 v[2:3], 2, v[2:3]
	s_waitcnt lgkmcnt(0)
	v_mov_b32_e32 v1, s1
	v_add_co_u32_e32 v2, vcc, s0, v2
	v_addc_co_u32_e32 v3, vcc, v1, v3, vcc
	global_load_dword v8, v[2:3], off
	s_add_i32 s4, s7, s8
	s_mul_i32 s7, s6, s14
	s_add_i32 s5, s7, s14
	s_lshl_b32 s0, s5, 4
	s_add_i32 s0, s4, s0
	s_add_i32 s0, s0, -16
	s_ashr_i32 s1, s0, 31
	s_lshl_b64 s[0:1], s[0:1], 3
	s_add_u32 s0, s2, s0
	s_addc_u32 s1, s3, s1
	s_load_dword s10, s[0:1], 0x4
	s_add_i32 s8, s5, -2
	s_cmp_lt_i32 s8, s7
	s_cbranch_scc1 .LBB47_4
; %bb.2:
	s_lshl_b32 s8, s12, 6
	s_ashr_i32 s9, s8, 31
	s_lshl_b64 s[8:9], s[8:9], 2
	s_add_u32 s8, s2, s8
	s_addc_u32 s11, s3, s9
	s_add_i32 s6, s6, 1
	s_add_i32 s9, s5, -1
	s_mul_i32 s5, s14, s6
	s_load_dword s0, s[0:1], 0x0
	s_lshl_b32 s1, s4, 8
	s_lshl_b32 s6, s5, 12
	s_add_i32 s1, s1, s6
	v_or_b32_e32 v0, s1, v0
	s_lshl_b32 s1, s5, 4
	s_add_i32 s1, s4, s1
	s_lshl_b32 s4, s12, 4
	s_add_i32 s1, s1, s4
	v_add_u32_e32 v0, 0xffffe000, v0
	s_sub_i32 s4, s1, 32
	s_waitcnt lgkmcnt(0)
	v_mov_b32_e32 v7, s10
	v_mov_b32_e32 v6, s0
	;; [unrolled: 1-line block ×3, first 2 shown]
	s_mov_b32 s6, 0x3fb8aa3b
	s_mov_b32 s10, 0xc2ce8ed0
	;; [unrolled: 1-line block ×3, first 2 shown]
	v_mov_b32_e32 v5, 0x7f800000
	s_mov_b32 s12, 0xc1a00000
.LBB47_3:                               ; =>This Inner Loop Header: Depth=1
	v_ashrrev_i32_e32 v1, 31, v0
	v_lshlrev_b64 v[10:11], 2, v[0:1]
	v_add_co_u32_e32 v10, vcc, s8, v10
	v_addc_co_u32_e32 v11, vcc, v4, v11, vcc
	global_load_dword v1, v[10:11], off
	s_ashr_i32 s5, s4, 31
	s_lshl_b64 s[0:1], s[4:5], 3
	s_add_u32 s0, s2, s0
	s_addc_u32 s1, s3, s1
	s_load_dwordx2 s[14:15], s[0:1], 0x0
	s_waitcnt vmcnt(1)
	v_mov_b32_e32 v9, v8
	v_max_f32_e32 v8, v6, v6
	v_mov_b32_e32 v10, v7
	s_add_i32 s9, s9, -1
	s_waitcnt lgkmcnt(0)
	v_max_f32_e64 v7, s14, s14
	v_max_f32_e32 v7, v8, v7
	v_sub_f32_e32 v11, s14, v7
	v_sub_f32_e32 v8, v6, v7
	v_mul_f32_e32 v12, 0x3fb8aa3b, v11
	v_mov_b32_e32 v6, v7
	v_mul_f32_e32 v7, 0x3fb8aa3b, v8
	v_fma_f32 v15, v11, s6, -v12
	v_rndne_f32_e32 v16, v12
	v_fma_f32 v13, v8, s6, -v7
	v_rndne_f32_e32 v14, v7
	v_fmac_f32_e32 v15, 0x32a5705f, v11
	v_sub_f32_e32 v12, v12, v16
	v_fmac_f32_e32 v13, 0x32a5705f, v8
	v_sub_f32_e32 v7, v7, v14
	v_add_f32_e32 v12, v12, v15
	v_cvt_i32_f32_e32 v16, v16
	v_add_f32_e32 v7, v7, v13
	v_exp_f32_e32 v12, v12
	v_cvt_i32_f32_e32 v14, v14
	v_exp_f32_e32 v7, v7
	v_cmp_ngt_f32_e32 vcc, s10, v11
	v_ldexp_f32 v12, v12, v16
	v_cmp_ngt_f32_e64 s[0:1], s10, v8
	v_ldexp_f32 v7, v7, v14
	v_cndmask_b32_e32 v12, 0, v12, vcc
	v_cmp_nlt_f32_e32 vcc, s11, v11
	v_cndmask_b32_e64 v7, 0, v7, s[0:1]
	v_cmp_nlt_f32_e64 s[0:1], s11, v8
	v_cndmask_b32_e32 v12, v5, v12, vcc
	v_cmp_le_f32_e32 vcc, s12, v11
	v_cndmask_b32_e64 v7, v5, v7, s[0:1]
	v_cmp_le_f32_e64 s[0:1], s12, v8
	v_cndmask_b32_e32 v8, 0, v12, vcc
	s_add_i32 s4, s4, -16
	v_cndmask_b32_e64 v11, 0, v7, s[0:1]
	v_mul_f32_e32 v7, s15, v8
	v_add_u32_e32 v0, 0xfffff000, v0
	s_cmp_le_i32 s9, s7
	v_fmac_f32_e32 v7, v10, v11
	s_waitcnt vmcnt(0)
	v_mul_f32_e32 v8, v1, v8
	v_fmac_f32_e32 v8, v9, v11
	s_cbranch_scc0 .LBB47_3
	s_branch .LBB47_5
.LBB47_4:
	s_waitcnt lgkmcnt(0)
	v_mov_b32_e32 v7, s10
.LBB47_5:
	s_waitcnt vmcnt(0)
	v_div_scale_f32 v0, s[0:1], v7, v7, v8
	v_rcp_f32_e32 v1, v0
	v_div_scale_f32 v4, vcc, v8, v7, v8
	v_fma_f32 v5, -v0, v1, 1.0
	v_fmac_f32_e32 v1, v5, v1
	v_mul_f32_e32 v5, v4, v1
	v_fma_f32 v6, -v0, v5, v4
	v_fmac_f32_e32 v5, v6, v1
	v_fma_f32 v0, -v0, v5, v4
	v_div_fmas_f32 v0, v0, v1, v5
	v_div_fixup_f32 v0, v0, v7, v8
	global_store_dword v[2:3], v0, off
.LBB47_6:
	s_endpgm
	.section	.rodata,"a",@progbits
	.p2align	6, 0x0
	.amdhsa_kernel _ZL33flash_attn_stream_k_fixup_uniformILi256ELi16ELi1EEvPfPK15HIP_vector_typeIfLj2EEiiiiiiS1_IjLj3EES5_S5_
		.amdhsa_group_segment_fixed_size 0
		.amdhsa_private_segment_fixed_size 0
		.amdhsa_kernarg_size 76
		.amdhsa_user_sgpr_count 6
		.amdhsa_user_sgpr_private_segment_buffer 1
		.amdhsa_user_sgpr_dispatch_ptr 0
		.amdhsa_user_sgpr_queue_ptr 0
		.amdhsa_user_sgpr_kernarg_segment_ptr 1
		.amdhsa_user_sgpr_dispatch_id 0
		.amdhsa_user_sgpr_flat_scratch_init 0
		.amdhsa_user_sgpr_kernarg_preload_length 0
		.amdhsa_user_sgpr_kernarg_preload_offset 0
		.amdhsa_user_sgpr_private_segment_size 0
		.amdhsa_uses_dynamic_stack 0
		.amdhsa_system_sgpr_private_segment_wavefront_offset 0
		.amdhsa_system_sgpr_workgroup_id_x 1
		.amdhsa_system_sgpr_workgroup_id_y 1
		.amdhsa_system_sgpr_workgroup_id_z 1
		.amdhsa_system_sgpr_workgroup_info 0
		.amdhsa_system_vgpr_workitem_id 0
		.amdhsa_next_free_vgpr 17
		.amdhsa_next_free_sgpr 20
		.amdhsa_accum_offset 20
		.amdhsa_reserve_vcc 1
		.amdhsa_reserve_flat_scratch 0
		.amdhsa_float_round_mode_32 0
		.amdhsa_float_round_mode_16_64 0
		.amdhsa_float_denorm_mode_32 3
		.amdhsa_float_denorm_mode_16_64 3
		.amdhsa_dx10_clamp 1
		.amdhsa_ieee_mode 1
		.amdhsa_fp16_overflow 0
		.amdhsa_tg_split 0
		.amdhsa_exception_fp_ieee_invalid_op 0
		.amdhsa_exception_fp_denorm_src 0
		.amdhsa_exception_fp_ieee_div_zero 0
		.amdhsa_exception_fp_ieee_overflow 0
		.amdhsa_exception_fp_ieee_underflow 0
		.amdhsa_exception_fp_ieee_inexact 0
		.amdhsa_exception_int_div_zero 0
	.end_amdhsa_kernel
	.section	.text._ZL33flash_attn_stream_k_fixup_uniformILi256ELi16ELi1EEvPfPK15HIP_vector_typeIfLj2EEiiiiiiS1_IjLj3EES5_S5_,"axG",@progbits,_ZL33flash_attn_stream_k_fixup_uniformILi256ELi16ELi1EEvPfPK15HIP_vector_typeIfLj2EEiiiiiiS1_IjLj3EES5_S5_,comdat
.Lfunc_end47:
	.size	_ZL33flash_attn_stream_k_fixup_uniformILi256ELi16ELi1EEvPfPK15HIP_vector_typeIfLj2EEiiiiiiS1_IjLj3EES5_S5_, .Lfunc_end47-_ZL33flash_attn_stream_k_fixup_uniformILi256ELi16ELi1EEvPfPK15HIP_vector_typeIfLj2EEiiiiiiS1_IjLj3EES5_S5_
                                        ; -- End function
	.section	.AMDGPU.csdata,"",@progbits
; Kernel info:
; codeLenInByte = 836
; NumSgprs: 24
; NumVgprs: 17
; NumAgprs: 0
; TotalNumVgprs: 17
; ScratchSize: 0
; MemoryBound: 0
; FloatMode: 240
; IeeeMode: 1
; LDSByteSize: 0 bytes/workgroup (compile time only)
; SGPRBlocks: 2
; VGPRBlocks: 2
; NumSGPRsForWavesPerEU: 24
; NumVGPRsForWavesPerEU: 17
; AccumOffset: 20
; Occupancy: 8
; WaveLimiterHint : 0
; COMPUTE_PGM_RSRC2:SCRATCH_EN: 0
; COMPUTE_PGM_RSRC2:USER_SGPR: 6
; COMPUTE_PGM_RSRC2:TRAP_HANDLER: 0
; COMPUTE_PGM_RSRC2:TGID_X_EN: 1
; COMPUTE_PGM_RSRC2:TGID_Y_EN: 1
; COMPUTE_PGM_RSRC2:TGID_Z_EN: 1
; COMPUTE_PGM_RSRC2:TIDIG_COMP_CNT: 0
; COMPUTE_PGM_RSRC3_GFX90A:ACCUM_OFFSET: 4
; COMPUTE_PGM_RSRC3_GFX90A:TG_SPLIT: 0
	.section	.text._ZL33flash_attn_stream_k_fixup_generalILi256ELi16ELi1EEvPfPK15HIP_vector_typeIfLj2EEiiiiS1_IjLj3EES5_S5_S5_,"axG",@progbits,_ZL33flash_attn_stream_k_fixup_generalILi256ELi16ELi1EEvPfPK15HIP_vector_typeIfLj2EEiiiiS1_IjLj3EES5_S5_S5_,comdat
	.globl	_ZL33flash_attn_stream_k_fixup_generalILi256ELi16ELi1EEvPfPK15HIP_vector_typeIfLj2EEiiiiS1_IjLj3EES5_S5_S5_ ; -- Begin function _ZL33flash_attn_stream_k_fixup_generalILi256ELi16ELi1EEvPfPK15HIP_vector_typeIfLj2EEiiiiS1_IjLj3EES5_S5_S5_
	.p2align	8
	.type	_ZL33flash_attn_stream_k_fixup_generalILi256ELi16ELi1EEvPfPK15HIP_vector_typeIfLj2EEiiiiS1_IjLj3EES5_S5_S5_,@function
_ZL33flash_attn_stream_k_fixup_generalILi256ELi16ELi1EEvPfPK15HIP_vector_typeIfLj2EEiiiiS1_IjLj3EES5_S5_S5_: ; @_ZL33flash_attn_stream_k_fixup_generalILi256ELi16ELi1EEvPfPK15HIP_vector_typeIfLj2EEiiiiS1_IjLj3EES5_S5_S5_
; %bb.0:
	s_load_dwordx4 s[12:15], s[4:5], 0x10
	s_load_dword s9, s[4:5], 0x50
	s_mov_b32 s2, 0
	s_waitcnt lgkmcnt(0)
	s_mul_hi_i32 s3, s15, s6
	s_cmp_lg_u64 s[2:3], 0
	s_mul_i32 s2, s15, s6
	s_cbranch_scc0 .LBB48_21
; %bb.1:
	v_cvt_f32_u32_e32 v1, s9
	v_cvt_f32_ubyte0_e32 v2, 0
	s_sub_u32 s10, 0, s9
	s_subb_u32 s11, 0, 0
	v_madmk_f32 v1, v2, 0x4f800000, v1
	v_rcp_f32_e32 v1, v1
	v_mul_f32_e32 v1, 0x5f7ffffc, v1
	v_mul_f32_e32 v2, 0x2f800000, v1
	v_trunc_f32_e32 v2, v2
	v_madmk_f32 v1, v2, 0xcf800000, v1
	v_cvt_u32_f32_e32 v2, v2
	v_cvt_u32_f32_e32 v1, v1
	v_readfirstlane_b32 s16, v2
	v_readfirstlane_b32 s17, v1
	s_mul_i32 s18, s10, s16
	s_mul_hi_u32 s20, s10, s17
	s_mul_i32 s19, s11, s17
	s_add_i32 s18, s20, s18
	s_add_i32 s18, s18, s19
	s_mul_i32 s21, s10, s17
	s_mul_hi_u32 s19, s17, s18
	s_mul_i32 s20, s17, s18
	s_mul_hi_u32 s17, s17, s21
	s_add_u32 s17, s17, s20
	s_addc_u32 s19, 0, s19
	s_mul_hi_u32 s22, s16, s21
	s_mul_i32 s21, s16, s21
	s_add_u32 s17, s17, s21
	s_mul_hi_u32 s20, s16, s18
	s_addc_u32 s17, s19, s22
	s_addc_u32 s19, s20, 0
	s_mul_i32 s18, s16, s18
	s_add_u32 s17, s17, s18
	s_addc_u32 s18, 0, s19
	v_add_co_u32_e32 v1, vcc, s17, v1
	s_cmp_lg_u64 vcc, 0
	s_addc_u32 s16, s16, s18
	v_readfirstlane_b32 s18, v1
	s_mul_i32 s17, s10, s16
	s_mul_hi_u32 s19, s10, s18
	s_add_i32 s17, s19, s17
	s_mul_i32 s11, s11, s18
	s_add_i32 s17, s17, s11
	s_mul_i32 s10, s10, s18
	s_mul_hi_u32 s19, s16, s10
	s_mul_i32 s20, s16, s10
	s_mul_i32 s22, s18, s17
	s_mul_hi_u32 s10, s18, s10
	s_mul_hi_u32 s21, s18, s17
	s_add_u32 s10, s10, s22
	s_addc_u32 s18, 0, s21
	s_add_u32 s10, s10, s20
	s_mul_hi_u32 s11, s16, s17
	s_addc_u32 s10, s18, s19
	s_addc_u32 s11, s11, 0
	s_mul_i32 s17, s16, s17
	s_add_u32 s10, s10, s17
	s_addc_u32 s11, 0, s11
	v_add_co_u32_e32 v1, vcc, s10, v1
	s_cmp_lg_u64 vcc, 0
	s_addc_u32 s18, s16, s11
	s_ashr_i32 s10, s3, 31
	s_add_u32 s16, s2, s10
	s_mov_b32 s11, s10
	s_addc_u32 s17, s3, s10
	s_xor_b64 s[16:17], s[16:17], s[10:11]
	v_readfirstlane_b32 s20, v1
	s_mul_i32 s19, s16, s18
	s_mul_hi_u32 s21, s16, s20
	s_mul_hi_u32 s3, s16, s18
	s_add_u32 s19, s21, s19
	s_addc_u32 s3, 0, s3
	s_mul_hi_u32 s22, s17, s20
	s_mul_i32 s20, s17, s20
	s_add_u32 s19, s19, s20
	s_mul_hi_u32 s21, s17, s18
	s_addc_u32 s3, s3, s22
	s_addc_u32 s19, s21, 0
	s_mul_i32 s18, s17, s18
	s_add_u32 s3, s3, s18
	s_addc_u32 s18, 0, s19
	s_add_u32 s19, s3, 1
	s_addc_u32 s20, s18, 0
	s_add_u32 s21, s3, 2
	s_mul_i32 s23, s9, s18
	s_mul_hi_u32 s24, s9, s3
	s_addc_u32 s22, s18, 0
	s_add_i32 s24, s24, s23
	s_mul_i32 s23, s9, s3
	v_mov_b32_e32 v1, s23
	v_sub_co_u32_e32 v1, vcc, s16, v1
	s_cmp_lg_u64 vcc, 0
	s_subb_u32 s16, s17, s24
	v_subrev_co_u32_e32 v2, vcc, s9, v1
	s_cmp_lg_u64 vcc, 0
	s_subb_u32 s17, s16, 0
	v_readfirstlane_b32 s23, v2
	s_cmp_ge_u32 s23, s9
	s_cselect_b32 s23, -1, 0
	s_cmp_eq_u32 s17, 0
	s_cselect_b32 s17, s23, -1
	s_cmp_lg_u32 s17, 0
	s_cselect_b32 s17, s22, s20
	v_readfirstlane_b32 s20, v1
	s_cselect_b32 s19, s21, s19
	s_cmp_ge_u32 s20, s9
	s_cselect_b32 s20, -1, 0
	s_cmp_eq_u32 s16, 0
	s_cselect_b32 s16, s20, -1
	s_cmp_lg_u32 s16, 0
	s_cselect_b32 s17, s17, s18
	s_cselect_b32 s16, s19, s3
	s_xor_b64 s[16:17], s[16:17], s[10:11]
	s_sub_u32 s20, s16, s10
	s_load_dwordx4 s[16:19], s[4:5], 0x44
	s_cbranch_execnz .LBB48_3
.LBB48_2:
	v_cvt_f32_u32_e32 v1, s9
	s_sub_i32 s0, 0, s9
	v_rcp_iflag_f32_e32 v1, v1
	v_mul_f32_e32 v1, 0x4f7ffffe, v1
	v_cvt_u32_f32_e32 v1, v1
	v_readfirstlane_b32 s1, v1
	s_mul_i32 s0, s0, s1
	s_mul_hi_u32 s0, s1, s0
	s_add_i32 s1, s1, s0
	s_mul_hi_u32 s0, s2, s1
	s_mul_i32 s3, s0, s9
	s_sub_i32 s2, s2, s3
	s_add_i32 s1, s0, 1
	s_sub_i32 s3, s2, s9
	s_cmp_ge_u32 s2, s9
	s_cselect_b32 s0, s1, s0
	s_cselect_b32 s2, s3, s2
	s_add_i32 s1, s0, 1
	s_cmp_ge_u32 s2, s9
	s_cselect_b32 s20, s1, s0
.LBB48_3:
	s_add_i32 s0, s6, 1
	s_mul_hi_i32 s3, s15, s0
	s_mov_b32 s2, 0
	s_cmp_lg_u64 s[2:3], 0
	s_mul_i32 s2, s15, s0
	s_cbranch_scc0 .LBB48_22
; %bb.4:
	v_cvt_f32_u32_e32 v1, s9
	v_cvt_f32_ubyte0_e32 v2, 0
	s_sub_u32 s10, 0, s9
	s_subb_u32 s11, 0, 0
	v_madmk_f32 v1, v2, 0x4f800000, v1
	v_rcp_f32_e32 v1, v1
	v_mul_f32_e32 v1, 0x5f7ffffc, v1
	v_mul_f32_e32 v2, 0x2f800000, v1
	v_trunc_f32_e32 v2, v2
	v_madmk_f32 v1, v2, 0xcf800000, v1
	v_cvt_u32_f32_e32 v2, v2
	v_cvt_u32_f32_e32 v1, v1
	s_waitcnt lgkmcnt(0)
	v_readfirstlane_b32 s19, v2
	v_readfirstlane_b32 s21, v1
	s_mul_i32 s22, s10, s19
	s_mul_hi_u32 s24, s10, s21
	s_mul_i32 s23, s11, s21
	s_add_i32 s22, s24, s22
	s_add_i32 s22, s22, s23
	s_mul_i32 s25, s10, s21
	s_mul_hi_u32 s23, s21, s22
	s_mul_i32 s24, s21, s22
	s_mul_hi_u32 s21, s21, s25
	s_add_u32 s21, s21, s24
	s_addc_u32 s23, 0, s23
	s_mul_hi_u32 s26, s19, s25
	s_mul_i32 s25, s19, s25
	s_add_u32 s21, s21, s25
	s_mul_hi_u32 s24, s19, s22
	s_addc_u32 s21, s23, s26
	s_addc_u32 s23, s24, 0
	s_mul_i32 s22, s19, s22
	s_add_u32 s21, s21, s22
	s_addc_u32 s22, 0, s23
	v_add_co_u32_e32 v1, vcc, s21, v1
	s_cmp_lg_u64 vcc, 0
	s_addc_u32 s19, s19, s22
	v_readfirstlane_b32 s22, v1
	s_mul_i32 s21, s10, s19
	s_mul_hi_u32 s23, s10, s22
	s_add_i32 s21, s23, s21
	s_mul_i32 s11, s11, s22
	s_add_i32 s21, s21, s11
	s_mul_i32 s10, s10, s22
	s_mul_hi_u32 s23, s19, s10
	s_mul_i32 s24, s19, s10
	s_mul_i32 s26, s22, s21
	s_mul_hi_u32 s10, s22, s10
	s_mul_hi_u32 s25, s22, s21
	s_add_u32 s10, s10, s26
	s_addc_u32 s22, 0, s25
	s_add_u32 s10, s10, s24
	s_mul_hi_u32 s11, s19, s21
	s_addc_u32 s10, s22, s23
	s_addc_u32 s11, s11, 0
	s_mul_i32 s21, s19, s21
	s_add_u32 s10, s10, s21
	s_addc_u32 s11, 0, s11
	v_add_co_u32_e32 v1, vcc, s10, v1
	s_cmp_lg_u64 vcc, 0
	s_addc_u32 s19, s19, s11
	s_ashr_i32 s10, s3, 31
	s_add_u32 s22, s2, s10
	s_mov_b32 s11, s10
	s_addc_u32 s23, s3, s10
	s_xor_b64 s[22:23], s[22:23], s[10:11]
	v_readfirstlane_b32 s21, v1
	s_mul_i32 s11, s22, s19
	s_mul_hi_u32 s24, s22, s21
	s_mul_hi_u32 s3, s22, s19
	s_add_u32 s11, s24, s11
	s_addc_u32 s3, 0, s3
	s_mul_hi_u32 s25, s23, s21
	s_mul_i32 s21, s23, s21
	s_add_u32 s11, s11, s21
	s_mul_hi_u32 s24, s23, s19
	s_addc_u32 s3, s3, s25
	s_addc_u32 s11, s24, 0
	s_mul_i32 s19, s23, s19
	s_add_u32 s3, s3, s19
	s_addc_u32 s11, 0, s11
	s_mul_i32 s11, s9, s11
	s_mul_hi_u32 s24, s9, s3
	s_add_i32 s24, s24, s11
	s_mul_i32 s11, s9, s3
	v_mov_b32_e32 v1, s11
	s_add_u32 s19, s3, 1
	s_add_u32 s21, s3, 2
	v_sub_co_u32_e32 v1, vcc, s22, v1
	s_cmp_lg_u64 vcc, 0
	s_subb_u32 s11, s23, s24
	v_subrev_co_u32_e32 v2, vcc, s9, v1
	s_cmp_lg_u64 vcc, 0
	s_subb_u32 s22, s11, 0
	v_cmp_le_u32_e32 vcc, s9, v2
	s_cmp_eq_u32 s22, 0
	v_cndmask_b32_e64 v2, 0, -1, vcc
	s_cselect_b64 vcc, -1, 0
	v_cndmask_b32_e32 v2, -1, v2, vcc
	v_mov_b32_e32 v3, s19
	v_mov_b32_e32 v4, s21
	v_cmp_ne_u32_e32 vcc, 0, v2
	v_cndmask_b32_e32 v2, v3, v4, vcc
	v_cmp_le_u32_e32 vcc, s9, v1
	s_cmp_eq_u32 s11, 0
	v_cndmask_b32_e64 v1, 0, -1, vcc
	s_cselect_b64 vcc, -1, 0
	v_cndmask_b32_e32 v1, -1, v1, vcc
	v_mov_b32_e32 v3, s3
	v_cmp_ne_u32_e32 vcc, 0, v1
	v_cndmask_b32_e32 v1, v3, v2, vcc
	v_xor_b32_e32 v1, s10, v1
	v_subrev_co_u32_e32 v2, vcc, s10, v1
	s_cbranch_execnz .LBB48_6
.LBB48_5:
	v_cvt_f32_u32_e32 v1, s9
	s_sub_i32 s0, 0, s9
	s_mov_b32 s1, 0
	v_rcp_iflag_f32_e32 v1, v1
	v_mul_f32_e32 v1, 0x4f7ffffe, v1
	v_cvt_u32_f32_e32 v1, v1
	v_readfirstlane_b32 s3, v1
	s_mul_i32 s0, s0, s3
	s_mul_hi_u32 s0, s3, s0
	s_add_i32 s3, s3, s0
	s_mul_hi_u32 s0, s2, s3
	s_mul_i32 s10, s0, s9
	s_sub_i32 s2, s2, s10
	s_add_i32 s3, s0, 1
	s_sub_i32 s10, s2, s9
	s_cmp_ge_u32 s2, s9
	s_cselect_b32 s0, s3, s0
	s_cselect_b32 s2, s10, s2
	s_add_i32 s3, s0, 1
	s_cmp_ge_u32 s2, s9
	s_cselect_b32 s0, s3, s0
	v_pk_mov_b32 v[2:3], s[0:1], s[0:1] op_sel:[0,1]
.LBB48_6:
	s_waitcnt lgkmcnt(0)
	s_mul_hi_u32 s0, s20, s16
	s_add_i32 s0, s0, s20
	v_mul_hi_u32 v1, v2, s16
	s_lshr_b32 s19, s0, s17
	v_add_u32_e32 v1, v1, v2
	s_mul_i32 s0, s19, s18
	v_lshrrev_b32_e32 v1, s17, v1
	s_cmp_eq_u32 s0, s20
	v_cmp_eq_u32_e64 s[0:1], s19, v1
	v_mul_lo_u32 v1, v1, s18
	v_cmp_eq_u32_e32 vcc, s20, v2
	s_cselect_b64 s[10:11], -1, 0
	v_cmp_ne_u32_e64 s[2:3], v1, v2
	s_and_b64 s[0:1], s[0:1], s[2:3]
	s_or_b64 s[2:3], vcc, s[10:11]
	s_or_b64 s[0:1], s[2:3], s[0:1]
	s_and_b64 vcc, exec, s[0:1]
	s_cbranch_vccnz .LBB48_24
; %bb.7:
	s_load_dwordx8 s[24:31], s[4:5], 0x20
	s_load_dword s0, s[4:5], 0x40
	s_mov_b32 s10, 0
	s_waitcnt lgkmcnt(0)
	s_mul_hi_u32 s1, s20, s24
	s_add_i32 s1, s1, s20
	s_lshr_b32 s11, s1, s25
	s_mul_i32 s1, s11, s26
	s_sub_i32 s1, s20, s1
	s_mul_hi_u32 s2, s1, s27
	s_add_i32 s2, s1, s2
	s_lshr_b32 s25, s2, s28
	s_mul_i32 s2, s25, s29
	s_sub_i32 s1, s1, s2
	;; [unrolled: 5-line block ×3, first 2 shown]
	s_mul_hi_u32 s1, s0, s16
	s_add_i32 s0, s0, s1
	s_lshr_b32 s26, s0, s17
	s_lshl_b32 s0, s26, 4
	s_add_i32 s0, s0, s7
	s_cmp_lt_i32 s0, s12
	s_cselect_b64 s[0:1], -1, 0
	s_add_i32 s2, s24, s8
	s_cmp_lt_i32 s2, s14
	s_cselect_b64 s[2:3], -1, 0
	s_and_b64 s[0:1], s[0:1], s[2:3]
	s_andn2_b64 vcc, exec, s[0:1]
	s_cbranch_vccnz .LBB48_24
; %bb.8:
	s_load_dwordx4 s[0:3], s[4:5], 0x0
	s_lshl_b32 s4, s9, 6
	s_mov_b32 s5, s10
	s_add_i32 s21, s7, s8
	s_lshl_b64 s[4:5], s[4:5], 2
	s_waitcnt lgkmcnt(0)
	s_add_u32 s22, s2, s4
	s_mul_i32 s4, s11, s12
	s_addc_u32 s23, s3, s5
	s_add_i32 s4, s4, s7
	s_mul_i32 s4, s4, s13
	s_mul_i32 s25, s25, s14
	s_add_i32 s4, s4, s8
	s_add_i32 s4, s4, s25
	s_mul_i32 s5, s13, s26
	s_add_i32 s4, s4, s24
	s_lshl_b32 s5, s5, 12
	s_lshl_b32 s4, s4, 8
	s_add_i32 s5, s5, s4
	v_or_b32_e32 v2, s5, v0
	v_ashrrev_i32_e32 v3, 31, v2
	v_lshlrev_b64 v[2:3], 2, v[2:3]
	v_mov_b32_e32 v1, s1
	v_add_co_u32_e32 v2, vcc, s0, v2
	v_addc_co_u32_e32 v3, vcc, v1, v3, vcc
	global_load_dword v5, v[2:3], off
	v_lshl_or_b32 v4, s21, 8, v0
	v_cvt_f32_u32_e32 v0, s9
	v_cvt_f32_ubyte0_e32 v1, 0
	s_lshl_b32 s0, s6, 4
	s_add_i32 s0, s0, s21
	v_mac_f32_e32 v0, 0x4f800000, v1
	v_rcp_f32_e32 v0, v0
	v_cvt_f32_u32_e32 v1, s9
	s_ashr_i32 s1, s0, 31
	s_lshl_b64 s[0:1], s[0:1], 3
	v_mul_f32_e32 v0, 0x5f7ffffc, v0
	v_rcp_iflag_f32_e32 v1, v1
	s_add_u32 s0, s2, s0
	v_mul_f32_e32 v9, 0x2f800000, v0
	s_addc_u32 s1, s3, s1
	v_trunc_f32_e32 v10, v9
	s_load_dwordx2 s[0:1], s[0:1], 0x0
	v_mac_f32_e32 v0, 0xcf800000, v10
	v_cvt_u32_f32_e32 v9, v0
	v_mul_f32_e32 v0, 0x4f7ffffe, v1
	v_cvt_u32_f32_e32 v10, v10
	v_cvt_u32_f32_e32 v11, v0
	s_add_i32 s8, s6, -1
	s_waitcnt lgkmcnt(0)
	v_mov_b32_e32 v6, s1
	v_mov_b32_e32 v7, s0
	;; [unrolled: 1-line block ×3, first 2 shown]
	s_mov_b32 s6, 0x3fb8aa3b
	s_mov_b32 s7, 0xc2ce8ed0
	;; [unrolled: 1-line block ×4, first 2 shown]
	v_mov_b32_e32 v12, 0x7f800000
	s_mul_hi_i32 s11, s8, s15
	s_cmp_lg_u64 s[10:11], 0
	s_mul_i32 s4, s8, s15
	s_cbranch_scc0 .LBB48_15
.LBB48_9:
	s_sub_u32 s0, 0, s9
	v_readfirstlane_b32 s5, v9
	v_readfirstlane_b32 s24, v10
	s_subb_u32 s1, 0, 0
	s_mul_hi_u32 s20, s0, s5
	s_mul_i32 s25, s0, s24
	s_mul_i32 s14, s1, s5
	s_add_i32 s20, s20, s25
	s_add_i32 s20, s20, s14
	s_mul_i32 s26, s0, s5
	s_mul_hi_u32 s14, s5, s20
	s_mul_i32 s25, s5, s20
	s_mul_hi_u32 s5, s5, s26
	s_add_u32 s5, s5, s25
	s_addc_u32 s14, 0, s14
	s_mul_hi_u32 s27, s24, s26
	s_mul_i32 s26, s24, s26
	s_add_u32 s5, s5, s26
	s_mul_hi_u32 s25, s24, s20
	s_addc_u32 s5, s14, s27
	s_addc_u32 s14, s25, 0
	s_mul_i32 s20, s24, s20
	s_add_u32 s5, s5, s20
	s_addc_u32 s14, 0, s14
	v_add_co_u32_e32 v0, vcc, s5, v9
	s_cmp_lg_u64 vcc, 0
	s_addc_u32 s5, s24, s14
	v_readfirstlane_b32 s20, v0
	s_mul_i32 s14, s0, s5
	s_mul_hi_u32 s24, s0, s20
	s_add_i32 s14, s24, s14
	s_mul_i32 s1, s1, s20
	s_add_i32 s14, s14, s1
	s_mul_i32 s0, s0, s20
	s_mul_hi_u32 s24, s5, s0
	s_mul_i32 s25, s5, s0
	s_mul_i32 s27, s20, s14
	s_mul_hi_u32 s0, s20, s0
	s_mul_hi_u32 s26, s20, s14
	s_add_u32 s0, s0, s27
	s_addc_u32 s20, 0, s26
	s_add_u32 s0, s0, s25
	s_mul_hi_u32 s1, s5, s14
	s_addc_u32 s0, s20, s24
	s_addc_u32 s1, s1, 0
	s_mul_i32 s14, s5, s14
	s_add_u32 s0, s0, s14
	s_addc_u32 s1, 0, s1
	v_add_co_u32_e32 v0, vcc, s0, v0
	s_cmp_lg_u64 vcc, 0
	s_addc_u32 s5, s5, s1
	s_ashr_i32 s0, s11, 31
	s_add_u32 s24, s4, s0
	s_mov_b32 s1, s0
	s_addc_u32 s25, s11, s0
	s_xor_b64 s[24:25], s[24:25], s[0:1]
	v_readfirstlane_b32 s14, v0
	s_mul_i32 s11, s24, s5
	s_mul_hi_u32 s20, s24, s14
	s_mul_hi_u32 s1, s24, s5
	s_add_u32 s11, s20, s11
	s_addc_u32 s1, 0, s1
	s_mul_hi_u32 s26, s25, s14
	s_mul_i32 s14, s25, s14
	s_add_u32 s11, s11, s14
	s_mul_hi_u32 s20, s25, s5
	s_addc_u32 s1, s1, s26
	s_addc_u32 s11, s20, 0
	s_mul_i32 s5, s25, s5
	s_add_u32 s1, s1, s5
	s_addc_u32 s5, 0, s11
	s_mul_i32 s5, s9, s5
	s_mul_hi_u32 s20, s9, s1
	s_add_i32 s20, s20, s5
	s_mul_i32 s5, s9, s1
	v_mov_b32_e32 v0, s5
	s_add_u32 s11, s1, 1
	s_add_u32 s14, s1, 2
	v_sub_co_u32_e32 v0, vcc, s24, v0
	s_cmp_lg_u64 vcc, 0
	s_subb_u32 s5, s25, s20
	v_subrev_co_u32_e32 v1, vcc, s9, v0
	s_cmp_lg_u64 vcc, 0
	s_subb_u32 s20, s5, 0
	v_cmp_le_u32_e32 vcc, s9, v1
	s_cmp_eq_u32 s20, 0
	v_cndmask_b32_e64 v1, 0, -1, vcc
	s_cselect_b64 vcc, -1, 0
	v_cndmask_b32_e32 v1, -1, v1, vcc
	v_mov_b32_e32 v13, s11
	v_mov_b32_e32 v14, s14
	v_cmp_ne_u32_e32 vcc, 0, v1
	v_cndmask_b32_e32 v1, v13, v14, vcc
	v_cmp_le_u32_e32 vcc, s9, v0
	s_cmp_eq_u32 s5, 0
	v_cndmask_b32_e64 v0, 0, -1, vcc
	s_cselect_b64 vcc, -1, 0
	v_cndmask_b32_e32 v0, -1, v0, vcc
	v_mov_b32_e32 v13, s1
	v_cmp_ne_u32_e32 vcc, 0, v0
	v_cndmask_b32_e32 v0, v13, v1, vcc
	v_xor_b32_e32 v0, s0, v0
	v_subrev_co_u32_e32 v0, vcc, s0, v0
	s_cbranch_execnz .LBB48_11
.LBB48_10:
	s_sub_i32 s0, 0, s9
	v_mul_lo_u32 v0, s0, v11
	v_mul_hi_u32 v0, v11, v0
	v_add_u32_e32 v0, v11, v0
	v_mul_hi_u32 v0, s4, v0
	v_mul_lo_u32 v13, v0, s9
	v_sub_u32_e32 v13, s4, v13
	v_add_u32_e32 v1, 1, v0
	v_subrev_u32_e32 v14, s9, v13
	v_cmp_le_u32_e32 vcc, s9, v13
	v_cndmask_b32_e32 v13, v13, v14, vcc
	v_cndmask_b32_e32 v0, v0, v1, vcc
	v_add_u32_e32 v1, 1, v0
	v_cmp_le_u32_e32 vcc, s9, v13
	v_cndmask_b32_e32 v0, v0, v1, vcc
.LBB48_11:
	v_cmp_ne_u32_e32 vcc, v8, v0
	s_cbranch_vccz .LBB48_14
; %bb.12:
	s_add_i32 s0, s8, s9
	s_lshl_b32 s0, s0, 4
	v_mul_hi_u32 v1, v0, s16
	s_add_i32 s0, s0, s21
	s_mov_b32 s1, s10
	v_add_u32_e32 v1, v1, v0
	s_lshl_b64 s[0:1], s[0:1], 3
	v_lshrrev_b32_e32 v1, s17, v1
	s_add_u32 s4, s2, s0
	v_mul_lo_u32 v13, v1, s18
	s_addc_u32 s5, s3, s1
	v_cmp_eq_u32_e32 vcc, v13, v0
	v_cmp_gt_u32_e64 s[0:1], s19, v1
	s_or_b64 s[0:1], s[0:1], vcc
	s_and_b64 vcc, exec, s[0:1]
	s_cbranch_vccnz .LBB48_16
; %bb.13:
	s_add_i32 s11, s8, -1
	s_mov_b64 s[0:1], 0
	s_branch .LBB48_17
.LBB48_14:
                                        ; implicit-def: $sgpr0_sgpr1
                                        ; implicit-def: $vgpr14
                                        ; implicit-def: $vgpr1
                                        ; implicit-def: $vgpr13
                                        ; implicit-def: $sgpr11
                                        ; implicit-def: $vgpr0
	s_branch .LBB48_18
.LBB48_15:
                                        ; implicit-def: $vgpr0_vgpr1
	s_branch .LBB48_10
.LBB48_16:
	s_mov_b64 s[0:1], -1
	s_mov_b32 s11, s8
	v_mov_b32_e32 v0, v8
.LBB48_17:
	v_lshl_add_u32 v14, s8, 12, v4
	v_ashrrev_i32_e32 v15, 31, v14
	v_lshlrev_b64 v[14:15], 2, v[14:15]
	v_mov_b32_e32 v1, s23
	v_add_co_u32_e32 v14, vcc, s22, v14
	v_addc_co_u32_e32 v15, vcc, v1, v15, vcc
	global_load_dword v14, v[14:15], off
	s_load_dwordx2 s[4:5], s[4:5], 0x0
	v_max_f32_e32 v1, v7, v7
	s_waitcnt lgkmcnt(0)
	v_max_f32_e64 v13, s4, s4
	v_max_f32_e32 v1, v1, v13
	v_sub_f32_e32 v13, v7, v1
	v_sub_f32_e32 v15, s4, v1
	v_mul_f32_e32 v16, 0x3fb8aa3b, v13
	v_mul_f32_e32 v17, 0x3fb8aa3b, v15
	v_fma_f32 v18, v13, s6, -v16
	v_rndne_f32_e32 v19, v16
	v_fma_f32 v20, v15, s6, -v17
	v_rndne_f32_e32 v21, v17
	v_fmac_f32_e32 v18, 0x32a5705f, v13
	v_sub_f32_e32 v16, v16, v19
	v_fmac_f32_e32 v20, 0x32a5705f, v15
	v_sub_f32_e32 v17, v17, v21
	v_add_f32_e32 v16, v16, v18
	v_cvt_i32_f32_e32 v19, v19
	v_add_f32_e32 v17, v17, v20
	v_exp_f32_e32 v16, v16
	v_cvt_i32_f32_e32 v21, v21
	v_exp_f32_e32 v17, v17
	v_cmp_ngt_f32_e32 vcc, s7, v13
	v_ldexp_f32 v16, v16, v19
	v_cndmask_b32_e32 v16, 0, v16, vcc
	v_ldexp_f32 v17, v17, v21
	v_cmp_ngt_f32_e32 vcc, s7, v15
	v_cndmask_b32_e32 v17, 0, v17, vcc
	v_cmp_nlt_f32_e32 vcc, s12, v13
	v_cndmask_b32_e32 v16, v12, v16, vcc
	v_cmp_nlt_f32_e32 vcc, s12, v15
	v_cndmask_b32_e32 v17, v12, v17, vcc
	v_cmp_le_f32_e32 vcc, s13, v13
	v_cndmask_b32_e32 v16, 0, v16, vcc
	v_cmp_le_f32_e32 vcc, s13, v15
	v_cndmask_b32_e32 v15, 0, v17, vcc
	v_mul_f32_e32 v13, s5, v15
	v_fmac_f32_e32 v13, v6, v16
	s_waitcnt vmcnt(0)
	v_mul_f32_e32 v14, v14, v15
	v_fmac_f32_e32 v14, v5, v16
	s_cbranch_execnz .LBB48_19
.LBB48_18:
	s_add_i32 s11, s8, -1
	s_mov_b64 s[0:1], 0
	v_mov_b32_e32 v0, v8
	v_mov_b32_e32 v13, v6
	;; [unrolled: 1-line block ×3, first 2 shown]
	s_waitcnt vmcnt(0)
	v_mov_b32_e32 v14, v5
.LBB48_19:
	s_andn2_b64 vcc, exec, s[0:1]
	s_cbranch_vccz .LBB48_23
; %bb.20:
	v_mov_b32_e32 v8, v0
	s_mov_b32 s8, s11
	v_mov_b32_e32 v6, v13
	v_mov_b32_e32 v7, v1
	s_waitcnt vmcnt(0)
	v_mov_b32_e32 v5, v14
	s_mul_hi_i32 s11, s8, s15
	s_cmp_lg_u64 s[10:11], 0
	s_mul_i32 s4, s8, s15
	s_cbranch_scc1 .LBB48_9
	s_branch .LBB48_15
.LBB48_21:
                                        ; implicit-def: $sgpr20_sgpr21
	s_load_dwordx4 s[16:19], s[4:5], 0x44
	s_branch .LBB48_2
.LBB48_22:
                                        ; implicit-def: $vgpr2_vgpr3
	s_branch .LBB48_5
.LBB48_23:
	v_div_scale_f32 v0, s[0:1], v13, v13, v14
	v_rcp_f32_e32 v1, v0
	v_div_scale_f32 v4, vcc, v14, v13, v14
	s_waitcnt vmcnt(0)
	v_fma_f32 v5, -v0, v1, 1.0
	v_fmac_f32_e32 v1, v5, v1
	v_mul_f32_e32 v5, v4, v1
	v_fma_f32 v6, -v0, v5, v4
	v_fmac_f32_e32 v5, v6, v1
	v_fma_f32 v0, -v0, v5, v4
	v_div_fmas_f32 v0, v0, v1, v5
	v_div_fixup_f32 v0, v0, v13, v14
	global_store_dword v[2:3], v0, off
.LBB48_24:
	s_endpgm
	.section	.rodata,"a",@progbits
	.p2align	6, 0x0
	.amdhsa_kernel _ZL33flash_attn_stream_k_fixup_generalILi256ELi16ELi1EEvPfPK15HIP_vector_typeIfLj2EEiiiiS1_IjLj3EES5_S5_S5_
		.amdhsa_group_segment_fixed_size 0
		.amdhsa_private_segment_fixed_size 0
		.amdhsa_kernarg_size 336
		.amdhsa_user_sgpr_count 6
		.amdhsa_user_sgpr_private_segment_buffer 1
		.amdhsa_user_sgpr_dispatch_ptr 0
		.amdhsa_user_sgpr_queue_ptr 0
		.amdhsa_user_sgpr_kernarg_segment_ptr 1
		.amdhsa_user_sgpr_dispatch_id 0
		.amdhsa_user_sgpr_flat_scratch_init 0
		.amdhsa_user_sgpr_kernarg_preload_length 0
		.amdhsa_user_sgpr_kernarg_preload_offset 0
		.amdhsa_user_sgpr_private_segment_size 0
		.amdhsa_uses_dynamic_stack 0
		.amdhsa_system_sgpr_private_segment_wavefront_offset 0
		.amdhsa_system_sgpr_workgroup_id_x 1
		.amdhsa_system_sgpr_workgroup_id_y 1
		.amdhsa_system_sgpr_workgroup_id_z 1
		.amdhsa_system_sgpr_workgroup_info 0
		.amdhsa_system_vgpr_workitem_id 0
		.amdhsa_next_free_vgpr 22
		.amdhsa_next_free_sgpr 32
		.amdhsa_accum_offset 24
		.amdhsa_reserve_vcc 1
		.amdhsa_reserve_flat_scratch 0
		.amdhsa_float_round_mode_32 0
		.amdhsa_float_round_mode_16_64 0
		.amdhsa_float_denorm_mode_32 3
		.amdhsa_float_denorm_mode_16_64 3
		.amdhsa_dx10_clamp 1
		.amdhsa_ieee_mode 1
		.amdhsa_fp16_overflow 0
		.amdhsa_tg_split 0
		.amdhsa_exception_fp_ieee_invalid_op 0
		.amdhsa_exception_fp_denorm_src 0
		.amdhsa_exception_fp_ieee_div_zero 0
		.amdhsa_exception_fp_ieee_overflow 0
		.amdhsa_exception_fp_ieee_underflow 0
		.amdhsa_exception_fp_ieee_inexact 0
		.amdhsa_exception_int_div_zero 0
	.end_amdhsa_kernel
	.section	.text._ZL33flash_attn_stream_k_fixup_generalILi256ELi16ELi1EEvPfPK15HIP_vector_typeIfLj2EEiiiiS1_IjLj3EES5_S5_S5_,"axG",@progbits,_ZL33flash_attn_stream_k_fixup_generalILi256ELi16ELi1EEvPfPK15HIP_vector_typeIfLj2EEiiiiS1_IjLj3EES5_S5_S5_,comdat
.Lfunc_end48:
	.size	_ZL33flash_attn_stream_k_fixup_generalILi256ELi16ELi1EEvPfPK15HIP_vector_typeIfLj2EEiiiiS1_IjLj3EES5_S5_S5_, .Lfunc_end48-_ZL33flash_attn_stream_k_fixup_generalILi256ELi16ELi1EEvPfPK15HIP_vector_typeIfLj2EEiiiiS1_IjLj3EES5_S5_S5_
                                        ; -- End function
	.section	.AMDGPU.csdata,"",@progbits
; Kernel info:
; codeLenInByte = 2816
; NumSgprs: 36
; NumVgprs: 22
; NumAgprs: 0
; TotalNumVgprs: 22
; ScratchSize: 0
; MemoryBound: 0
; FloatMode: 240
; IeeeMode: 1
; LDSByteSize: 0 bytes/workgroup (compile time only)
; SGPRBlocks: 4
; VGPRBlocks: 2
; NumSGPRsForWavesPerEU: 36
; NumVGPRsForWavesPerEU: 22
; AccumOffset: 24
; Occupancy: 8
; WaveLimiterHint : 0
; COMPUTE_PGM_RSRC2:SCRATCH_EN: 0
; COMPUTE_PGM_RSRC2:USER_SGPR: 6
; COMPUTE_PGM_RSRC2:TRAP_HANDLER: 0
; COMPUTE_PGM_RSRC2:TGID_X_EN: 1
; COMPUTE_PGM_RSRC2:TGID_Y_EN: 1
; COMPUTE_PGM_RSRC2:TGID_Z_EN: 1
; COMPUTE_PGM_RSRC2:TIDIG_COMP_CNT: 0
; COMPUTE_PGM_RSRC3_GFX90A:ACCUM_OFFSET: 5
; COMPUTE_PGM_RSRC3_GFX90A:TG_SPLIT: 0
	.section	.text._ZL15flash_attn_tileILi256ELi256ELi8ELi1ELb0EEvPKcS1_S1_S1_S1_PKiPfP15HIP_vector_typeIfLj2EEffffjfiS5_IjLj3EEiiiiiiiiiiiliiliiiiil,"axG",@progbits,_ZL15flash_attn_tileILi256ELi256ELi8ELi1ELb0EEvPKcS1_S1_S1_S1_PKiPfP15HIP_vector_typeIfLj2EEffffjfiS5_IjLj3EEiiiiiiiiiiiliiliiiiil,comdat
	.globl	_ZL15flash_attn_tileILi256ELi256ELi8ELi1ELb0EEvPKcS1_S1_S1_S1_PKiPfP15HIP_vector_typeIfLj2EEffffjfiS5_IjLj3EEiiiiiiiiiiiliiliiiiil ; -- Begin function _ZL15flash_attn_tileILi256ELi256ELi8ELi1ELb0EEvPKcS1_S1_S1_S1_PKiPfP15HIP_vector_typeIfLj2EEffffjfiS5_IjLj3EEiiiiiiiiiiiliiliiiiil
	.p2align	8
	.type	_ZL15flash_attn_tileILi256ELi256ELi8ELi1ELb0EEvPKcS1_S1_S1_S1_PKiPfP15HIP_vector_typeIfLj2EEffffjfiS5_IjLj3EEiiiiiiiiiiiliiliiiiil,@function
_ZL15flash_attn_tileILi256ELi256ELi8ELi1ELb0EEvPKcS1_S1_S1_S1_PKiPfP15HIP_vector_typeIfLj2EEffffjfiS5_IjLj3EEiiiiiiiiiiiliiliiiiil: ; @_ZL15flash_attn_tileILi256ELi256ELi8ELi1ELb0EEvPKcS1_S1_S1_S1_PKiPfP15HIP_vector_typeIfLj2EEffffjfiS5_IjLj3EEiiiiiiiiiiiliiliiiiil
; %bb.0:
	s_load_dwordx4 s[28:31], s[6:7], 0x5c
	s_load_dwordx2 s[42:43], s[6:7], 0x80
	s_load_dwordx16 s[12:27], s[6:7], 0x0
	s_load_dwordx2 s[44:45], s[6:7], 0xb8
	s_mov_b64 s[40:41], 0
	s_waitcnt lgkmcnt(0)
	v_cvt_f32_u32_e32 v1, s31
	s_sub_i32 s0, 0, s31
	v_rcp_iflag_f32_e32 v1, v1
	v_mul_f32_e32 v1, 0x4f7ffffe, v1
	v_cvt_u32_f32_e32 v1, v1
	v_readfirstlane_b32 s1, v1
	s_mul_i32 s0, s0, s1
	s_mul_hi_u32 s0, s1, s0
	s_add_i32 s1, s1, s0
	s_mul_hi_u32 s0, s10, s1
	s_mul_i32 s1, s0, s31
	s_sub_i32 s1, s10, s1
	s_add_i32 s2, s0, 1
	s_sub_i32 s3, s1, s31
	s_cmp_ge_u32 s1, s31
	s_cselect_b32 s0, s2, s0
	s_cselect_b32 s1, s3, s1
	s_add_i32 s2, s0, 1
	s_cmp_ge_u32 s1, s31
	s_cselect_b32 s33, s2, s0
	s_abs_i32 s0, s43
	v_cvt_f32_u32_e32 v1, s0
	s_mul_i32 s3, s33, s31
	s_sub_i32 s11, 0, s0
	s_sub_i32 s34, s10, s3
	v_rcp_iflag_f32_e32 v1, v1
	s_abs_i32 s2, s31
	s_xor_b32 s1, s31, s43
	s_ashr_i32 s1, s1, 31
	v_mul_f32_e32 v1, 0x4f7ffffe, v1
	v_cvt_u32_f32_e32 v1, v1
	v_readfirstlane_b32 s3, v1
	s_mul_i32 s11, s11, s3
	s_mul_hi_u32 s10, s3, s11
	s_add_i32 s3, s3, s10
	s_mul_hi_u32 s3, s2, s3
	s_mul_i32 s10, s3, s0
	s_sub_i32 s2, s2, s10
	s_add_i32 s11, s3, 1
	s_sub_i32 s10, s2, s0
	s_cmp_ge_u32 s2, s0
	s_cselect_b32 s3, s11, s3
	s_cselect_b32 s2, s10, s2
	s_add_i32 s10, s3, 1
	s_cmp_ge_u32 s2, s0
	s_cselect_b32 s0, s10, s3
	s_xor_b32 s0, s0, s1
	s_sub_i32 s47, s0, s1
	s_abs_i32 s43, s47
	v_cvt_f32_u32_e32 v1, s43
	s_sub_i32 s0, 0, s43
	s_abs_i32 s46, s34
	v_rcp_iflag_f32_e32 v1, v1
	v_mul_f32_e32 v1, 0x4f7ffffe, v1
	v_cvt_u32_f32_e32 v1, v1
	v_readfirstlane_b32 s1, v1
	s_mul_i32 s0, s0, s1
	s_mul_hi_u32 s0, s1, s0
	s_add_i32 s0, s1, s0
	s_cmp_eq_u64 s[18:19], 0
	s_cbranch_scc1 .LBB49_2
; %bb.1:
	s_abs_i32 s1, s44
	v_cvt_f32_u32_e32 v1, s1
	s_sub_i32 s35, 0, s1
	s_abs_i32 s11, s33
	s_ashr_i32 s10, s33, 31
	v_rcp_iflag_f32_e32 v1, v1
	s_load_dwordx2 s[2:3], s[6:7], 0xc8
	v_mul_f32_e32 v1, 0x4f7ffffe, v1
	v_cvt_u32_f32_e32 v1, v1
	v_readfirstlane_b32 s36, v1
	s_mul_i32 s35, s35, s36
	s_mul_hi_u32 s35, s36, s35
	s_add_i32 s36, s36, s35
	s_mul_hi_u32 s35, s11, s36
	s_mul_i32 s35, s35, s1
	s_sub_i32 s11, s11, s35
	s_sub_i32 s35, s11, s1
	s_cmp_ge_u32 s11, s1
	s_cselect_b32 s11, s35, s11
	s_sub_i32 s35, s11, s1
	s_cmp_ge_u32 s11, s1
	s_cselect_b32 s1, s35, s11
	s_xor_b32 s1, s1, s10
	s_sub_i32 s1, s1, s10
	s_ashr_i32 s10, s1, 31
	s_waitcnt lgkmcnt(0)
	s_mul_i32 s3, s1, s3
	s_mul_hi_u32 s11, s1, s2
	s_add_i32 s3, s11, s3
	s_mul_i32 s10, s10, s2
	s_add_i32 s3, s3, s10
	s_mul_i32 s1, s1, s2
	s_add_u32 s40, s18, s1
	s_addc_u32 s41, s19, s3
.LBB49_2:
	s_load_dwordx4 s[36:39], s[6:7], 0x40
	s_mul_hi_u32 s19, s46, s0
	s_load_dword s0, s[6:7], 0x50
	v_mov_b32_e32 v38, 1.0
	s_waitcnt lgkmcnt(0)
	v_cmp_le_f32_e64 s[2:3], s37, 0
	s_and_b64 vcc, exec, s[2:3]
	s_cbranch_vccnz .LBB49_4
; %bb.3:
	s_sub_i32 s1, s34, s0
	s_lshl_b32 s1, s1, 1
	s_add_i32 s2, s34, 1
	s_or_b32 s3, s1, 1
	s_cmp_lt_u32 s34, s0
	s_cselect_b64 vcc, -1, 0
	s_and_b64 s[0:1], vcc, exec
	v_mov_b32_e32 v1, s39
	v_mov_b32_e32 v2, s38
	s_cselect_b32 s0, s2, s3
	v_cndmask_b32_e32 v18, v1, v2, vcc
	v_cvt_f32_i32_e32 v1, s0
	v_cmp_neq_f32_e32 vcc, 1.0, v18
	s_mov_b32 s0, 0x3f2aaaab
	s_movk_i32 s2, 0x204
	v_cndmask_b32_e32 v19, 1.0, v1, vcc
	v_cmp_eq_f32_e32 vcc, 0, v19
	v_cndmask_b32_e64 v20, |v18|, 1.0, vcc
	v_frexp_mant_f32_e32 v1, v20
	v_cmp_gt_f32_e64 s[0:1], s0, v1
	v_cndmask_b32_e64 v2, 1.0, 2.0, s[0:1]
	v_mul_f32_e32 v1, v1, v2
	v_add_f32_e32 v2, 1.0, v1
	v_rcp_f32_e32 v10, v2
	v_add_f32_e32 v3, -1.0, v2
	v_sub_f32_e32 v5, v1, v3
	v_add_f32_e32 v3, -1.0, v1
	v_mul_f32_e32 v1, v3, v10
	v_mul_f32_e32 v4, v2, v1
	v_fma_f32 v6, v1, v2, -v4
	v_fmac_f32_e32 v6, v1, v5
	v_add_f32_e32 v2, v4, v6
	v_sub_f32_e32 v5, v3, v2
	v_pk_add_f32 v[8:9], v[2:3], v[4:5] neg_lo:[0,1] neg_hi:[0,1]
	v_mov_b32_e32 v7, v2
	v_pk_add_f32 v[2:3], v[8:9], v[6:7] neg_lo:[0,1] neg_hi:[0,1]
	v_add_f32_e32 v2, v2, v3
	v_add_f32_e32 v2, v5, v2
	v_mul_f32_e32 v3, v10, v2
	v_add_f32_e32 v2, v1, v3
	v_sub_f32_e32 v1, v2, v1
	v_sub_f32_e32 v1, v3, v1
	v_mul_f32_e32 v3, v2, v2
	v_fma_f32 v5, v2, v2, -v3
	v_add_f32_e32 v4, v1, v1
	v_fmac_f32_e32 v5, v2, v4
	v_add_f32_e32 v4, v3, v5
	v_mov_b32_e32 v6, 0x3e91f4c4
	v_fmac_f32_e32 v6, 0x3e76c4e1, v4
	v_mov_b32_e32 v7, 0x3ecccdef
	v_fmac_f32_e32 v7, v4, v6
	v_sub_f32_e32 v3, v4, v3
	v_sub_f32_e32 v12, v5, v3
	v_mul_f32_e32 v3, v4, v7
	v_fma_f32 v5, v4, v7, -v3
	v_fmac_f32_e32 v5, v12, v7
	v_add_f32_e32 v6, v3, v5
	v_add_f32_e32 v7, 0x3f2aaaaa, v6
	v_sub_f32_e32 v3, v6, v3
	v_sub_f32_e32 v3, v5, v3
	v_add_f32_e32 v5, 0xbf2aaaaa, v7
	v_add_f32_e32 v3, 0x31739010, v3
	v_sub_f32_e32 v5, v6, v5
	v_pk_mul_f32 v[8:9], v[2:3], v[4:5]
	v_fma_f32 v6, v4, v2, -v8
	v_pk_add_f32 v[10:11], v[2:3], v[4:5]
	v_fmac_f32_e32 v6, v4, v1
	v_mov_b32_e32 v9, v11
	v_fmac_f32_e32 v6, v12, v2
	v_pk_add_f32 v[4:5], v[8:9], v[6:7]
	v_sub_f32_e32 v3, v4, v8
	v_sub_f32_e32 v3, v6, v3
	;; [unrolled: 1-line block ×3, first 2 shown]
	v_add_f32_e32 v9, v11, v6
	v_mov_b32_e32 v6, v5
	v_pk_mul_f32 v[6:7], v[4:5], v[6:7]
	v_cvt_f64_f32_e32 v[10:11], v20
	v_frexp_exp_i32_f64_e32 v7, v[10:11]
	v_subbrev_co_u32_e64 v7, s[0:1], 0, v7, s[0:1]
	v_cvt_f32_i32_e32 v7, v7
	v_fma_f32 v8, v4, v5, -v6
	v_fmac_f32_e32 v8, v4, v9
	s_mov_b32 s0, 0x3f317218
	v_mul_f32_e32 v4, 0x3f317218, v7
	v_fmac_f32_e32 v8, v3, v5
	v_fma_f32 v10, v7, s0, -v4
	v_fmac_f32_e32 v10, 0xb102e308, v7
	v_ldexp_f32 v11, v2, 1
	v_add_f32_e32 v5, v6, v8
	v_pk_add_f32 v[2:3], v[4:5], v[10:11]
	v_mov_b32_e32 v12, v5
	v_mov_b32_e32 v13, v3
	;; [unrolled: 1-line block ×3, first 2 shown]
	v_pk_add_f32 v[6:7], v[12:13], v[6:7] neg_lo:[0,1] neg_hi:[0,1]
	v_mov_b32_e32 v9, v5
	v_ldexp_f32 v1, v1, 1
	v_pk_add_f32 v[6:7], v[8:9], v[6:7] neg_lo:[0,1] neg_hi:[0,1]
	v_add_f32_e32 v1, v1, v6
	v_add_f32_e32 v5, v1, v7
	v_pk_add_f32 v[6:7], v[2:3], v[4:5] neg_lo:[0,1] neg_hi:[0,1]
	v_pk_add_f32 v[8:9], v[2:3], v[4:5]
	v_mov_b32_e32 v12, v6
	v_mov_b32_e32 v13, v9
	;; [unrolled: 1-line block ×3, first 2 shown]
	v_pk_add_f32 v[12:13], v[10:11], v[12:13]
	v_mov_b32_e32 v4, v13
	v_pk_add_f32 v[14:15], v[4:5], v[2:3] neg_lo:[0,1] neg_hi:[0,1]
	v_mov_b32_e32 v1, v14
	v_mov_b32_e32 v12, v9
	;; [unrolled: 1-line block ×4, first 2 shown]
	v_pk_add_f32 v[6:7], v[10:11], v[6:7] neg_lo:[0,1] neg_hi:[0,1]
	v_pk_add_f32 v[16:17], v[8:9], v[0:1] neg_lo:[0,1] neg_hi:[0,1]
	v_pk_add_f32 v[2:3], v[12:13], v[2:3] neg_lo:[0,1] neg_hi:[0,1]
	v_mov_b32_e32 v10, v5
	v_pk_add_f32 v[2:3], v[10:11], v[2:3] neg_lo:[0,1] neg_hi:[0,1]
	v_mov_b32_e32 v16, v6
	v_pk_add_f32 v[8:9], v[16:17], v[2:3]
	v_mov_b32_e32 v10, v9
	v_pk_add_f32 v[10:11], v[8:9], v[10:11]
	v_pk_add_f32 v[4:5], v[4:5], v[10:11]
	v_mov_b32_e32 v7, v13
	v_mov_b32_e32 v9, v4
	v_pk_add_f32 v[12:13], v[8:9], v[6:7] neg_lo:[0,1] neg_hi:[0,1]
	v_mov_b32_e32 v3, v10
	v_sub_f32_e32 v1, v8, v12
	v_pk_add_f32 v[2:3], v[2:3], v[12:13] neg_lo:[0,1] neg_hi:[0,1]
	v_sub_f32_e32 v1, v6, v1
	v_add_f32_e32 v1, v2, v1
	v_add_f32_e32 v1, v1, v3
	;; [unrolled: 1-line block ×3, first 2 shown]
	v_sub_f32_e32 v3, v2, v4
	v_sub_f32_e32 v1, v1, v3
	v_mul_f32_e32 v3, v19, v2
	v_fma_f32 v2, v19, v2, -v3
	v_fmac_f32_e32 v2, v19, v1
	v_add_f32_e32 v1, v3, v2
	v_cmp_class_f32_e64 s[0:1], v3, s2
	v_sub_f32_e32 v4, v1, v3
	v_cndmask_b32_e64 v1, v1, v3, s[0:1]
	s_mov_b32 s10, 0x42b17218
	v_mov_b32_e32 v3, 0x37000000
	v_cmp_eq_f32_e64 s[0:1], s10, v1
	v_cndmask_b32_e64 v3, 0, v3, s[0:1]
	v_sub_f32_e32 v2, v2, v4
	v_sub_f32_e32 v4, v1, v3
	s_mov_b32 s0, 0x3fb8aa3b
	v_mul_f32_e32 v5, 0x3fb8aa3b, v4
	v_fma_f32 v6, v4, s0, -v5
	v_rndne_f32_e32 v7, v5
	v_fmac_f32_e32 v6, 0x32a5705f, v4
	v_sub_f32_e32 v5, v5, v7
	v_add_f32_e32 v5, v5, v6
	v_exp_f32_e32 v5, v5
	v_cvt_i32_f32_e32 v6, v7
	s_mov_b32 s3, 0x7f800000
	v_cmp_neq_f32_e64 s[0:1], |v1|, s3
	v_cndmask_b32_e64 v1, 0, v2, s[0:1]
	s_mov_b32 s0, 0xc2ce8ed0
	v_ldexp_f32 v2, v5, v6
	v_cmp_ngt_f32_e64 s[0:1], s0, v4
	v_add_f32_e32 v1, v3, v1
	v_cndmask_b32_e64 v2, 0, v2, s[0:1]
	v_mov_b32_e32 v3, 0x7f800000
	v_cmp_nlt_f32_e64 s[0:1], s10, v4
	v_cndmask_b32_e64 v2, v3, v2, s[0:1]
	v_fma_f32 v1, v2, v1, v2
	v_cmp_class_f32_e64 s[0:1], v2, s2
	v_trunc_f32_e32 v4, v19
	v_cndmask_b32_e64 v1, v1, v2, s[0:1]
	v_cndmask_b32_e64 v2, v18, 1.0, vcc
	v_cmp_eq_f32_e32 vcc, v4, v19
	v_mul_f32_e32 v4, 0.5, v19
	v_trunc_f32_e32 v6, v4
	v_cmp_neq_f32_e64 s[0:1], v6, v4
	s_and_b64 s[0:1], vcc, s[0:1]
	v_cndmask_b32_e64 v4, 1.0, v2, s[0:1]
	s_brev_b32 s18, -2
	v_mov_b32_e32 v5, 0x7fc00000
	v_bfi_b32 v1, s18, v1, v4
	v_cndmask_b32_e32 v4, v5, v1, vcc
	v_cmp_gt_f32_e32 vcc, 0, v2
	v_cndmask_b32_e32 v1, v1, v4, vcc
	v_cmp_eq_f32_e32 vcc, s3, v20
	v_cmp_eq_f32_e64 s[2:3], 0, v2
	v_cmp_gt_f32_e64 s[10:11], 0, v19
	s_xor_b64 s[10:11], s[10:11], s[2:3]
	v_cndmask_b32_e64 v3, v3, 0, s[10:11]
	v_cndmask_b32_e64 v4, 0, v2, s[0:1]
	v_bfi_b32 v3, s18, v3, v4
	s_or_b64 vcc, vcc, s[2:3]
	v_cndmask_b32_e32 v1, v1, v3, vcc
	v_cmp_o_f32_e32 vcc, v2, v2
	v_cndmask_b32_e32 v38, v5, v1, vcc
.LBB49_4:
	s_load_dwordx4 s[48:51], s[6:7], 0x70
	v_bfe_u32 v17, v0, 10, 10
	v_lshl_add_u32 v149, s8, 3, v17
	s_ashr_i32 s35, s34, 31
	s_ashr_i32 s2, s47, 31
	s_waitcnt lgkmcnt(0)
	s_mul_i32 s0, s33, s50
	s_ashr_i32 s1, s0, 31
	v_mul_hi_u32 v1, s28, v149
	s_add_u32 s0, s12, s0
	s_mul_i32 s3, s34, s49
	v_add_u32_e32 v1, v149, v1
	s_addc_u32 s1, s13, s1
	s_ashr_i32 s10, s3, 31
	v_lshrrev_b32_e32 v1, s29, v1
	s_add_u32 s3, s0, s3
	v_mul_lo_u32 v1, v1, s30
	s_addc_u32 s10, s1, s10
	v_sub_u32_e32 v39, v149, v1
	s_ashr_i32 s11, s48, 31
	v_mov_b32_e32 v1, s48
	v_alignbit_b32 v1, s11, v1, 2
	v_mad_u64_u32 v[2:3], s[0:1], v1, v39, 0
	v_mov_b32_e32 v4, v3
	s_lshr_b32 s0, s11, 2
	v_mad_u64_u32 v[4:5], s[0:1], s0, v39, v[4:5]
	v_mov_b32_e32 v3, v4
	v_lshlrev_b64 v[2:3], 2, v[2:3]
	v_and_b32_e32 v148, 0x3ff, v0
	v_mov_b32_e32 v1, s10
	v_add_co_u32_e32 v2, vcc, s3, v2
	v_addc_co_u32_e32 v1, vcc, v1, v3, vcc
	v_lshlrev_b32_e32 v3, 4, v148
	v_add_co_u32_e32 v10, vcc, v2, v3
	v_addc_co_u32_e32 v11, vcc, 0, v1, vcc
	global_load_dwordx4 v[2:5], v[10:11], off
	global_load_dwordx4 v[6:9], v[10:11], off offset:512
	v_lshlrev_b32_e32 v156, 7, v17
	v_lshlrev_b32_e32 v36, 1, v148
	v_add_lshl_u32 v1, v36, v156, 2
	s_mov_b32 s1, 0
	v_lshlrev_b32_e32 v151, 2, v148
	v_add_u32_e32 v1, 0x4000, v1
	s_cmp_eq_u64 s[22:23], 0
	s_waitcnt vmcnt(1)
	v_pk_mul_f32 v[2:3], v[2:3], s[36:37] op_sel_hi:[1,0]
	v_pk_mul_f32 v[4:5], v[4:5], s[36:37] op_sel_hi:[1,0]
	s_waitcnt vmcnt(0)
	v_pk_mul_f32 v[6:7], v[6:7], s[36:37] op_sel_hi:[1,0]
	v_pk_mul_f32 v[8:9], v[8:9], s[36:37] op_sel_hi:[1,0]
	v_cvt_f16_f32_e32 v10, v3
	v_cvt_f16_f32_e32 v2, v2
	;; [unrolled: 1-line block ×8, first 2 shown]
	v_pack_b32_f16 v3, v4, v3
	v_pack_b32_f16 v2, v2, v10
	;; [unrolled: 1-line block ×4, first 2 shown]
	ds_write2_b64 v1, v[2:3], v[4:5] offset0:128 offset1:160
	s_waitcnt lgkmcnt(0)
	s_barrier
	s_cbranch_scc1 .LBB49_6
; %bb.5:
	s_load_dword s0, s[6:7], 0xd0
	s_waitcnt lgkmcnt(0)
	s_mul_i32 s0, s0, s33
	s_add_i32 s0, s0, s8
	s_lshl_b64 s[0:1], s[0:1], 2
	s_add_u32 s0, s22, s0
	s_addc_u32 s1, s23, s1
	s_load_dword s42, s[0:1], 0x0
.LBB49_6:
	s_nop 0
	s_load_dwordx2 s[0:1], s[6:7], 0x8c
	s_load_dwordx4 s[36:39], s[6:7], 0x98
	s_load_dwordx2 s[12:13], s[6:7], 0xa8
	s_ashr_i32 s18, s45, 1
	v_mov_b32_e32 v159, 0
	s_waitcnt lgkmcnt(0)
	s_ashr_i32 s10, s0, 2
	s_ashr_i32 s0, s33, 31
	s_mul_i32 s3, s33, s37
	s_mul_hi_u32 s11, s33, s36
	s_add_i32 s3, s11, s3
	s_mul_i32 s11, s0, s36
	s_ashr_i32 s8, s38, 2
	s_add_i32 s3, s3, s11
	s_mul_i32 s11, s33, s36
	s_add_u32 s11, s14, s11
	s_mul_i32 s14, s19, s43
	s_addc_u32 s3, s15, s3
	s_sub_i32 s14, s46, s14
	s_xor_b32 s2, s35, s2
	s_add_i32 s15, s19, 1
	s_sub_i32 s22, s14, s43
	s_cmp_ge_u32 s14, s43
	s_cselect_b32 s15, s15, s19
	s_cselect_b32 s14, s22, s14
	s_add_i32 s19, s15, 1
	s_cmp_ge_u32 s14, s43
	s_cselect_b32 s14, s19, s15
	s_xor_b32 s14, s14, s2
	s_sub_i32 s2, s14, s2
	s_mul_i32 s1, s2, s1
	s_ashr_i32 s14, s1, 31
	s_add_u32 s11, s11, s1
	s_addc_u32 s15, s3, s14
	s_mul_i32 s1, s33, s13
	s_mul_hi_u32 s3, s33, s12
	s_add_i32 s1, s3, s1
	s_mul_i32 s0, s0, s12
	s_add_i32 s1, s1, s0
	s_mul_i32 s0, s33, s12
	s_add_u32 s0, s16, s0
	s_mul_i32 s2, s2, s39
	s_addc_u32 s1, s17, s1
	s_ashr_i32 s3, s2, 31
	s_add_u32 s12, s0, s2
	s_addc_u32 s13, s1, s3
	s_lshl_b32 s14, s9, 6
	s_sub_i32 s16, s42, 64
	v_mul_lo_u32 v14, s8, v17
	s_cmp_ge_i32 s14, s16
	v_lshrrev_b32_e32 v1, 4, v148
	v_and_b32_e32 v16, 60, v151
	v_lshlrev_b32_e32 v37, 9, v17
	v_ashrrev_i32_e32 v15, 31, v14
	v_lshlrev_b32_e32 v157, 3, v148
	v_mbcnt_lo_u32_b32 v40, -1, 0
	s_cbranch_scc1 .LBB49_15
; %bb.7:
	v_lshl_add_u32 v2, v17, 1, v1
	v_lshlrev_b32_e32 v3, 2, v16
	s_movk_i32 s0, 0x110
	v_mad_u32_u24 v41, v2, s0, v3
	v_mul_lo_u32 v2, s10, v2
	s_lshl_b32 s0, s10, 4
	v_add_u32_e32 v4, s0, v2
	v_add_u32_e32 v6, s0, v4
	;; [unrolled: 1-line block ×3, first 2 shown]
	s_cmp_lg_u64 s[40:41], 0
	v_mad_u64_u32 v[18:19], s[0:1], v39, s18, v[148:149]
	s_cselect_b64 s[0:1], -1, 0
	s_lshl_b32 s2, s8, 3
	v_add_u32_e32 v10, s2, v14
	v_add_u32_e32 v32, s2, v10
	;; [unrolled: 1-line block ×3, first 2 shown]
	s_add_u32 s2, s6, 0xd0
	v_ashrrev_i32_e32 v3, 31, v2
	s_addc_u32 s3, s7, 0
	v_ashrrev_i32_e32 v5, 31, v4
	v_ashrrev_i32_e32 v7, 31, v6
	;; [unrolled: 1-line block ×3, first 2 shown]
	v_add_u32_e32 v19, 0x5400, v156
	v_lshl_add_u32 v48, v151, 2, v37
	v_ashrrev_i32_e32 v11, 31, v10
	v_ashrrev_i32_e32 v33, 31, v32
	;; [unrolled: 1-line block ×3, first 2 shown]
	s_add_u32 s17, s40, 64
	v_lshlrev_b64 v[20:21], 2, v[2:3]
	v_cndmask_b32_e64 v2, 0, 1, s[0:1]
	v_mov_b32_e32 v158, 0
	v_add_u32_e32 v42, 0x1100, v41
	v_add_u32_e32 v43, 0x2200, v41
	;; [unrolled: 1-line block ×4, first 2 shown]
	v_mul_u32_u24_e32 v46, 0x110, v148
	v_lshl_add_u32 v47, v148, 1, v19
	v_add_u32_e32 v49, 0x1000, v48
	v_add_u32_e32 v50, 0x2000, v48
	;; [unrolled: 1-line block ×3, first 2 shown]
	s_addc_u32 s19, s41, 0
	v_mov_b32_e32 v13, 0xfeffffff
	v_lshlrev_b32_e32 v52, 2, v16
	v_lshlrev_b64 v[22:23], 2, v[4:5]
	v_lshlrev_b64 v[24:25], 2, v[6:7]
	;; [unrolled: 1-line block ×3, first 2 shown]
	v_mbcnt_hi_u32_b32 v53, -1, v40
	s_mov_b32 s22, 0x3fb8aa3b
	s_mov_b32 s23, 0xc2ce8ed0
	;; [unrolled: 1-line block ×3, first 2 shown]
	v_lshlrev_b64 v[28:29], 2, v[14:15]
	v_lshlrev_b64 v[30:31], 2, v[10:11]
	;; [unrolled: 1-line block ×4, first 2 shown]
	v_cmp_ne_u32_e64 s[0:1], 1, v2
	v_mov_b32_e32 v54, 0x7f800000
	v_mov_b32_e32 v161, 0
	;; [unrolled: 1-line block ×5, first 2 shown]
.LBB49_8:                               ; =>This Inner Loop Header: Depth=1
	s_mul_hi_i32 s37, s14, s10
	s_mul_i32 s36, s14, s10
	s_lshl_b64 s[36:37], s[36:37], 2
	s_add_u32 s29, s11, s36
	s_addc_u32 s36, s15, s37
	v_mov_b32_e32 v2, s36
	v_add_co_u32_e32 v3, vcc, s29, v20
	v_addc_co_u32_e32 v2, vcc, v2, v21, vcc
	v_add_co_u32_e32 v4, vcc, v3, v52
	v_addc_co_u32_e32 v5, vcc, 0, v2, vcc
	v_mov_b32_e32 v2, s36
	v_add_co_u32_e32 v3, vcc, s29, v22
	v_addc_co_u32_e32 v2, vcc, v2, v23, vcc
	v_add_co_u32_e32 v6, vcc, v3, v52
	v_addc_co_u32_e32 v7, vcc, 0, v2, vcc
	v_mov_b32_e32 v2, s36
	v_add_co_u32_e32 v3, vcc, s29, v24
	v_addc_co_u32_e32 v2, vcc, v2, v25, vcc
	v_add_co_u32_e32 v8, vcc, v3, v52
	v_addc_co_u32_e32 v9, vcc, 0, v2, vcc
	v_mov_b32_e32 v2, s36
	v_add_co_u32_e32 v3, vcc, s29, v26
	v_addc_co_u32_e32 v2, vcc, v2, v27, vcc
	v_add_co_u32_e32 v10, vcc, v3, v52
	global_load_dwordx4 v[56:59], v[4:5], off
	global_load_dwordx4 v[60:63], v[6:7], off
	v_addc_co_u32_e32 v11, vcc, 0, v2, vcc
	global_load_dwordx4 v[64:67], v[8:9], off
	global_load_dwordx4 v[68:71], v[10:11], off
	v_mov_b32_e32 v2, 0
	v_mov_b32_e32 v3, 0
	s_and_b64 vcc, exec, s[0:1]
	s_waitcnt vmcnt(3)
	ds_write_b128 v41, v[56:59]
	s_waitcnt vmcnt(2)
	ds_write_b128 v42, v[60:63]
	;; [unrolled: 2-line block ×4, first 2 shown]
	s_waitcnt lgkmcnt(0)
	s_barrier
	ds_read_b128 v[56:59], v46
	ds_read_b128 v[60:63], v45
	ds_read_b128 v[64:67], v46 offset:8704
	s_waitcnt lgkmcnt(1)
	;;#ASMSTART
	v_dot2_f32_f16 v2, v56, v60, v2
	;;#ASMEND
	;;#ASMSTART
	v_dot2_f32_f16 v2, v57, v61, v2
	;;#ASMEND
	;;#ASMSTART
	v_dot2_f32_f16 v2, v58, v62, v2
	;;#ASMEND
	;;#ASMSTART
	v_dot2_f32_f16 v2, v59, v63, v2
	;;#ASMEND
	s_waitcnt lgkmcnt(0)
	;;#ASMSTART
	v_dot2_f32_f16 v3, v64, v60, v3
	;;#ASMEND
	;;#ASMSTART
	v_dot2_f32_f16 v3, v65, v61, v3
	;;#ASMEND
	;;#ASMSTART
	v_dot2_f32_f16 v3, v66, v62, v3
	;;#ASMEND
	;;#ASMSTART
	v_dot2_f32_f16 v3, v67, v63, v3
	;;#ASMEND
	ds_read_b128 v[56:59], v46 offset:16
	ds_read_b128 v[60:63], v45 offset:16
	ds_read_b128 v[64:67], v46 offset:8720
	s_waitcnt lgkmcnt(1)
	;;#ASMSTART
	v_dot2_f32_f16 v2, v56, v60, v2
	;;#ASMEND
	;;#ASMSTART
	v_dot2_f32_f16 v2, v57, v61, v2
	;;#ASMEND
	;;#ASMSTART
	v_dot2_f32_f16 v2, v58, v62, v2
	;;#ASMEND
	;;#ASMSTART
	v_dot2_f32_f16 v2, v59, v63, v2
	;;#ASMEND
	s_waitcnt lgkmcnt(0)
	;;#ASMSTART
	v_dot2_f32_f16 v3, v64, v60, v3
	;;#ASMEND
	;;#ASMSTART
	v_dot2_f32_f16 v3, v65, v61, v3
	;;#ASMEND
	;;#ASMSTART
	v_dot2_f32_f16 v3, v66, v62, v3
	;;#ASMEND
	;;#ASMSTART
	v_dot2_f32_f16 v3, v67, v63, v3
	;;#ASMEND
	ds_read_b128 v[56:59], v46 offset:32
	ds_read_b128 v[60:63], v45 offset:32
	;; [unrolled: 29-line block ×15, first 2 shown]
	ds_read_b128 v[64:67], v46 offset:8944
	s_waitcnt lgkmcnt(1)
	;;#ASMSTART
	v_dot2_f32_f16 v2, v56, v60, v2
	;;#ASMEND
	;;#ASMSTART
	v_dot2_f32_f16 v2, v57, v61, v2
	;;#ASMEND
	;; [unrolled: 3-line block ×4, first 2 shown]
	s_waitcnt lgkmcnt(0)
	;;#ASMSTART
	v_dot2_f32_f16 v3, v64, v60, v3
	;;#ASMEND
	;;#ASMSTART
	v_dot2_f32_f16 v3, v65, v61, v3
	;;#ASMEND
	;; [unrolled: 3-line block ×4, first 2 shown]
	s_barrier
	global_load_dwordx4 v[56:59], v[4:5], off offset:256
	global_load_dwordx4 v[60:63], v[6:7], off offset:256
	;; [unrolled: 1-line block ×4, first 2 shown]
	s_waitcnt vmcnt(3)
	ds_write_b128 v41, v[56:59]
	s_waitcnt vmcnt(2)
	ds_write_b128 v42, v[60:63]
	;; [unrolled: 2-line block ×4, first 2 shown]
	s_waitcnt lgkmcnt(0)
	s_barrier
	ds_read_b128 v[4:7], v46
	ds_read_b128 v[8:11], v45 offset:256
	ds_read_b128 v[56:59], v46 offset:8704
	s_waitcnt lgkmcnt(1)
	;;#ASMSTART
	v_dot2_f32_f16 v2, v4, v8, v2
	;;#ASMEND
	;;#ASMSTART
	v_dot2_f32_f16 v2, v5, v9, v2
	;;#ASMEND
	;;#ASMSTART
	v_dot2_f32_f16 v2, v6, v10, v2
	;;#ASMEND
	;;#ASMSTART
	v_dot2_f32_f16 v2, v7, v11, v2
	;;#ASMEND
	s_waitcnt lgkmcnt(0)
	;;#ASMSTART
	v_dot2_f32_f16 v3, v56, v8, v3
	;;#ASMEND
	;;#ASMSTART
	v_dot2_f32_f16 v3, v57, v9, v3
	;;#ASMEND
	;;#ASMSTART
	v_dot2_f32_f16 v3, v58, v10, v3
	;;#ASMEND
	;;#ASMSTART
	v_dot2_f32_f16 v3, v59, v11, v3
	;;#ASMEND
	ds_read_b128 v[4:7], v46 offset:16
	ds_read_b128 v[8:11], v45 offset:272
	ds_read_b128 v[56:59], v46 offset:8720
	s_waitcnt lgkmcnt(1)
	;;#ASMSTART
	v_dot2_f32_f16 v2, v4, v8, v2
	;;#ASMEND
	;;#ASMSTART
	v_dot2_f32_f16 v2, v5, v9, v2
	;;#ASMEND
	;;#ASMSTART
	v_dot2_f32_f16 v2, v6, v10, v2
	;;#ASMEND
	;;#ASMSTART
	v_dot2_f32_f16 v2, v7, v11, v2
	;;#ASMEND
	s_waitcnt lgkmcnt(0)
	;;#ASMSTART
	v_dot2_f32_f16 v3, v56, v8, v3
	;;#ASMEND
	;;#ASMSTART
	v_dot2_f32_f16 v3, v57, v9, v3
	;;#ASMEND
	;;#ASMSTART
	v_dot2_f32_f16 v3, v58, v10, v3
	;;#ASMEND
	;;#ASMSTART
	v_dot2_f32_f16 v3, v59, v11, v3
	;;#ASMEND
	ds_read_b128 v[4:7], v46 offset:32
	;; [unrolled: 29-line block ×15, first 2 shown]
	ds_read_b128 v[56:59], v45 offset:496
	ds_read_b128 v[60:63], v46 offset:8944
	s_waitcnt lgkmcnt(1)
	;;#ASMSTART
	v_dot2_f32_f16 v2, v6, v56, v2
	;;#ASMEND
	;;#ASMSTART
	v_dot2_f32_f16 v2, v7, v57, v2
	;;#ASMEND
	;; [unrolled: 3-line block ×4, first 2 shown]
	s_waitcnt lgkmcnt(0)
	;;#ASMSTART
	v_dot2_f32_f16 v3, v60, v56, v3
	;;#ASMEND
	v_add_u32_e32 v4, s14, v18
	;;#ASMSTART
	v_dot2_f32_f16 v3, v61, v57, v3
	;;#ASMEND
	v_ashrrev_i32_e32 v5, 31, v4
	;;#ASMSTART
	v_dot2_f32_f16 v3, v62, v58, v3
	;;#ASMEND
	v_mov_b32_e32 v6, 0
	;;#ASMSTART
	v_dot2_f32_f16 v3, v63, v59, v3
	;;#ASMEND
	s_cbranch_vccnz .LBB49_10
; %bb.9:                                ;   in Loop: Header=BB49_8 Depth=1
	v_lshlrev_b64 v[6:7], 1, v[4:5]
	v_mov_b32_e32 v8, s41
	v_add_co_u32_e32 v6, vcc, s40, v6
	v_addc_co_u32_e32 v7, vcc, v8, v7, vcc
	flat_load_ushort v6, v[6:7]
	s_waitcnt vmcnt(0) lgkmcnt(0)
	v_cvt_f32_f16_e32 v6, v6
	v_mul_f32_e32 v6, v38, v6
.LBB49_10:                              ;   in Loop: Header=BB49_8 Depth=1
	s_and_b64 vcc, exec, s[0:1]
	s_cbranch_vccnz .LBB49_12
; %bb.11:                               ;   in Loop: Header=BB49_8 Depth=1
	v_lshlrev_b64 v[4:5], 1, v[4:5]
	v_mov_b32_e32 v7, s19
	v_add_co_u32_e32 v4, vcc, s17, v4
	v_addc_co_u32_e32 v5, vcc, v7, v5, vcc
	flat_load_ushort v4, v[4:5]
	s_waitcnt vmcnt(0) lgkmcnt(0)
	v_cvt_f32_f16_e32 v4, v4
	v_mul_f32_e32 v7, v38, v4
	s_branch .LBB49_13
.LBB49_12:                              ;   in Loop: Header=BB49_8 Depth=1
	v_mov_b32_e32 v7, 0
.LBB49_13:                              ;   in Loop: Header=BB49_8 Depth=1
	v_pk_add_f32 v[10:11], v[2:3], v[6:7]
	v_add_f32_e32 v2, 0x40051340, v10
	v_add_f32_e32 v3, 0x40051340, v11
	v_max3_f32 v2, v13, v2, v3
	v_and_b32_e32 v3, 0x60, v53
	v_add_u32_e32 v55, 32, v3
	v_xor_b32_e32 v3, 16, v53
	v_cmp_lt_i32_e32 vcc, v3, v55
	v_cndmask_b32_e32 v3, v53, v3, vcc
	v_lshlrev_b32_e32 v3, 2, v3
	ds_bpermute_b32 v3, v3, v2
	s_mul_hi_i32 s37, s14, s8
	s_mul_i32 s36, s14, s8
	s_lshl_b64 s[36:37], s[36:37], 2
	s_add_u32 s29, s12, s36
	s_waitcnt lgkmcnt(0)
	v_max_f32_e32 v3, v3, v3
	v_max_f32_e32 v2, v2, v3
	v_xor_b32_e32 v3, 8, v53
	v_cmp_lt_i32_e32 vcc, v3, v55
	v_cndmask_b32_e32 v3, v53, v3, vcc
	v_lshlrev_b32_e32 v3, 2, v3
	ds_bpermute_b32 v3, v3, v2
	s_addc_u32 s36, s13, s37
	v_lshlrev_b32_e32 v144, 2, v151
	s_waitcnt lgkmcnt(0)
	s_barrier
	v_max_f32_e32 v3, v3, v3
	v_max_f32_e32 v68, v2, v3
	v_xor_b32_e32 v2, 4, v53
	v_cmp_lt_i32_e32 vcc, v2, v55
	v_cndmask_b32_e32 v2, v53, v2, vcc
	v_lshlrev_b32_e32 v2, 2, v2
	ds_bpermute_b32 v69, v2, v68
	v_mov_b32_e32 v2, s36
	v_add_co_u32_e32 v3, vcc, s29, v28
	v_addc_co_u32_e32 v2, vcc, v2, v29, vcc
	v_add_co_u32_e32 v56, vcc, v3, v144
	v_addc_co_u32_e32 v57, vcc, 0, v2, vcc
	v_mov_b32_e32 v2, s36
	v_add_co_u32_e32 v3, vcc, s29, v30
	v_addc_co_u32_e32 v2, vcc, v2, v31, vcc
	v_add_co_u32_e32 v58, vcc, v3, v144
	v_addc_co_u32_e32 v59, vcc, 0, v2, vcc
	s_waitcnt lgkmcnt(0)
	global_load_dwordx4 v[2:5], v[56:57], off
	global_load_dwordx4 v[6:9], v[58:59], off
	v_mov_b32_e32 v56, s36
	v_add_co_u32_e32 v57, vcc, s29, v32
	v_addc_co_u32_e32 v56, vcc, v56, v33, vcc
	v_add_co_u32_e32 v64, vcc, v57, v144
	v_addc_co_u32_e32 v65, vcc, 0, v56, vcc
	v_mov_b32_e32 v56, s36
	v_add_co_u32_e32 v57, vcc, s29, v34
	v_addc_co_u32_e32 v56, vcc, v56, v35, vcc
	v_add_co_u32_e32 v66, vcc, v57, v144
	v_addc_co_u32_e32 v67, vcc, 0, v56, vcc
	global_load_dwordx4 v[56:59], v[64:65], off
	global_load_dwordx4 v[60:63], v[66:67], off
	v_xor_b32_e32 v65, 2, v53
	v_cmp_lt_i32_e32 vcc, v65, v55
	v_max_f32_e32 v64, v69, v69
	v_cndmask_b32_e32 v65, v53, v65, vcc
	v_max_f32_e32 v64, v68, v64
	v_lshlrev_b32_e32 v65, 2, v65
	ds_bpermute_b32 v65, v65, v64
	s_or_b32 s29, s14, 32
	s_mul_hi_i32 s37, s29, s8
	s_mul_i32 s36, s29, s8
	s_lshl_b64 s[36:37], s[36:37], 2
	s_waitcnt lgkmcnt(0)
	v_max_f32_e32 v65, v65, v65
	v_max_f32_e32 v64, v64, v65
	v_xor_b32_e32 v65, 1, v53
	v_cmp_lt_i32_e32 vcc, v65, v55
	v_cndmask_b32_e32 v55, v53, v65, vcc
	v_lshlrev_b32_e32 v55, 2, v55
	ds_bpermute_b32 v55, v55, v64
	s_add_u32 s29, s12, s36
	s_addc_u32 s36, s13, s37
	v_add_u32_e32 v164, 0x2000, v157
	v_add_u32_e32 v165, 0x2800, v157
	s_waitcnt lgkmcnt(0)
	v_max_f32_e32 v55, v55, v55
	v_max_f32_e32 v150, v64, v55
	v_pk_add_f32 v[10:11], v[10:11], v[150:151] op_sel_hi:[1,0] neg_lo:[0,1] neg_hi:[0,1]
	v_mul_f32_e32 v55, 0x3fb8aa3b, v11
	v_fma_f32 v64, v11, s22, -v55
	v_rndne_f32_e32 v65, v55
	v_fmac_f32_e32 v64, 0x32a5705f, v11
	v_sub_f32_e32 v55, v55, v65
	v_add_f32_e32 v55, v55, v64
	v_exp_f32_e32 v55, v55
	v_cvt_i32_f32_e32 v64, v65
	v_cmp_ngt_f32_e32 vcc, s23, v11
	v_sub_f32_e32 v13, v13, v150
	v_add_u32_e32 v166, 0x3000, v157
	v_ldexp_f32 v55, v55, v64
	v_mul_f32_e32 v64, 0x3fb8aa3b, v10
	v_fma_f32 v65, v10, s22, -v64
	v_rndne_f32_e32 v66, v64
	v_fmac_f32_e32 v65, 0x32a5705f, v10
	v_sub_f32_e32 v64, v64, v66
	v_add_f32_e32 v64, v64, v65
	v_exp_f32_e32 v64, v64
	v_cvt_i32_f32_e32 v65, v66
	v_cndmask_b32_e32 v55, 0, v55, vcc
	v_cmp_nlt_f32_e32 vcc, s28, v11
	v_cndmask_b32_e32 v11, v54, v55, vcc
	v_ldexp_f32 v55, v64, v65
	v_mul_f32_e32 v64, 0x3fb8aa3b, v13
	v_fma_f32 v65, v13, s22, -v64
	v_rndne_f32_e32 v66, v64
	v_cmp_ngt_f32_e32 vcc, s23, v10
	v_fmac_f32_e32 v65, 0x32a5705f, v13
	v_sub_f32_e32 v64, v64, v66
	v_cndmask_b32_e32 v55, 0, v55, vcc
	v_add_f32_e32 v64, v64, v65
	v_cmp_nlt_f32_e32 vcc, s28, v10
	v_exp_f32_e32 v64, v64
	v_cvt_i32_f32_e32 v65, v66
	v_cndmask_b32_e32 v10, v54, v55, vcc
	v_cvt_f16_f32_e32 v55, v10
	v_add_f32_e32 v162, v10, v11
	v_cvt_f16_f32_e32 v10, v11
	v_ldexp_f32 v64, v64, v65
	v_cmp_ngt_f32_e32 vcc, s23, v13
	v_cndmask_b32_e32 v64, 0, v64, vcc
	v_cmp_nlt_f32_e32 vcc, s28, v13
	ds_write_b16 v47, v55
	ds_write_b16 v47, v10 offset:64
	s_waitcnt vmcnt(3)
	ds_write_b128 v48, v[2:5]
	s_waitcnt vmcnt(2)
	ds_write_b128 v49, v[6:9]
	;; [unrolled: 2-line block ×4, first 2 shown]
	s_waitcnt lgkmcnt(0)
	s_barrier
	ds_read2_b64 v[56:59], v157 offset1:32
	ds_read_b128 v[60:63], v19
	v_cndmask_b32_e32 v13, v54, v64, vcc
	v_cvt_f16_f32_e32 v68, v13
	v_fmac_f32_e32 v162, v12, v13
	ds_read_b128 v[10:13], v19 offset:16
	ds_read_b128 v[6:9], v19 offset:32
	ds_read_b128 v[2:5], v19 offset:48
	s_waitcnt lgkmcnt(3)
	v_pk_mul_f16 v56, v56, v60 op_sel_hi:[1,0]
	v_pk_mul_f16 v69, v68, v161 op_sel_hi:[0,1]
	;; [unrolled: 1-line block ×3, first 2 shown]
	v_pk_fma_f16 v70, v159, v68, v56 op_sel_hi:[1,0,1]
	v_pk_mul_f16 v56, v57, v60 op_sel_hi:[1,0]
	ds_read2_b64 v[64:67], v157 offset0:64 offset1:96
	v_pk_fma_f16 v68, v160, v68, v56 op_sel_hi:[1,0,1]
	v_pk_fma_f16 v69, v58, v60, v69 op_sel_hi:[1,0,1]
	;; [unrolled: 1-line block ×3, first 2 shown]
	ds_read2_b64 v[56:59], v157 offset0:128 offset1:160
	s_waitcnt lgkmcnt(1)
	v_pk_fma_f16 v64, v64, v60, v70 op_sel:[0,1,0]
	v_pk_fma_f16 v65, v65, v60, v68 op_sel:[0,1,0]
	;; [unrolled: 1-line block ×4, first 2 shown]
	s_waitcnt lgkmcnt(0)
	v_pk_fma_f16 v60, v56, v61, v64 op_sel_hi:[1,0,1]
	v_pk_fma_f16 v69, v57, v61, v65 op_sel_hi:[1,0,1]
	ds_read2_b64 v[64:67], v157 offset0:192 offset1:224
	v_add_u32_e32 v158, 0x800, v157
	v_pk_fma_f16 v68, v58, v61, v68 op_sel_hi:[1,0,1]
	v_pk_fma_f16 v55, v59, v61, v55 op_sel_hi:[1,0,1]
	ds_read2_b64 v[56:59], v158 offset1:32
	s_waitcnt lgkmcnt(1)
	v_pk_fma_f16 v60, v64, v61, v60 op_sel:[0,1,0]
	v_pk_fma_f16 v69, v65, v61, v69 op_sel:[0,1,0]
	;; [unrolled: 1-line block ×4, first 2 shown]
	ds_read2_b64 v[64:67], v158 offset0:64 offset1:96
	s_waitcnt lgkmcnt(1)
	v_pk_fma_f16 v60, v56, v62, v60 op_sel_hi:[1,0,1]
	v_pk_fma_f16 v61, v57, v62, v69 op_sel_hi:[1,0,1]
	v_pk_fma_f16 v68, v58, v62, v68 op_sel_hi:[1,0,1]
	v_pk_fma_f16 v55, v59, v62, v55 op_sel_hi:[1,0,1]
	ds_read2_b64 v[56:59], v158 offset0:128 offset1:160
	s_waitcnt lgkmcnt(1)
	v_pk_fma_f16 v60, v64, v62, v60 op_sel:[0,1,0]
	v_pk_fma_f16 v61, v65, v62, v61 op_sel:[0,1,0]
	;; [unrolled: 1-line block ×4, first 2 shown]
	ds_read2_b64 v[64:67], v158 offset0:192 offset1:224
	v_add_u32_e32 v159, 0x1000, v157
	s_waitcnt lgkmcnt(1)
	v_pk_fma_f16 v60, v56, v63, v60 op_sel_hi:[1,0,1]
	v_pk_fma_f16 v61, v57, v63, v61 op_sel_hi:[1,0,1]
	;; [unrolled: 1-line block ×4, first 2 shown]
	ds_read2_b64 v[56:59], v159 offset1:32
	s_waitcnt lgkmcnt(1)
	v_pk_fma_f16 v60, v64, v63, v60 op_sel:[0,1,0]
	v_pk_fma_f16 v64, v65, v63, v61 op_sel:[0,1,0]
	;; [unrolled: 1-line block ×4, first 2 shown]
	s_waitcnt lgkmcnt(0)
	v_pk_fma_f16 v66, v56, v10, v60 op_sel_hi:[1,0,1]
	ds_read2_b64 v[60:63], v159 offset0:64 offset1:96
	v_pk_fma_f16 v64, v57, v10, v64 op_sel_hi:[1,0,1]
	v_pk_fma_f16 v65, v58, v10, v65 op_sel_hi:[1,0,1]
	;; [unrolled: 1-line block ×3, first 2 shown]
	ds_read2_b64 v[56:59], v159 offset0:128 offset1:160
	s_waitcnt lgkmcnt(1)
	v_pk_fma_f16 v60, v60, v10, v66 op_sel:[0,1,0]
	v_pk_fma_f16 v61, v61, v10, v64 op_sel:[0,1,0]
	;; [unrolled: 1-line block ×4, first 2 shown]
	s_waitcnt lgkmcnt(0)
	v_pk_fma_f16 v55, v56, v11, v60 op_sel_hi:[1,0,1]
	v_pk_fma_f16 v65, v57, v11, v61 op_sel_hi:[1,0,1]
	ds_read2_b64 v[60:63], v159 offset0:192 offset1:224
	v_add_u32_e32 v160, 0x1800, v157
	v_pk_fma_f16 v64, v58, v11, v64 op_sel_hi:[1,0,1]
	v_pk_fma_f16 v10, v59, v11, v10 op_sel_hi:[1,0,1]
	ds_read2_b64 v[56:59], v160 offset1:32
	s_waitcnt lgkmcnt(1)
	v_pk_fma_f16 v55, v60, v11, v55 op_sel:[0,1,0]
	v_pk_fma_f16 v60, v61, v11, v65 op_sel:[0,1,0]
	;; [unrolled: 1-line block ×4, first 2 shown]
	v_mov_b32_e32 v10, s36
	v_add_co_u32_e32 v11, vcc, s29, v28
	s_waitcnt lgkmcnt(0)
	v_pk_fma_f16 v55, v56, v12, v55 op_sel_hi:[1,0,1]
	v_addc_co_u32_e32 v56, vcc, v10, v29, vcc
	v_add_co_u32_e32 v10, vcc, v11, v144
	v_addc_co_u32_e32 v11, vcc, 0, v56, vcc
	v_pk_fma_f16 v163, v57, v12, v60 op_sel_hi:[1,0,1]
	v_mov_b32_e32 v56, s36
	v_add_co_u32_e32 v57, vcc, s29, v30
	v_addc_co_u32_e32 v136, vcc, v56, v31, vcc
	v_add_co_u32_e32 v56, vcc, v57, v144
	v_add_u32_e32 v167, 0x3800, v157
	v_addc_co_u32_e32 v57, vcc, 0, v136, vcc
	v_pk_fma_f16 v58, v58, v12, v61 op_sel_hi:[1,0,1]
	ds_read2_b64 v[60:63], v160 offset0:64 offset1:96
	ds_read2_b64 v[64:67], v160 offset0:128 offset1:160
	ds_read2_b64 v[68:71], v160 offset0:192 offset1:224
	ds_read2_b64 v[72:75], v164 offset1:32
	ds_read2_b64 v[76:79], v164 offset0:64 offset1:96
	ds_read2_b64 v[80:83], v164 offset0:128 offset1:160
	ds_read2_b64 v[84:87], v164 offset0:192 offset1:224
	ds_read2_b64 v[88:91], v165 offset1:32
	;; [unrolled: 4-line block ×4, first 2 shown]
	ds_read2_b64 v[124:127], v167 offset0:64 offset1:96
	ds_read2_b64 v[128:131], v167 offset0:128 offset1:160
	;; [unrolled: 1-line block ×3, first 2 shown]
	s_waitcnt lgkmcnt(0)
	s_barrier
	global_load_dwordx4 v[136:139], v[10:11], off
	global_load_dwordx4 v[140:143], v[56:57], off
	v_mov_b32_e32 v10, s36
	v_add_co_u32_e32 v11, vcc, s29, v32
	v_addc_co_u32_e32 v56, vcc, v10, v33, vcc
	v_add_co_u32_e32 v10, vcc, v11, v144
	v_addc_co_u32_e32 v11, vcc, 0, v56, vcc
	v_mov_b32_e32 v56, s36
	v_add_co_u32_e32 v57, vcc, s29, v34
	v_addc_co_u32_e32 v145, vcc, v56, v35, vcc
	v_add_co_u32_e32 v56, vcc, v57, v144
	v_addc_co_u32_e32 v57, vcc, 0, v145, vcc
	global_load_dwordx4 v[144:147], v[10:11], off
	global_load_dwordx4 v[152:155], v[56:57], off
	v_pk_fma_f16 v10, v59, v12, v161 op_sel_hi:[1,0,1]
	v_pk_fma_f16 v11, v60, v12, v55 op_sel:[0,1,0]
	v_pk_fma_f16 v55, v61, v12, v163 op_sel:[0,1,0]
	v_pk_fma_f16 v56, v62, v12, v58 op_sel:[0,1,0]
	v_pk_fma_f16 v10, v63, v12, v10 op_sel:[0,1,0]
	v_pk_fma_f16 v11, v64, v13, v11 op_sel_hi:[1,0,1]
	v_pk_fma_f16 v12, v65, v13, v55 op_sel_hi:[1,0,1]
	v_pk_fma_f16 v55, v66, v13, v56 op_sel_hi:[1,0,1]
	v_pk_fma_f16 v10, v67, v13, v10 op_sel_hi:[1,0,1]
	v_pk_fma_f16 v11, v68, v13, v11 op_sel:[0,1,0]
	v_pk_fma_f16 v12, v69, v13, v12 op_sel:[0,1,0]
	v_pk_fma_f16 v55, v70, v13, v55 op_sel:[0,1,0]
	v_pk_fma_f16 v10, v71, v13, v10 op_sel:[0,1,0]
	v_pk_fma_f16 v11, v72, v6, v11 op_sel_hi:[1,0,1]
	v_pk_fma_f16 v12, v73, v6, v12 op_sel_hi:[1,0,1]
	v_pk_fma_f16 v13, v74, v6, v55 op_sel_hi:[1,0,1]
	;; [unrolled: 8-line block ×8, first 2 shown]
	v_pk_fma_f16 v2, v123, v4, v2 op_sel_hi:[1,0,1]
	v_pk_fma_f16 v6, v125, v4, v6 op_sel:[0,1,0]
	v_pk_fma_f16 v7, v126, v4, v7 op_sel:[0,1,0]
	;; [unrolled: 1-line block ×4, first 2 shown]
	v_pk_fma_f16 v4, v129, v5, v6 op_sel_hi:[1,0,1]
	v_pk_fma_f16 v6, v130, v5, v7 op_sel_hi:[1,0,1]
	v_pk_fma_f16 v69, v134, v5, v6 op_sel:[0,1,0]
	s_waitcnt vmcnt(3)
	ds_write_b128 v48, v[136:139]
	s_waitcnt vmcnt(2)
	ds_write_b128 v49, v[140:143]
	;; [unrolled: 2-line block ×4, first 2 shown]
	s_waitcnt lgkmcnt(0)
	s_barrier
	ds_read2_b64 v[6:9], v157 offset1:32
	ds_read_b128 v[10:13], v19 offset:64
	v_pk_fma_f16 v3, v128, v5, v3 op_sel_hi:[1,0,1]
	v_pk_fma_f16 v2, v131, v5, v2 op_sel_hi:[1,0,1]
	v_pk_fma_f16 v55, v132, v5, v3 op_sel:[0,1,0]
	v_pk_fma_f16 v68, v133, v5, v4 op_sel:[0,1,0]
	;; [unrolled: 1-line block ×3, first 2 shown]
	ds_read_b128 v[56:59], v19 offset:80
	ds_read_b128 v[60:63], v19 offset:96
	;; [unrolled: 1-line block ×3, first 2 shown]
	ds_read2_b64 v[64:67], v157 offset0:64 offset1:96
	s_waitcnt lgkmcnt(4)
	v_pk_fma_f16 v55, v6, v10, v55 op_sel_hi:[1,0,1]
	v_pk_fma_f16 v68, v7, v10, v68 op_sel_hi:[1,0,1]
	;; [unrolled: 1-line block ×4, first 2 shown]
	ds_read2_b64 v[6:9], v157 offset0:128 offset1:160
	s_waitcnt lgkmcnt(1)
	v_pk_fma_f16 v55, v64, v10, v55 op_sel:[0,1,0]
	v_pk_fma_f16 v68, v65, v10, v68 op_sel:[0,1,0]
	;; [unrolled: 1-line block ×4, first 2 shown]
	ds_read2_b64 v[64:67], v157 offset0:192 offset1:224
	s_waitcnt lgkmcnt(1)
	v_pk_fma_f16 v55, v6, v11, v55 op_sel_hi:[1,0,1]
	v_pk_fma_f16 v68, v7, v11, v68 op_sel_hi:[1,0,1]
	;; [unrolled: 1-line block ×4, first 2 shown]
	ds_read2_b64 v[6:9], v158 offset1:32
	s_waitcnt lgkmcnt(1)
	v_pk_fma_f16 v55, v64, v11, v55 op_sel:[0,1,0]
	v_pk_fma_f16 v68, v65, v11, v68 op_sel:[0,1,0]
	v_pk_fma_f16 v69, v66, v11, v69 op_sel:[0,1,0]
	v_pk_fma_f16 v10, v67, v11, v10 op_sel:[0,1,0]
	ds_read2_b64 v[64:67], v158 offset0:64 offset1:96
	s_waitcnt lgkmcnt(1)
	v_pk_fma_f16 v11, v6, v12, v55 op_sel_hi:[1,0,1]
	v_pk_fma_f16 v55, v7, v12, v68 op_sel_hi:[1,0,1]
	;; [unrolled: 1-line block ×4, first 2 shown]
	ds_read2_b64 v[6:9], v158 offset0:128 offset1:160
	s_waitcnt lgkmcnt(1)
	v_pk_fma_f16 v11, v64, v12, v11 op_sel:[0,1,0]
	v_pk_fma_f16 v55, v65, v12, v55 op_sel:[0,1,0]
	;; [unrolled: 1-line block ×4, first 2 shown]
	ds_read2_b64 v[64:67], v158 offset0:192 offset1:224
	s_waitcnt lgkmcnt(1)
	v_pk_fma_f16 v11, v6, v13, v11 op_sel_hi:[1,0,1]
	v_pk_fma_f16 v12, v7, v13, v55 op_sel_hi:[1,0,1]
	;; [unrolled: 1-line block ×4, first 2 shown]
	ds_read2_b64 v[6:9], v159 offset1:32
	s_waitcnt lgkmcnt(1)
	v_pk_fma_f16 v11, v64, v13, v11 op_sel:[0,1,0]
	v_pk_fma_f16 v64, v65, v13, v12 op_sel:[0,1,0]
	v_pk_fma_f16 v55, v66, v13, v55 op_sel:[0,1,0]
	v_pk_fma_f16 v65, v67, v13, v10 op_sel:[0,1,0]
	s_waitcnt lgkmcnt(0)
	v_pk_fma_f16 v66, v6, v56, v11 op_sel_hi:[1,0,1]
	ds_read2_b64 v[10:13], v159 offset0:64 offset1:96
	v_pk_fma_f16 v64, v7, v56, v64 op_sel_hi:[1,0,1]
	v_pk_fma_f16 v55, v8, v56, v55 op_sel_hi:[1,0,1]
	v_pk_fma_f16 v65, v9, v56, v65 op_sel_hi:[1,0,1]
	ds_read2_b64 v[6:9], v159 offset0:128 offset1:160
	s_waitcnt lgkmcnt(1)
	v_pk_fma_f16 v10, v10, v56, v66 op_sel:[0,1,0]
	v_pk_fma_f16 v64, v11, v56, v64 op_sel:[0,1,0]
	v_pk_fma_f16 v55, v12, v56, v55 op_sel:[0,1,0]
	v_pk_fma_f16 v56, v13, v56, v65 op_sel:[0,1,0]
	s_waitcnt lgkmcnt(0)
	v_pk_fma_f16 v65, v6, v57, v10 op_sel_hi:[1,0,1]
	ds_read2_b64 v[10:13], v159 offset0:192 offset1:224
	v_pk_fma_f16 v64, v7, v57, v64 op_sel_hi:[1,0,1]
	v_pk_fma_f16 v55, v8, v57, v55 op_sel_hi:[1,0,1]
	v_pk_fma_f16 v56, v9, v57, v56 op_sel_hi:[1,0,1]
	ds_read2_b64 v[6:9], v160 offset1:32
	s_waitcnt lgkmcnt(1)
	v_pk_fma_f16 v10, v10, v57, v65 op_sel:[0,1,0]
	v_pk_fma_f16 v64, v11, v57, v64 op_sel:[0,1,0]
	v_pk_fma_f16 v55, v12, v57, v55 op_sel:[0,1,0]
	v_pk_fma_f16 v56, v13, v57, v56 op_sel:[0,1,0]
	s_waitcnt lgkmcnt(0)
	v_pk_fma_f16 v57, v6, v58, v10 op_sel_hi:[1,0,1]
	ds_read2_b64 v[10:13], v160 offset0:64 offset1:96
	v_pk_fma_f16 v64, v7, v58, v64 op_sel_hi:[1,0,1]
	v_pk_fma_f16 v55, v8, v58, v55 op_sel_hi:[1,0,1]
	v_pk_fma_f16 v56, v9, v58, v56 op_sel_hi:[1,0,1]
	ds_read2_b64 v[6:9], v160 offset0:128 offset1:160
	s_waitcnt lgkmcnt(1)
	v_pk_fma_f16 v10, v10, v58, v57 op_sel:[0,1,0]
	v_pk_fma_f16 v57, v11, v58, v64 op_sel:[0,1,0]
	v_pk_fma_f16 v55, v12, v58, v55 op_sel:[0,1,0]
	v_pk_fma_f16 v56, v13, v58, v56 op_sel:[0,1,0]
	s_waitcnt lgkmcnt(0)
	v_pk_fma_f16 v58, v6, v59, v10 op_sel_hi:[1,0,1]
	ds_read2_b64 v[10:13], v160 offset0:192 offset1:224
	v_pk_fma_f16 v57, v7, v59, v57 op_sel_hi:[1,0,1]
	v_pk_fma_f16 v55, v8, v59, v55 op_sel_hi:[1,0,1]
	v_pk_fma_f16 v56, v9, v59, v56 op_sel_hi:[1,0,1]
	;; [unrolled: 24-line block ×5, first 2 shown]
	ds_read2_b64 v[6:9], v167 offset1:32
	s_waitcnt lgkmcnt(1)
	v_pk_fma_f16 v10, v10, v3, v56 op_sel:[0,1,0]
	v_pk_fma_f16 v56, v11, v3, v57 op_sel:[0,1,0]
	;; [unrolled: 1-line block ×4, first 2 shown]
	s_waitcnt lgkmcnt(0)
	v_pk_fma_f16 v3, v6, v4, v10 op_sel_hi:[1,0,1]
	ds_read2_b64 v[10:13], v167 offset0:64 offset1:96
	v_pk_fma_f16 v56, v7, v4, v56 op_sel_hi:[1,0,1]
	v_pk_fma_f16 v55, v8, v4, v55 op_sel_hi:[1,0,1]
	;; [unrolled: 1-line block ×3, first 2 shown]
	ds_read2_b64 v[6:9], v167 offset0:128 offset1:160
	s_waitcnt lgkmcnt(1)
	v_pk_fma_f16 v3, v10, v4, v3 op_sel:[0,1,0]
	v_pk_fma_f16 v10, v11, v4, v56 op_sel:[0,1,0]
	v_pk_fma_f16 v11, v12, v4, v55 op_sel:[0,1,0]
	v_pk_fma_f16 v2, v13, v4, v2 op_sel:[0,1,0]
	s_waitcnt lgkmcnt(0)
	v_pk_fma_f16 v3, v6, v5, v3 op_sel_hi:[1,0,1]
	v_pk_fma_f16 v4, v7, v5, v10 op_sel_hi:[1,0,1]
	;; [unrolled: 1-line block ×3, first 2 shown]
	ds_read2_b64 v[10:13], v167 offset0:192 offset1:224
	s_waitcnt lgkmcnt(0)
	s_barrier
	s_load_dword s29, s[2:3], 0x4
	v_pk_fma_f16 v2, v9, v5, v2 op_sel_hi:[1,0,1]
	v_pk_fma_f16 v159, v10, v5, v3 op_sel:[0,1,0]
	v_pk_fma_f16 v160, v11, v5, v4 op_sel:[0,1,0]
	;; [unrolled: 1-line block ×3, first 2 shown]
	s_waitcnt lgkmcnt(0)
	s_lshl_b32 s29, s29, 6
	s_add_i32 s14, s29, s14
	s_cmp_lt_i32 s14, s16
	v_pk_fma_f16 v158, v13, v5, v2 op_sel:[0,1,0]
	s_cbranch_scc0 .LBB49_16
; %bb.14:                               ;   in Loop: Header=BB49_8 Depth=1
	v_mov_b32_e32 v13, v150
	v_mov_b32_e32 v12, v162
	s_branch .LBB49_8
.LBB49_15:
	v_mov_b32_e32 v150, 0xfeffffff
	v_mov_b32_e32 v162, 0
	;; [unrolled: 1-line block ×5, first 2 shown]
.LBB49_16:
	s_cmp_gt_i32 s42, s14
	s_cbranch_scc1 .LBB49_18
; %bb.17:
	v_mbcnt_hi_u32_b32 v163, -1, v40
	v_and_b32_e32 v2, 0x60, v163
	v_add_u32_e32 v164, 32, v2
	v_xor_b32_e32 v165, 16, v163
	v_xor_b32_e32 v166, 8, v163
	;; [unrolled: 1-line block ×5, first 2 shown]
	v_pk_mov_b32 v[152:153], v[150:151], v[150:151] op_sel:[0,1]
	s_cbranch_execz .LBB49_19
	s_branch .LBB49_29
.LBB49_18:
                                        ; implicit-def: $vgpr163
                                        ; implicit-def: $vgpr164
                                        ; implicit-def: $vgpr165
                                        ; implicit-def: $vgpr166
                                        ; implicit-def: $vgpr167
                                        ; implicit-def: $vgpr168
                                        ; implicit-def: $vgpr169
                                        ; implicit-def: $vgpr152_vgpr153
.LBB49_19:
	s_load_dwordx2 s[0:1], s[4:5], 0x4
	v_bfe_u32 v0, v0, 20, 10
	s_mul_hi_i32 s3, s14, s10
	s_mul_i32 s2, s14, s10
	s_sub_i32 s16, s42, s14
	s_waitcnt lgkmcnt(0)
	s_lshr_b32 s0, s0, 16
	s_mul_i32 s0, s0, s1
	v_mul_u32_u24_e32 v2, s1, v17
	v_mul_lo_u32 v3, s0, v148
	v_add3_u32 v0, v3, v2, v0
	v_lshl_add_u32 v3, v17, 1, v1
	v_lshlrev_b32_e32 v153, 4, v0
	s_lshl_b64 s[0:1], s[2:3], 2
	v_mul_lo_u32 v0, s10, v3
	s_add_u32 s4, s11, s0
	v_ashrrev_i32_e32 v1, 31, v0
	s_addc_u32 s5, s15, s1
	v_lshlrev_b64 v[6:7], 2, v[0:1]
	v_mov_b32_e32 v1, s5
	v_add_co_u32_e32 v6, vcc, s4, v6
	v_lshlrev_b32_e32 v16, 2, v16
	v_addc_co_u32_e32 v1, vcc, v1, v7, vcc
	v_add_co_u32_e32 v8, vcc, v6, v16
	s_mov_b64 s[0:1], src_shared_base
	v_addc_co_u32_e32 v9, vcc, 0, v1, vcc
	v_add_u32_e32 v4, 0x5800, v153
	v_mov_b32_e32 v2, 0
	v_mov_b32_e32 v7, s1
	v_cmp_gt_i32_e32 vcc, s16, v3
	v_add_u32_e32 v5, 0x5804, v153
	ds_write_b32 v153, v2 offset:22528
	ds_write2_b32 v5, v2, v2 offset1:1
	ds_write_b32 v153, v2 offset:22540
	v_cndmask_b32_e32 v11, v7, v9, vcc
	v_cndmask_b32_e32 v10, v4, v8, vcc
	flat_load_dwordx4 v[18:21], v[10:11]
	s_lshl_b32 s10, s10, 4
	v_add_u32_e32 v0, s10, v0
	v_ashrrev_i32_e32 v1, 31, v0
	s_movk_i32 s0, 0x110
	v_lshlrev_b64 v[10:11], 2, v[0:1]
	v_mad_u32_u24 v6, v3, s0, v16
	v_mov_b32_e32 v13, s5
	v_add_co_u32_e64 v1, s[0:1], s4, v10
	v_addc_co_u32_e64 v11, s[0:1], v13, v11, s[0:1]
	v_add_co_u32_e64 v10, s[0:1], v1, v16
	v_add_u32_e32 v12, 16, v3
	v_addc_co_u32_e64 v11, s[0:1], 0, v11, s[0:1]
	v_cmp_gt_i32_e64 s[0:1], s16, v12
	ds_write_b32 v153, v2 offset:22528
	ds_write2_b32 v5, v2, v2 offset1:1
	ds_write_b32 v153, v2 offset:22540
	v_cndmask_b32_e64 v13, v7, v11, s[0:1]
	v_cndmask_b32_e64 v12, v4, v10, s[0:1]
	v_add_u32_e32 v0, s10, v0
	v_ashrrev_i32_e32 v1, 31, v0
	v_mov_b32_e32 v23, s5
	v_add_u32_e32 v22, 32, v3
	v_add_u32_e32 v3, 48, v3
	s_movk_i32 s15, 0x100
	s_cmp_lg_u64 s[40:41], 0
	s_waitcnt vmcnt(0) lgkmcnt(0)
	ds_write_b128 v6, v[18:21]
	flat_load_dwordx4 v[18:21], v[12:13]
	v_lshlrev_b64 v[12:13], 2, v[0:1]
	v_add_co_u32_e64 v1, s[2:3], s4, v12
	v_addc_co_u32_e64 v13, s[2:3], v23, v13, s[2:3]
	v_add_co_u32_e64 v12, s[2:3], v1, v16
	v_addc_co_u32_e64 v13, s[2:3], 0, v13, s[2:3]
	v_cmp_gt_i32_e64 s[2:3], s16, v22
	v_cndmask_b32_e64 v23, v7, v13, s[2:3]
	v_cndmask_b32_e64 v22, v4, v12, s[2:3]
	v_add_u32_e32 v0, s10, v0
	v_ashrrev_i32_e32 v1, 31, v0
	v_lshlrev_b64 v[0:1], 2, v[0:1]
	v_add_co_u32_e64 v8, s[10:11], s15, v8
	v_addc_co_u32_e64 v9, s[10:11], 0, v9, s[10:11]
	v_cndmask_b32_e32 v8, v4, v8, vcc
	v_cndmask_b32_e32 v9, v7, v9, vcc
	ds_write_b32 v153, v2 offset:22528
	ds_write2_b32 v5, v2, v2 offset1:1
	ds_write_b32 v153, v2 offset:22540
	s_waitcnt vmcnt(0) lgkmcnt(0)
	ds_write_b128 v6, v[18:21] offset:4352
	flat_load_dwordx4 v[20:23], v[22:23]
	v_mov_b32_e32 v18, s5
	v_add_co_u32_e64 v0, s[4:5], s4, v0
	v_addc_co_u32_e64 v1, s[4:5], v18, v1, s[4:5]
	v_add_co_u32_e64 v16, s[4:5], v0, v16
	v_addc_co_u32_e64 v18, s[4:5], 0, v1, s[4:5]
	v_cmp_gt_i32_e64 s[4:5], s16, v3
	v_cndmask_b32_e64 v1, v7, v18, s[4:5]
	v_cndmask_b32_e64 v0, v4, v16, s[4:5]
	v_mul_u32_u24_e32 v3, 0x110, v148
	ds_write_b32 v153, v2 offset:22528
	ds_write2_b32 v5, v2, v2 offset1:1
	ds_write_b32 v153, v2 offset:22540
	s_waitcnt vmcnt(0) lgkmcnt(0)
	ds_write_b128 v6, v[20:23] offset:8704
	flat_load_dwordx4 v[20:23], v[0:1]
	v_mov_b32_e32 v0, 0
	v_mov_b32_e32 v1, 0
	s_waitcnt vmcnt(0) lgkmcnt(0)
	ds_write_b128 v6, v[20:23] offset:13056
	s_waitcnt lgkmcnt(0)
	s_barrier
	ds_read_b128 v[20:23], v37 offset:17408
	ds_read_b128 v[24:27], v3
	ds_read_b128 v[28:31], v3 offset:8704
	s_waitcnt lgkmcnt(1)
	;;#ASMSTART
	v_dot2_f32_f16 v0, v24, v20, v0
	;;#ASMEND
	;;#ASMSTART
	v_dot2_f32_f16 v0, v25, v21, v0
	;;#ASMEND
	;;#ASMSTART
	v_dot2_f32_f16 v0, v26, v22, v0
	;;#ASMEND
	;;#ASMSTART
	v_dot2_f32_f16 v0, v27, v23, v0
	;;#ASMEND
	s_waitcnt lgkmcnt(0)
	;;#ASMSTART
	v_dot2_f32_f16 v1, v28, v20, v1
	;;#ASMEND
	;;#ASMSTART
	v_dot2_f32_f16 v1, v29, v21, v1
	;;#ASMEND
	;;#ASMSTART
	v_dot2_f32_f16 v1, v30, v22, v1
	;;#ASMEND
	;;#ASMSTART
	v_dot2_f32_f16 v1, v31, v23, v1
	;;#ASMEND
	ds_read_b128 v[20:23], v37 offset:17424
	ds_read_b128 v[24:27], v3 offset:16
	ds_read_b128 v[28:31], v3 offset:8720
	s_waitcnt lgkmcnt(1)
	;;#ASMSTART
	v_dot2_f32_f16 v0, v24, v20, v0
	;;#ASMEND
	;;#ASMSTART
	v_dot2_f32_f16 v0, v25, v21, v0
	;;#ASMEND
	;;#ASMSTART
	v_dot2_f32_f16 v0, v26, v22, v0
	;;#ASMEND
	;;#ASMSTART
	v_dot2_f32_f16 v0, v27, v23, v0
	;;#ASMEND
	s_waitcnt lgkmcnt(0)
	;;#ASMSTART
	v_dot2_f32_f16 v1, v28, v20, v1
	;;#ASMEND
	;;#ASMSTART
	v_dot2_f32_f16 v1, v29, v21, v1
	;;#ASMEND
	;;#ASMSTART
	v_dot2_f32_f16 v1, v30, v22, v1
	;;#ASMEND
	;;#ASMSTART
	v_dot2_f32_f16 v1, v31, v23, v1
	;;#ASMEND
	ds_read_b128 v[20:23], v37 offset:17440
	ds_read_b128 v[24:27], v3 offset:32
	;; [unrolled: 29-line block ×15, first 2 shown]
	ds_read_b128 v[28:31], v3 offset:8944
	s_waitcnt lgkmcnt(1)
	;;#ASMSTART
	v_dot2_f32_f16 v0, v20, v24, v0
	;;#ASMEND
	;;#ASMSTART
	v_dot2_f32_f16 v0, v21, v25, v0
	;;#ASMEND
	;; [unrolled: 3-line block ×4, first 2 shown]
	s_waitcnt lgkmcnt(0)
	;;#ASMSTART
	v_dot2_f32_f16 v1, v28, v24, v1
	;;#ASMEND
	;;#ASMSTART
	v_dot2_f32_f16 v1, v29, v25, v1
	;;#ASMEND
	;; [unrolled: 3-line block ×4, first 2 shown]
	s_barrier
	ds_write_b32 v153, v2 offset:22528
	ds_write2_b32 v5, v2, v2 offset1:1
	ds_write_b32 v153, v2 offset:22540
	flat_load_dwordx4 v[20:23], v[8:9]
	v_add_co_u32_e32 v8, vcc, s15, v10
	v_addc_co_u32_e32 v9, vcc, 0, v11, vcc
	v_cndmask_b32_e64 v9, v7, v9, s[0:1]
	v_cndmask_b32_e64 v8, v4, v8, s[0:1]
	v_add_co_u32_e32 v12, vcc, s15, v12
	v_addc_co_u32_e32 v13, vcc, 0, v13, vcc
	v_cndmask_b32_e64 v13, v7, v13, s[2:3]
	v_cndmask_b32_e64 v12, v4, v12, s[2:3]
	s_cselect_b64 s[0:1], -1, 0
	ds_write_b32 v153, v2 offset:22528
	ds_write2_b32 v5, v2, v2 offset1:1
	ds_write_b32 v153, v2 offset:22540
	s_waitcnt vmcnt(0) lgkmcnt(0)
	ds_write_b128 v6, v[20:23]
	flat_load_dwordx4 v[8:11], v[8:9]
	ds_write_b32 v153, v2 offset:22528
	ds_write2_b32 v5, v2, v2 offset1:1
	ds_write_b32 v153, v2 offset:22540
	s_waitcnt vmcnt(0) lgkmcnt(0)
	ds_write_b128 v6, v[8:11] offset:4352
	flat_load_dwordx4 v[8:11], v[12:13]
	v_add_co_u32_e32 v12, vcc, s15, v16
	v_addc_co_u32_e32 v13, vcc, 0, v18, vcc
	v_cndmask_b32_e64 v13, v7, v13, s[4:5]
	v_cndmask_b32_e64 v12, v4, v12, s[4:5]
	v_mul_lo_u32 v16, v39, s18
	v_cmp_gt_i32_e32 vcc, s16, v148
	ds_write_b32 v153, v2 offset:22528
	ds_write2_b32 v5, v2, v2 offset1:1
	ds_write_b32 v153, v2 offset:22540
	s_waitcnt vmcnt(0) lgkmcnt(0)
	ds_write_b128 v6, v[8:11] offset:8704
	flat_load_dwordx4 v[8:11], v[12:13]
	s_waitcnt vmcnt(0) lgkmcnt(0)
	ds_write_b128 v6, v[8:11] offset:13056
	s_waitcnt lgkmcnt(0)
	s_barrier
	ds_read_b128 v[4:7], v37 offset:17664
	ds_read_b128 v[8:11], v3
	ds_read_b128 v[18:21], v3 offset:8704
	s_waitcnt lgkmcnt(1)
	;;#ASMSTART
	v_dot2_f32_f16 v0, v8, v4, v0
	;;#ASMEND
	;;#ASMSTART
	v_dot2_f32_f16 v0, v9, v5, v0
	;;#ASMEND
	;;#ASMSTART
	v_dot2_f32_f16 v0, v10, v6, v0
	;;#ASMEND
	;;#ASMSTART
	v_dot2_f32_f16 v0, v11, v7, v0
	;;#ASMEND
	s_waitcnt lgkmcnt(0)
	;;#ASMSTART
	v_dot2_f32_f16 v1, v18, v4, v1
	;;#ASMEND
	;;#ASMSTART
	v_dot2_f32_f16 v1, v19, v5, v1
	;;#ASMEND
	;;#ASMSTART
	v_dot2_f32_f16 v1, v20, v6, v1
	;;#ASMEND
	;;#ASMSTART
	v_dot2_f32_f16 v1, v21, v7, v1
	;;#ASMEND
	ds_read_b128 v[4:7], v37 offset:17680
	ds_read_b128 v[8:11], v3 offset:16
	ds_read_b128 v[18:21], v3 offset:8720
	s_waitcnt lgkmcnt(1)
	;;#ASMSTART
	v_dot2_f32_f16 v0, v8, v4, v0
	;;#ASMEND
	;;#ASMSTART
	v_dot2_f32_f16 v0, v9, v5, v0
	;;#ASMEND
	;;#ASMSTART
	v_dot2_f32_f16 v0, v10, v6, v0
	;;#ASMEND
	;;#ASMSTART
	v_dot2_f32_f16 v0, v11, v7, v0
	;;#ASMEND
	s_waitcnt lgkmcnt(0)
	;;#ASMSTART
	v_dot2_f32_f16 v1, v18, v4, v1
	;;#ASMEND
	;;#ASMSTART
	v_dot2_f32_f16 v1, v19, v5, v1
	;;#ASMEND
	;;#ASMSTART
	v_dot2_f32_f16 v1, v20, v6, v1
	;;#ASMEND
	;;#ASMSTART
	v_dot2_f32_f16 v1, v21, v7, v1
	;;#ASMEND
	ds_read_b128 v[4:7], v37 offset:17696
	ds_read_b128 v[8:11], v3 offset:32
	;; [unrolled: 29-line block ×15, first 2 shown]
	ds_read_b128 v[18:21], v3 offset:8944
	s_waitcnt lgkmcnt(1)
	;;#ASMSTART
	v_dot2_f32_f16 v0, v6, v10, v0
	;;#ASMEND
	;;#ASMSTART
	v_dot2_f32_f16 v0, v7, v11, v0
	;;#ASMEND
	;; [unrolled: 3-line block ×4, first 2 shown]
	s_waitcnt lgkmcnt(0)
	;;#ASMSTART
	v_dot2_f32_f16 v1, v18, v10, v1
	;;#ASMEND
	v_cndmask_b32_e64 v5, 0, 1, s[0:1]
	;;#ASMSTART
	v_dot2_f32_f16 v1, v19, v11, v1
	;;#ASMEND
	v_add_u32_e32 v4, s14, v16
	v_cmp_ne_u32_e64 s[0:1], 1, v5
	;;#ASMSTART
	v_dot2_f32_f16 v1, v20, v12, v1
	;;#ASMEND
	v_mov_b32_e32 v3, v150
	;;#ASMSTART
	v_dot2_f32_f16 v1, v21, v13, v1
	;;#ASMEND
	s_and_saveexec_b64 s[2:3], vcc
	s_cbranch_execz .LBB49_23
; %bb.20:
	s_and_b64 vcc, exec, s[0:1]
	s_cbranch_vccnz .LBB49_22
; %bb.21:
	v_add_u32_e32 v2, v4, v148
	v_ashrrev_i32_e32 v3, 31, v2
	v_lshlrev_b64 v[2:3], 1, v[2:3]
	v_mov_b32_e32 v5, s41
	v_add_co_u32_e32 v2, vcc, s40, v2
	v_addc_co_u32_e32 v3, vcc, v5, v3, vcc
	flat_load_ushort v2, v[2:3]
	s_waitcnt vmcnt(0) lgkmcnt(0)
	v_cvt_f32_f16_e32 v2, v2
	v_mul_f32_e32 v2, v38, v2
.LBB49_22:
	v_add_f32_e32 v0, v0, v2
	v_add_f32_e32 v2, 0x40051340, v0
	v_max_f32_e32 v3, v150, v150
	v_max_f32_e32 v3, v3, v2
.LBB49_23:
	s_or_b64 exec, exec, s[2:3]
	v_add_u32_e32 v2, 32, v148
	v_cmp_gt_i32_e32 vcc, s16, v2
	s_and_saveexec_b64 s[2:3], vcc
	s_cbranch_execz .LBB49_28
; %bb.24:
	s_and_b64 vcc, exec, s[0:1]
	s_cbranch_vccnz .LBB49_26
; %bb.25:
	v_ashrrev_i32_e32 v5, 31, v4
	v_add_co_u32_e32 v4, vcc, v4, v148
	v_addc_co_u32_e32 v5, vcc, 0, v5, vcc
	v_lshlrev_b64 v[4:5], 1, v[4:5]
	v_mov_b32_e32 v6, s41
	v_add_co_u32_e32 v4, vcc, s40, v4
	v_addc_co_u32_e32 v5, vcc, v6, v5, vcc
	flat_load_ushort v4, v[4:5] offset:64
	s_waitcnt vmcnt(0) lgkmcnt(0)
	v_cvt_f32_f16_e32 v4, v4
	v_mul_f32_e32 v4, v38, v4
	s_branch .LBB49_27
.LBB49_26:
	v_mov_b32_e32 v4, 0
.LBB49_27:
	v_add_f32_e32 v1, v1, v4
	v_add_f32_e32 v4, 0x40051340, v1
	v_max_f32_e32 v3, v3, v3
	v_max_f32_e32 v3, v3, v4
.LBB49_28:
	s_or_b64 exec, exec, s[2:3]
	v_mbcnt_hi_u32_b32 v163, -1, v40
	v_and_b32_e32 v4, 0x60, v163
	v_add_u32_e32 v164, 32, v4
	v_xor_b32_e32 v165, 16, v163
	v_cmp_lt_i32_e32 vcc, v165, v164
	v_cndmask_b32_e32 v4, v163, v165, vcc
	v_lshlrev_b32_e32 v4, 2, v4
	ds_bpermute_b32 v4, v4, v3
	v_xor_b32_e32 v166, 8, v163
	v_max_f32_e32 v3, v3, v3
	v_cmp_lt_i32_e32 vcc, v166, v164
	v_xor_b32_e32 v167, 4, v163
	s_waitcnt lgkmcnt(0)
	v_max_f32_e32 v4, v4, v4
	v_max_f32_e32 v3, v3, v4
	v_cndmask_b32_e32 v4, v163, v166, vcc
	v_lshlrev_b32_e32 v4, 2, v4
	ds_bpermute_b32 v4, v4, v3
	v_cmp_lt_i32_e32 vcc, v167, v164
	v_xor_b32_e32 v168, 2, v163
	v_xor_b32_e32 v169, 1, v163
	s_mov_b32 s0, 0x3fb8aa3b
	s_waitcnt lgkmcnt(0)
	v_max_f32_e32 v4, v4, v4
	v_max_f32_e32 v3, v3, v4
	v_cndmask_b32_e32 v4, v163, v167, vcc
	v_lshlrev_b32_e32 v4, 2, v4
	ds_bpermute_b32 v4, v4, v3
	v_cmp_lt_i32_e32 vcc, v168, v164
	s_mov_b32 s1, 0xc2ce8ed0
	s_mov_b32 s2, 0x42b17218
	v_mov_b32_e32 v183, 0x7f800000
	s_waitcnt lgkmcnt(0)
	v_max_f32_e32 v4, v4, v4
	v_max_f32_e32 v3, v3, v4
	v_cndmask_b32_e32 v4, v163, v168, vcc
	v_lshlrev_b32_e32 v4, 2, v4
	ds_bpermute_b32 v4, v4, v3
	v_cmp_lt_i32_e32 vcc, v169, v164
	s_movk_i32 s3, 0x5400
	s_mul_hi_i32 s11, s14, s8
	s_mul_i32 s10, s14, s8
	s_waitcnt lgkmcnt(0)
	v_max_f32_e32 v4, v4, v4
	v_max_f32_e32 v3, v3, v4
	v_cndmask_b32_e32 v4, v163, v169, vcc
	v_lshlrev_b32_e32 v4, 2, v4
	ds_bpermute_b32 v4, v4, v3
	s_mov_b64 s[4:5], src_shared_base
	s_lshl_b64 s[10:11], s[10:11], 2
	s_waitcnt lgkmcnt(0)
	s_barrier
	v_max_f32_e32 v4, v4, v4
	v_max_f32_e32 v152, v3, v4
	v_pk_add_f32 v[0:1], v[0:1], v[152:153] op_sel_hi:[1,0] neg_lo:[0,1] neg_hi:[0,1]
	v_mul_f32_e32 v3, 0x3fb8aa3b, v0
	v_fma_f32 v4, v0, s0, -v3
	v_rndne_f32_e32 v5, v3
	v_fmac_f32_e32 v4, 0x32a5705f, v0
	v_sub_f32_e32 v3, v3, v5
	v_add_f32_e32 v3, v3, v4
	v_exp_f32_e32 v3, v3
	v_cvt_i32_f32_e32 v4, v5
	v_cmp_ngt_f32_e32 vcc, s1, v0
	v_lshlrev_b32_e32 v185, 2, v151
	v_ldexp_f32 v3, v3, v4
	v_mul_f32_e32 v4, 0x3fb8aa3b, v1
	v_fma_f32 v5, v1, s0, -v4
	v_rndne_f32_e32 v6, v4
	v_fmac_f32_e32 v5, 0x32a5705f, v1
	v_sub_f32_e32 v4, v4, v6
	v_add_f32_e32 v4, v4, v5
	v_exp_f32_e32 v4, v4
	v_cvt_i32_f32_e32 v5, v6
	v_cndmask_b32_e32 v3, 0, v3, vcc
	v_cmp_nlt_f32_e32 vcc, s2, v0
	v_cndmask_b32_e32 v0, v183, v3, vcc
	v_ldexp_f32 v3, v4, v5
	v_cmp_ngt_f32_e32 vcc, s1, v1
	v_cndmask_b32_e32 v3, 0, v3, vcc
	v_cmp_nlt_f32_e32 vcc, s2, v1
	v_cndmask_b32_e32 v1, v183, v3, vcc
	v_cmp_gt_u32_e32 vcc, s16, v2
	v_cndmask_b32_e32 v172, 0, v1, vcc
	v_cmp_gt_u32_e32 vcc, s16, v148
	v_cndmask_b32_e32 v173, 0, v0, vcc
	v_cvt_f16_f32_e32 v0, v173
	v_cvt_f16_f32_e32 v1, v172
	v_add3_u32 v2, v156, s3, v36
	s_lshl_b32 s3, s8, 3
	s_add_u32 s4, s12, s10
	s_addc_u32 s10, s13, s11
	v_lshlrev_b64 v[4:5], 2, v[14:15]
	ds_write_b16 v2, v0
	ds_write_b16 v2, v1 offset:64
	v_mov_b32_e32 v0, s10
	v_add_co_u32_e32 v1, vcc, s4, v4
	v_addc_co_u32_e32 v0, vcc, v0, v5, vcc
	v_add_co_u32_e32 v2, vcc, v1, v185
	v_addc_co_u32_e32 v0, vcc, 0, v0, vcc
	v_add_u32_e32 v182, 0x6800, v153
	v_mov_b32_e32 v170, 0
	v_mov_b32_e32 v190, s5
	v_cmp_gt_i32_e32 vcc, s16, v17
	v_add_u32_e32 v171, 0x6804, v153
	ds_write_b32 v153, v170 offset:26624
	ds_write2_b32 v171, v170, v170 offset1:1
	ds_write_b32 v153, v170 offset:26636
	v_cndmask_b32_e32 v1, v190, v0, vcc
	v_cndmask_b32_e32 v0, v182, v2, vcc
	flat_load_dwordx4 v[0:3], v[0:1]
	v_add_u32_e32 v6, s3, v14
	v_ashrrev_i32_e32 v7, 31, v6
	v_lshlrev_b64 v[146:147], 2, v[6:7]
	v_mov_b32_e32 v7, s10
	v_add_co_u32_e32 v8, vcc, s4, v146
	v_addc_co_u32_e32 v7, vcc, v7, v147, vcc
	v_add_co_u32_e32 v8, vcc, v8, v185
	v_add_u32_e32 v191, 8, v17
	v_addc_co_u32_e32 v7, vcc, 0, v7, vcc
	v_cmp_gt_i32_e32 vcc, s16, v191
	v_add_u32_e32 v192, v37, v185
	v_cndmask_b32_e32 v9, v190, v7, vcc
	v_cndmask_b32_e32 v8, v182, v8, vcc
	v_add_u32_e32 v6, s3, v6
	v_ashrrev_i32_e32 v7, 31, v6
	v_lshlrev_b64 v[144:145], 2, v[6:7]
	v_mov_b32_e32 v7, s10
	v_add_u32_e32 v193, 16, v17
	v_lshl_add_u32 v194, v191, 9, v185
	v_add_u32_e32 v6, s3, v6
	v_add_u32_e32 v195, 24, v17
	v_lshl_add_u32 v176, v193, 9, v185
	s_or_b32 s3, s14, 32
	s_mul_hi_i32 s5, s3, s8
	v_lshl_add_u32 v184, v195, 9, v185
	v_add_u32_e32 v174, 0x800, v157
	v_add_u32_e32 v175, 0x1000, v157
	;; [unrolled: 1-line block ×7, first 2 shown]
	v_sub_f32_e32 v150, v150, v152
	v_add_f32_e32 v172, v173, v172
	ds_write_b32 v153, v170 offset:26624
	ds_write2_b32 v171, v170, v170 offset1:1
	ds_write_b32 v153, v170 offset:26636
	s_waitcnt vmcnt(0) lgkmcnt(0)
	ds_write_b128 v192, v[0:3]
	flat_load_dwordx4 v[0:3], v[8:9]
	v_add_co_u32_e32 v8, vcc, s4, v144
	v_addc_co_u32_e32 v7, vcc, v7, v145, vcc
	v_add_co_u32_e32 v8, vcc, v8, v185
	v_addc_co_u32_e32 v7, vcc, 0, v7, vcc
	v_cmp_gt_i32_e32 vcc, s16, v193
	v_cndmask_b32_e32 v9, v190, v7, vcc
	v_cndmask_b32_e32 v8, v182, v8, vcc
	v_ashrrev_i32_e32 v7, 31, v6
	v_lshlrev_b64 v[154:155], 2, v[6:7]
	v_add_co_u32_e32 v6, vcc, s4, v154
	s_mul_i32 s4, s3, s8
	s_lshl_b64 s[4:5], s[4:5], 2
	s_add_u32 s3, s12, s4
	s_addc_u32 s4, s13, s5
	s_sub_i32 s5, s16, 32
	v_mov_b32_e32 v196, s4
	ds_write_b32 v153, v170 offset:26624
	ds_write2_b32 v171, v170, v170 offset1:1
	ds_write_b32 v153, v170 offset:26636
	s_waitcnt vmcnt(0) lgkmcnt(0)
	ds_write_b128 v194, v[0:3]
	flat_load_dwordx4 v[0:3], v[8:9]
	v_mov_b32_e32 v8, s10
	v_addc_co_u32_e32 v7, vcc, v8, v155, vcc
	v_add_co_u32_e32 v6, vcc, v6, v185
	v_addc_co_u32_e32 v7, vcc, 0, v7, vcc
	v_cmp_gt_i32_e32 vcc, s16, v195
	v_cndmask_b32_e32 v7, v190, v7, vcc
	v_cndmask_b32_e32 v6, v182, v6, vcc
	v_add_co_u32_e32 v4, vcc, s3, v4
	ds_write_b32 v153, v170 offset:26624
	ds_write2_b32 v171, v170, v170 offset1:1
	ds_write_b32 v153, v170 offset:26636
	s_waitcnt vmcnt(0) lgkmcnt(0)
	ds_write_b128 v176, v[0:3]
	flat_load_dwordx4 v[0:3], v[6:7]
	v_mov_b32_e32 v6, s4
	v_addc_co_u32_e32 v5, vcc, v6, v5, vcc
	v_add_co_u32_e32 v4, vcc, v4, v185
	v_addc_co_u32_e32 v5, vcc, 0, v5, vcc
	v_cmp_gt_i32_e32 vcc, s5, v17
	v_cndmask_b32_e32 v187, v190, v5, vcc
	v_cndmask_b32_e32 v186, v182, v4, vcc
	v_add_co_u32_e32 v146, vcc, s3, v146
	v_addc_co_u32_e32 v147, vcc, v196, v147, vcc
	v_add_co_u32_e32 v146, vcc, v146, v185
	v_addc_co_u32_e32 v147, vcc, 0, v147, vcc
	v_cmp_gt_i32_e32 vcc, s5, v191
	v_cndmask_b32_e32 v147, v190, v147, vcc
	v_cndmask_b32_e32 v146, v182, v146, vcc
	v_add_co_u32_e32 v144, vcc, s3, v144
	s_waitcnt vmcnt(0) lgkmcnt(0)
	ds_write_b128 v184, v[0:3]
	s_waitcnt lgkmcnt(0)
	s_barrier
	ds_read2_b64 v[140:143], v157 offset1:32
	ds_read_b128 v[96:99], v156 offset:21504
	ds_read_b128 v[52:55], v156 offset:21520
	;; [unrolled: 1-line block ×4, first 2 shown]
	ds_read2_b64 v[136:139], v157 offset0:64 offset1:96
	ds_read2_b64 v[132:135], v157 offset0:128 offset1:160
	ds_read2_b64 v[128:131], v157 offset0:192 offset1:224
	ds_read2_b64 v[124:127], v174 offset1:32
	ds_read2_b64 v[120:123], v174 offset0:64 offset1:96
	ds_read2_b64 v[116:119], v174 offset0:128 offset1:160
	ds_read2_b64 v[112:115], v174 offset0:192 offset1:224
	ds_read2_b64 v[108:111], v175 offset1:32
	;; [unrolled: 4-line block ×7, first 2 shown]
	ds_read2_b64 v[16:19], v181 offset0:64 offset1:96
	ds_read2_b64 v[12:15], v181 offset0:128 offset1:160
	;; [unrolled: 1-line block ×3, first 2 shown]
	s_waitcnt lgkmcnt(0)
	s_barrier
	ds_write_b32 v153, v170 offset:26624
	ds_write2_b32 v171, v170, v170 offset1:1
	ds_write_b32 v153, v170 offset:26636
	flat_load_dwordx4 v[186:189], v[186:187]
	v_pk_mul_f16 v140, v140, v96 op_sel_hi:[1,0]
	v_pk_mul_f16 v141, v141, v96 op_sel_hi:[1,0]
	ds_write_b32 v153, v170 offset:26624
	ds_write2_b32 v171, v170, v170 offset1:1
	ds_write_b32 v153, v170 offset:26636
	s_waitcnt vmcnt(0) lgkmcnt(0)
	ds_write_b128 v192, v[186:189]
	flat_load_dwordx4 v[186:189], v[146:147]
	v_mov_b32_e32 v146, s4
	v_addc_co_u32_e32 v145, vcc, v146, v145, vcc
	v_mov_b32_e32 v147, s4
	v_add_co_u32_e32 v154, vcc, s3, v154
	v_addc_co_u32_e32 v155, vcc, v147, v155, vcc
	v_add_co_u32_e32 v144, vcc, v144, v185
	v_addc_co_u32_e32 v145, vcc, 0, v145, vcc
	v_cmp_gt_i32_e32 vcc, s5, v193
	v_cndmask_b32_e32 v145, v190, v145, vcc
	v_cndmask_b32_e32 v144, v182, v144, vcc
	v_add_co_u32_e32 v154, vcc, v154, v185
	v_mul_f32_e32 v185, 0x3fb8aa3b, v150
	v_addc_co_u32_e32 v155, vcc, 0, v155, vcc
	v_cmp_gt_i32_e32 vcc, s5, v195
	v_cndmask_b32_e32 v155, v190, v155, vcc
	v_cndmask_b32_e32 v154, v182, v154, vcc
	v_cmp_ngt_f32_e32 vcc, s1, v150
	ds_write_b32 v153, v170 offset:26624
	ds_write2_b32 v171, v170, v170 offset1:1
	ds_write_b32 v153, v170 offset:26636
	s_waitcnt vmcnt(0) lgkmcnt(0)
	ds_write_b128 v194, v[186:189]
	flat_load_dwordx4 v[144:147], v[144:145]
	v_fma_f32 v186, v150, s0, -v185
	v_rndne_f32_e32 v187, v185
	v_fmac_f32_e32 v186, 0x32a5705f, v150
	v_sub_f32_e32 v185, v185, v187
	v_add_f32_e32 v185, v185, v186
	v_cvt_i32_f32_e32 v187, v187
	v_exp_f32_e32 v185, v185
	ds_write_b32 v153, v170 offset:26624
	ds_write2_b32 v171, v170, v170 offset1:1
	ds_write_b32 v153, v170 offset:26636
	s_waitcnt vmcnt(0) lgkmcnt(0)
	ds_write_b128 v176, v[144:147]
	v_ldexp_f32 v182, v185, v187
	v_cndmask_b32_e32 v182, 0, v182, vcc
	v_cmp_nlt_f32_e32 vcc, s2, v150
	v_cndmask_b32_e32 v182, v183, v182, vcc
	v_cvt_f16_f32_e32 v183, v182
	v_fmac_f32_e32 v172, v162, v182
	v_mov_b32_e32 v150, v152
	v_mov_b32_e32 v162, v172
	v_pk_mul_f16 v161, v183, v161 op_sel_hi:[0,1]
	v_pk_mul_f16 v158, v183, v158 op_sel_hi:[0,1]
	v_pk_fma_f16 v142, v142, v96, v161 op_sel_hi:[1,0,1]
	v_pk_fma_f16 v143, v143, v96, v158 op_sel_hi:[1,0,1]
	v_pk_fma_f16 v140, v159, v183, v140 op_sel_hi:[1,0,1]
	v_pk_fma_f16 v141, v160, v183, v141 op_sel_hi:[1,0,1]
	v_pk_fma_f16 v138, v138, v96, v142 op_sel:[0,1,0]
	v_pk_fma_f16 v139, v139, v96, v143 op_sel:[0,1,0]
	v_pk_fma_f16 v136, v136, v96, v140 op_sel:[0,1,0]
	v_pk_fma_f16 v96, v137, v96, v141 op_sel:[0,1,0]
	v_pk_fma_f16 v134, v134, v97, v138 op_sel_hi:[1,0,1]
	v_pk_fma_f16 v135, v135, v97, v139 op_sel_hi:[1,0,1]
	v_pk_fma_f16 v132, v132, v97, v136 op_sel_hi:[1,0,1]
	v_pk_fma_f16 v96, v133, v97, v96 op_sel_hi:[1,0,1]
	v_pk_fma_f16 v130, v130, v97, v134 op_sel:[0,1,0]
	v_pk_fma_f16 v131, v131, v97, v135 op_sel:[0,1,0]
	v_pk_fma_f16 v128, v128, v97, v132 op_sel:[0,1,0]
	v_pk_fma_f16 v96, v129, v97, v96 op_sel:[0,1,0]
	;; [unrolled: 8-line block ×6, first 2 shown]
	v_pk_fma_f16 v53, v90, v54, v94 op_sel_hi:[1,0,1]
	flat_load_dwordx4 v[92:95], v[154:155]
	v_pk_fma_f16 v90, v91, v54, v96 op_sel_hi:[1,0,1]
	v_pk_fma_f16 v88, v88, v54, v97 op_sel_hi:[1,0,1]
	v_pk_fma_f16 v52, v89, v54, v52 op_sel_hi:[1,0,1]
	v_pk_fma_f16 v53, v86, v54, v53 op_sel:[0,1,0]
	v_pk_fma_f16 v86, v87, v54, v90 op_sel:[0,1,0]
	v_pk_fma_f16 v84, v84, v54, v88 op_sel:[0,1,0]
	v_pk_fma_f16 v52, v85, v54, v52 op_sel:[0,1,0]
	v_pk_fma_f16 v53, v82, v55, v53 op_sel_hi:[1,0,1]
	v_pk_fma_f16 v54, v83, v55, v86 op_sel_hi:[1,0,1]
	v_pk_fma_f16 v80, v80, v55, v84 op_sel_hi:[1,0,1]
	v_pk_fma_f16 v52, v81, v55, v52 op_sel_hi:[1,0,1]
	v_pk_fma_f16 v53, v78, v55, v53 op_sel:[0,1,0]
	v_pk_fma_f16 v54, v79, v55, v54 op_sel:[0,1,0]
	v_pk_fma_f16 v76, v76, v55, v80 op_sel:[0,1,0]
	v_pk_fma_f16 v52, v77, v55, v52 op_sel:[0,1,0]
	v_pk_fma_f16 v53, v74, v4, v53 op_sel_hi:[1,0,1]
	;; [unrolled: 8-line block ×9, first 2 shown]
	v_pk_fma_f16 v2, v15, v3, v4 op_sel_hi:[1,0,1]
	v_pk_fma_f16 v4, v12, v3, v5 op_sel_hi:[1,0,1]
	v_pk_fma_f16 v0, v13, v3, v0 op_sel_hi:[1,0,1]
	v_pk_fma_f16 v144, v10, v3, v1 op_sel:[0,1,0]
	v_pk_fma_f16 v145, v11, v3, v2 op_sel:[0,1,0]
	;; [unrolled: 1-line block ×4, first 2 shown]
	s_waitcnt vmcnt(0) lgkmcnt(0)
	ds_write_b128 v184, v[92:95]
	s_waitcnt lgkmcnt(0)
	s_barrier
	ds_read2_b64 v[0:3], v157 offset1:32
	ds_read_b128 v[4:7], v156 offset:21568
	ds_read_b128 v[8:11], v156 offset:21584
	;; [unrolled: 1-line block ×4, first 2 shown]
	ds_read2_b64 v[20:23], v157 offset0:64 offset1:96
	ds_read2_b64 v[24:27], v157 offset0:128 offset1:160
	ds_read2_b64 v[28:31], v157 offset0:192 offset1:224
	ds_read2_b64 v[32:35], v174 offset1:32
	ds_read2_b64 v[36:39], v174 offset0:64 offset1:96
	ds_read2_b64 v[40:43], v174 offset0:128 offset1:160
	ds_read2_b64 v[44:47], v174 offset0:192 offset1:224
	ds_read2_b64 v[48:51], v175 offset1:32
	ds_read2_b64 v[52:55], v175 offset0:64 offset1:96
	ds_read2_b64 v[56:59], v175 offset0:128 offset1:160
	ds_read2_b64 v[60:63], v175 offset0:192 offset1:224
	ds_read2_b64 v[64:67], v177 offset1:32
	ds_read2_b64 v[68:71], v177 offset0:64 offset1:96
	ds_read2_b64 v[72:75], v177 offset0:128 offset1:160
	ds_read2_b64 v[76:79], v177 offset0:192 offset1:224
	ds_read2_b64 v[80:83], v178 offset1:32
	ds_read2_b64 v[84:87], v178 offset0:64 offset1:96
	ds_read2_b64 v[88:91], v178 offset0:128 offset1:160
	ds_read2_b64 v[92:95], v178 offset0:192 offset1:224
	ds_read2_b64 v[96:99], v179 offset1:32
	ds_read2_b64 v[100:103], v179 offset0:64 offset1:96
	ds_read2_b64 v[104:107], v179 offset0:128 offset1:160
	ds_read2_b64 v[108:111], v179 offset0:192 offset1:224
	ds_read2_b64 v[112:115], v180 offset1:32
	ds_read2_b64 v[116:119], v180 offset0:64 offset1:96
	ds_read2_b64 v[120:123], v180 offset0:128 offset1:160
	ds_read2_b64 v[124:127], v180 offset0:192 offset1:224
	ds_read2_b64 v[128:131], v181 offset1:32
	ds_read2_b64 v[132:135], v181 offset0:64 offset1:96
	ds_read2_b64 v[136:139], v181 offset0:128 offset1:160
	;; [unrolled: 1-line block ×3, first 2 shown]
	s_waitcnt lgkmcnt(14)
	v_pk_fma_f16 v0, v0, v4, v146 op_sel_hi:[1,0,1]
	v_pk_fma_f16 v1, v1, v4, v147 op_sel_hi:[1,0,1]
	v_pk_fma_f16 v2, v2, v4, v144 op_sel_hi:[1,0,1]
	v_pk_fma_f16 v3, v3, v4, v145 op_sel_hi:[1,0,1]
	v_pk_fma_f16 v0, v20, v4, v0 op_sel:[0,1,0]
	v_pk_fma_f16 v1, v21, v4, v1 op_sel:[0,1,0]
	v_pk_fma_f16 v2, v22, v4, v2 op_sel:[0,1,0]
	v_pk_fma_f16 v3, v23, v4, v3 op_sel:[0,1,0]
	v_pk_fma_f16 v0, v24, v5, v0 op_sel_hi:[1,0,1]
	v_pk_fma_f16 v1, v25, v5, v1 op_sel_hi:[1,0,1]
	v_pk_fma_f16 v2, v26, v5, v2 op_sel_hi:[1,0,1]
	v_pk_fma_f16 v3, v27, v5, v3 op_sel_hi:[1,0,1]
	v_pk_fma_f16 v0, v28, v5, v0 op_sel:[0,1,0]
	v_pk_fma_f16 v1, v29, v5, v1 op_sel:[0,1,0]
	v_pk_fma_f16 v2, v30, v5, v2 op_sel:[0,1,0]
	v_pk_fma_f16 v3, v31, v5, v3 op_sel:[0,1,0]
	;; [unrolled: 8-line block ×9, first 2 shown]
	s_waitcnt lgkmcnt(13)
	v_pk_fma_f16 v0, v88, v13, v0 op_sel_hi:[1,0,1]
	v_pk_fma_f16 v1, v89, v13, v1 op_sel_hi:[1,0,1]
	v_pk_fma_f16 v2, v90, v13, v2 op_sel_hi:[1,0,1]
	v_pk_fma_f16 v3, v91, v13, v3 op_sel_hi:[1,0,1]
	s_waitcnt lgkmcnt(12)
	v_pk_fma_f16 v0, v92, v13, v0 op_sel:[0,1,0]
	v_pk_fma_f16 v1, v93, v13, v1 op_sel:[0,1,0]
	v_pk_fma_f16 v2, v94, v13, v2 op_sel:[0,1,0]
	v_pk_fma_f16 v3, v95, v13, v3 op_sel:[0,1,0]
	s_waitcnt lgkmcnt(11)
	v_pk_fma_f16 v0, v96, v14, v0 op_sel_hi:[1,0,1]
	v_pk_fma_f16 v1, v97, v14, v1 op_sel_hi:[1,0,1]
	v_pk_fma_f16 v2, v98, v14, v2 op_sel_hi:[1,0,1]
	v_pk_fma_f16 v3, v99, v14, v3 op_sel_hi:[1,0,1]
	s_waitcnt lgkmcnt(10)
	v_pk_fma_f16 v0, v100, v14, v0 op_sel:[0,1,0]
	v_pk_fma_f16 v1, v101, v14, v1 op_sel:[0,1,0]
	v_pk_fma_f16 v2, v102, v14, v2 op_sel:[0,1,0]
	v_pk_fma_f16 v3, v103, v14, v3 op_sel:[0,1,0]
	;; [unrolled: 10-line block ×7, first 2 shown]
	s_barrier
.LBB49_29:
	v_cmp_lt_i32_e32 vcc, v165, v164
	v_cndmask_b32_e32 v0, v163, v165, vcc
	v_lshlrev_b32_e32 v0, 2, v0
	ds_bpermute_b32 v0, v0, v162
	v_cmp_lt_i32_e32 vcc, v166, v164
	v_cndmask_b32_e32 v1, v163, v166, vcc
	v_lshlrev_b32_e32 v1, 2, v1
	v_cmp_lt_i32_e32 vcc, v167, v164
	s_waitcnt lgkmcnt(0)
	v_add_f32_e32 v0, v162, v0
	ds_bpermute_b32 v1, v1, v0
	v_cndmask_b32_e32 v2, v163, v167, vcc
	v_lshlrev_b32_e32 v2, 2, v2
	v_cmp_lt_i32_e32 vcc, v168, v164
	s_cmp_eq_u64 s[20:21], 0
	s_waitcnt lgkmcnt(0)
	v_add_f32_e32 v0, v0, v1
	ds_bpermute_b32 v1, v2, v0
	v_cndmask_b32_e32 v2, v163, v168, vcc
	v_lshlrev_b32_e32 v2, 2, v2
	v_cmp_lt_i32_e32 vcc, v169, v164
	s_cselect_b64 s[0:1], -1, 0
	s_waitcnt lgkmcnt(0)
	v_add_f32_e32 v0, v0, v1
	ds_bpermute_b32 v1, v2, v0
	v_cndmask_b32_e32 v2, v163, v169, vcc
	v_lshlrev_b32_e32 v2, 2, v2
	s_cmp_lg_u32 s9, 0
	s_cselect_b64 s[2:3], -1, 0
	s_waitcnt lgkmcnt(0)
	v_add_f32_e32 v0, v0, v1
	ds_bpermute_b32 v1, v2, v0
	s_or_b64 s[0:1], s[2:3], s[0:1]
	s_and_b64 vcc, exec, s[0:1]
	s_waitcnt lgkmcnt(0)
	v_add_f32_e32 v153, v0, v1
	s_cbranch_vccnz .LBB49_32
; %bb.30:
	s_lshl_b64 s[0:1], s[34:35], 2
	s_add_u32 s0, s20, s0
	s_addc_u32 s1, s21, s1
	v_mov_b32_e32 v0, 0
	global_load_dword v1, v0, s[0:1]
	v_max_f32_e32 v0, v150, v150
	s_mov_b32 s0, 0x3fb8aa3b
	s_mov_b32 s1, 0xc2ce8ed0
	s_waitcnt vmcnt(0)
	v_max_f32_e32 v2, v1, v1
	v_max_f32_e32 v0, v0, v2
	v_sub_f32_e32 v2, v150, v0
	v_sub_f32_e32 v1, v1, v0
	v_mul_f32_e32 v3, 0x3fb8aa3b, v2
	v_mul_f32_e32 v4, 0x3fb8aa3b, v1
	v_fma_f32 v5, v2, s0, -v3
	v_rndne_f32_e32 v6, v3
	v_fma_f32 v7, v1, s0, -v4
	v_rndne_f32_e32 v8, v4
	v_fmac_f32_e32 v5, 0x32a5705f, v2
	v_sub_f32_e32 v3, v3, v6
	v_fmac_f32_e32 v7, 0x32a5705f, v1
	v_sub_f32_e32 v4, v4, v8
	v_add_f32_e32 v3, v3, v5
	v_cvt_i32_f32_e32 v6, v6
	v_add_f32_e32 v4, v4, v7
	v_exp_f32_e32 v3, v3
	v_cvt_i32_f32_e32 v8, v8
	v_exp_f32_e32 v4, v4
	v_cmp_ngt_f32_e32 vcc, s1, v2
	v_ldexp_f32 v3, v3, v6
	s_mov_b32 s0, 0x42b17218
	v_ldexp_f32 v4, v4, v8
	v_cndmask_b32_e32 v3, 0, v3, vcc
	v_cmp_ngt_f32_e32 vcc, s1, v1
	v_mov_b32_e32 v5, 0x7f800000
	v_cndmask_b32_e32 v4, 0, v4, vcc
	v_cmp_nlt_f32_e32 vcc, s0, v2
	v_cndmask_b32_e32 v2, v5, v3, vcc
	v_cvt_f16_f32_e32 v3, v2
	v_cmp_nlt_f32_e32 vcc, s0, v1
	v_cndmask_b32_e32 v1, v5, v4, vcc
	v_fmac_f32_e32 v1, v153, v2
	v_pk_mul_f16 v159, v3, v159 op_sel_hi:[0,1]
	v_pk_mul_f16 v160, v3, v160 op_sel_hi:[0,1]
	;; [unrolled: 1-line block ×4, first 2 shown]
	v_mov_b32_e32 v153, v1
	v_cmp_gt_i32_e32 vcc, s30, v149
	s_and_saveexec_b64 s[0:1], vcc
	s_cbranch_execnz .LBB49_33
.LBB49_31:
	s_endpgm
.LBB49_32:
	v_pk_mov_b32 v[0:1], v[152:153], v[152:153] op_sel:[0,1]
	v_cmp_gt_i32_e32 vcc, s30, v149
	s_and_saveexec_b64 s[0:1], vcc
	s_cbranch_execz .LBB49_31
.LBB49_33:
	v_div_scale_f32 v2, s[0:1], v153, v153, 1.0
	v_rcp_f32_e32 v3, v2
	s_load_dword s2, s[6:7], 0xd4
	s_mul_i32 s33, s33, s30
	v_cvt_f32_f16_sdwa v7, v159 dst_sel:DWORD dst_unused:UNUSED_PAD src0_sel:WORD_1
	v_fma_f32 v4, -v2, v3, 1.0
	v_fmac_f32_e32 v3, v4, v3
	v_div_scale_f32 v4, vcc, 1.0, v153, 1.0
	v_mul_f32_e32 v5, v4, v3
	v_fma_f32 v6, -v2, v5, v4
	v_fmac_f32_e32 v5, v6, v3
	v_fma_f32 v2, -v2, v5, v4
	s_waitcnt lgkmcnt(0)
	s_cmp_lg_u32 s2, 1
	v_div_fmas_f32 v2, v2, v3, v5
	v_div_fixup_f32 v2, v2, v153, 1.0
	s_cselect_b64 s[0:1], -1, 0
	v_cndmask_b32_e64 v8, v2, 1.0, s[0:1]
	v_add_u32_e32 v2, s33, v149
	v_mul_lo_u32 v2, v2, s31
	v_add_u32_e32 v2, s34, v2
	v_mul_lo_u32 v2, s2, v2
	v_add_u32_e32 v2, s9, v2
	v_cvt_f32_f16_e32 v6, v159
	v_cvt_f32_f16_sdwa v13, v160 dst_sel:DWORD dst_unused:UNUSED_PAD src0_sel:WORD_1
	v_cvt_f32_f16_e32 v12, v160
	v_lshl_add_u32 v10, v2, 8, v151
	v_mov_b32_e32 v11, 0
	v_lshlrev_b64 v[4:5], 2, v[10:11]
	v_mov_b32_e32 v3, s25
	v_add_co_u32_e32 v14, vcc, s24, v4
	v_addc_co_u32_e32 v15, vcc, v3, v5, vcc
	v_pk_mul_f32 v[4:5], v[8:9], v[6:7] op_sel_hi:[0,1]
	v_pk_mul_f32 v[6:7], v[8:9], v[12:13] op_sel_hi:[0,1]
	v_add_u32_e32 v10, 0x80, v10
	global_store_dwordx4 v[14:15], v[4:7], off
	s_nop 0
	v_lshlrev_b64 v[4:5], 2, v[10:11]
	v_cvt_f32_f16_sdwa v7, v161 dst_sel:DWORD dst_unused:UNUSED_PAD src0_sel:WORD_1
	v_cvt_f32_f16_e32 v6, v161
	v_cvt_f32_f16_sdwa v11, v158 dst_sel:DWORD dst_unused:UNUSED_PAD src0_sel:WORD_1
	v_cvt_f32_f16_e32 v10, v158
	v_add_co_u32_e32 v12, vcc, s24, v4
	v_addc_co_u32_e32 v13, vcc, v3, v5, vcc
	v_cmp_eq_u32_e32 vcc, 0, v148
	v_pk_mul_f32 v[4:5], v[8:9], v[6:7] op_sel_hi:[0,1]
	v_pk_mul_f32 v[6:7], v[8:9], v[10:11] op_sel_hi:[0,1]
	s_and_b64 s[0:1], vcc, s[0:1]
	global_store_dwordx4 v[12:13], v[4:7], off
	s_and_b64 exec, exec, s[0:1]
	s_cbranch_execz .LBB49_31
; %bb.34:
	v_ashrrev_i32_e32 v3, 31, v2
	v_lshlrev_b64 v[2:3], 3, v[2:3]
	v_mov_b32_e32 v4, s27
	v_add_co_u32_e32 v2, vcc, s26, v2
	v_addc_co_u32_e32 v3, vcc, v4, v3, vcc
	global_store_dwordx2 v[2:3], v[0:1], off
	s_endpgm
	.section	.rodata,"a",@progbits
	.p2align	6, 0x0
	.amdhsa_kernel _ZL15flash_attn_tileILi256ELi256ELi8ELi1ELb0EEvPKcS1_S1_S1_S1_PKiPfP15HIP_vector_typeIfLj2EEffffjfiS5_IjLj3EEiiiiiiiiiiiliiliiiiil
		.amdhsa_group_segment_fixed_size 30720
		.amdhsa_private_segment_fixed_size 0
		.amdhsa_kernarg_size 464
		.amdhsa_user_sgpr_count 8
		.amdhsa_user_sgpr_private_segment_buffer 1
		.amdhsa_user_sgpr_dispatch_ptr 1
		.amdhsa_user_sgpr_queue_ptr 0
		.amdhsa_user_sgpr_kernarg_segment_ptr 1
		.amdhsa_user_sgpr_dispatch_id 0
		.amdhsa_user_sgpr_flat_scratch_init 0
		.amdhsa_user_sgpr_kernarg_preload_length 0
		.amdhsa_user_sgpr_kernarg_preload_offset 0
		.amdhsa_user_sgpr_private_segment_size 0
		.amdhsa_uses_dynamic_stack 0
		.amdhsa_system_sgpr_private_segment_wavefront_offset 0
		.amdhsa_system_sgpr_workgroup_id_x 1
		.amdhsa_system_sgpr_workgroup_id_y 1
		.amdhsa_system_sgpr_workgroup_id_z 1
		.amdhsa_system_sgpr_workgroup_info 0
		.amdhsa_system_vgpr_workitem_id 2
		.amdhsa_next_free_vgpr 197
		.amdhsa_next_free_sgpr 52
		.amdhsa_accum_offset 200
		.amdhsa_reserve_vcc 1
		.amdhsa_reserve_flat_scratch 0
		.amdhsa_float_round_mode_32 0
		.amdhsa_float_round_mode_16_64 0
		.amdhsa_float_denorm_mode_32 3
		.amdhsa_float_denorm_mode_16_64 3
		.amdhsa_dx10_clamp 1
		.amdhsa_ieee_mode 1
		.amdhsa_fp16_overflow 0
		.amdhsa_tg_split 0
		.amdhsa_exception_fp_ieee_invalid_op 0
		.amdhsa_exception_fp_denorm_src 0
		.amdhsa_exception_fp_ieee_div_zero 0
		.amdhsa_exception_fp_ieee_overflow 0
		.amdhsa_exception_fp_ieee_underflow 0
		.amdhsa_exception_fp_ieee_inexact 0
		.amdhsa_exception_int_div_zero 0
	.end_amdhsa_kernel
	.section	.text._ZL15flash_attn_tileILi256ELi256ELi8ELi1ELb0EEvPKcS1_S1_S1_S1_PKiPfP15HIP_vector_typeIfLj2EEffffjfiS5_IjLj3EEiiiiiiiiiiiliiliiiiil,"axG",@progbits,_ZL15flash_attn_tileILi256ELi256ELi8ELi1ELb0EEvPKcS1_S1_S1_S1_PKiPfP15HIP_vector_typeIfLj2EEffffjfiS5_IjLj3EEiiiiiiiiiiiliiliiiiil,comdat
.Lfunc_end49:
	.size	_ZL15flash_attn_tileILi256ELi256ELi8ELi1ELb0EEvPKcS1_S1_S1_S1_PKiPfP15HIP_vector_typeIfLj2EEffffjfiS5_IjLj3EEiiiiiiiiiiiliiliiiiil, .Lfunc_end49-_ZL15flash_attn_tileILi256ELi256ELi8ELi1ELb0EEvPKcS1_S1_S1_S1_PKiPfP15HIP_vector_typeIfLj2EEffffjfiS5_IjLj3EEiiiiiiiiiiiliiliiiiil
                                        ; -- End function
	.section	.AMDGPU.csdata,"",@progbits
; Kernel info:
; codeLenInByte = 19104
; NumSgprs: 56
; NumVgprs: 197
; NumAgprs: 0
; TotalNumVgprs: 197
; ScratchSize: 0
; MemoryBound: 0
; FloatMode: 240
; IeeeMode: 1
; LDSByteSize: 30720 bytes/workgroup (compile time only)
; SGPRBlocks: 6
; VGPRBlocks: 24
; NumSGPRsForWavesPerEU: 56
; NumVGPRsForWavesPerEU: 197
; AccumOffset: 200
; Occupancy: 2
; WaveLimiterHint : 1
; COMPUTE_PGM_RSRC2:SCRATCH_EN: 0
; COMPUTE_PGM_RSRC2:USER_SGPR: 8
; COMPUTE_PGM_RSRC2:TRAP_HANDLER: 0
; COMPUTE_PGM_RSRC2:TGID_X_EN: 1
; COMPUTE_PGM_RSRC2:TGID_Y_EN: 1
; COMPUTE_PGM_RSRC2:TGID_Z_EN: 1
; COMPUTE_PGM_RSRC2:TIDIG_COMP_CNT: 2
; COMPUTE_PGM_RSRC3_GFX90A:ACCUM_OFFSET: 49
; COMPUTE_PGM_RSRC3_GFX90A:TG_SPLIT: 0
	.section	.text._ZL33flash_attn_stream_k_fixup_uniformILi256ELi8ELi1EEvPfPK15HIP_vector_typeIfLj2EEiiiiiiS1_IjLj3EES5_S5_,"axG",@progbits,_ZL33flash_attn_stream_k_fixup_uniformILi256ELi8ELi1EEvPfPK15HIP_vector_typeIfLj2EEiiiiiiS1_IjLj3EES5_S5_,comdat
	.globl	_ZL33flash_attn_stream_k_fixup_uniformILi256ELi8ELi1EEvPfPK15HIP_vector_typeIfLj2EEiiiiiiS1_IjLj3EES5_S5_ ; -- Begin function _ZL33flash_attn_stream_k_fixup_uniformILi256ELi8ELi1EEvPfPK15HIP_vector_typeIfLj2EEiiiiiiS1_IjLj3EES5_S5_
	.p2align	8
	.type	_ZL33flash_attn_stream_k_fixup_uniformILi256ELi8ELi1EEvPfPK15HIP_vector_typeIfLj2EEiiiiiiS1_IjLj3EES5_S5_,@function
_ZL33flash_attn_stream_k_fixup_uniformILi256ELi8ELi1EEvPfPK15HIP_vector_typeIfLj2EEiiiiiiS1_IjLj3EES5_S5_: ; @_ZL33flash_attn_stream_k_fixup_uniformILi256ELi8ELi1EEvPfPK15HIP_vector_typeIfLj2EEiiiiiiS1_IjLj3EES5_S5_
; %bb.0:
	s_load_dwordx8 s[12:19], s[4:5], 0x1c
	s_load_dwordx2 s[10:11], s[4:5], 0x10
	s_load_dwordx4 s[0:3], s[4:5], 0x3c
	s_waitcnt lgkmcnt(0)
	s_mul_hi_u32 s9, s15, s6
	s_add_i32 s9, s6, s9
	s_lshr_b32 s9, s9, s16
	s_mul_i32 s15, s9, s17
	s_sub_i32 s15, s6, s15
	s_mul_hi_u32 s16, s15, s18
	s_add_i32 s16, s15, s16
	s_lshr_b32 s16, s16, s19
	s_mul_i32 s0, s16, s0
	s_sub_i32 s0, s15, s0
	;; [unrolled: 5-line block ×3, first 2 shown]
	s_lshl_b32 s0, s17, 3
	s_add_i32 s0, s0, s7
	s_cmp_lt_i32 s0, s10
	s_cselect_b64 s[0:1], -1, 0
	s_add_i32 s2, s15, s8
	s_cmp_lt_i32 s2, s13
	s_cselect_b64 s[2:3], -1, 0
	s_and_b64 s[0:1], s[0:1], s[2:3]
	s_andn2_b64 vcc, exec, s[0:1]
	s_cbranch_vccnz .LBB50_6
; %bb.1:
	s_load_dwordx4 s[0:3], s[4:5], 0x0
	s_mul_i32 s4, s9, s10
	s_add_i32 s4, s4, s7
	s_mul_i32 s4, s4, s11
	s_mul_i32 s16, s16, s13
	s_add_i32 s4, s4, s8
	s_add_i32 s4, s4, s16
	s_mul_i32 s5, s11, s17
	s_add_i32 s4, s4, s15
	s_lshl_b32 s5, s5, 11
	s_lshl_b32 s4, s4, 8
	s_add_i32 s5, s5, s4
	v_or_b32_e32 v2, s5, v0
	v_ashrrev_i32_e32 v3, 31, v2
	v_lshlrev_b64 v[2:3], 2, v[2:3]
	s_waitcnt lgkmcnt(0)
	v_mov_b32_e32 v1, s1
	v_add_co_u32_e32 v2, vcc, s0, v2
	v_addc_co_u32_e32 v3, vcc, v1, v3, vcc
	global_load_dword v8, v[2:3], off
	s_add_i32 s4, s7, s8
	s_mul_i32 s7, s6, s14
	s_add_i32 s5, s7, s14
	s_lshl_b32 s0, s5, 3
	s_add_i32 s0, s4, s0
	s_add_i32 s0, s0, -8
	s_ashr_i32 s1, s0, 31
	s_lshl_b64 s[0:1], s[0:1], 3
	s_add_u32 s0, s2, s0
	s_addc_u32 s1, s3, s1
	s_load_dword s10, s[0:1], 0x4
	s_add_i32 s8, s5, -2
	s_cmp_lt_i32 s8, s7
	s_cbranch_scc1 .LBB50_4
; %bb.2:
	s_lshl_b32 s8, s12, 5
	s_ashr_i32 s9, s8, 31
	s_lshl_b64 s[8:9], s[8:9], 2
	s_add_u32 s8, s2, s8
	s_addc_u32 s11, s3, s9
	s_add_i32 s6, s6, 1
	s_add_i32 s9, s5, -1
	s_mul_i32 s5, s14, s6
	s_load_dword s0, s[0:1], 0x0
	s_lshl_b32 s1, s4, 8
	s_lshl_b32 s6, s5, 11
	s_add_i32 s1, s1, s6
	v_or_b32_e32 v0, s1, v0
	s_lshl_b32 s1, s5, 3
	s_add_i32 s1, s4, s1
	s_lshl_b32 s4, s12, 3
	s_add_i32 s1, s1, s4
	v_add_u32_e32 v0, 0xfffff000, v0
	s_add_i32 s4, s1, -16
	s_waitcnt lgkmcnt(0)
	v_mov_b32_e32 v7, s10
	v_mov_b32_e32 v6, s0
	;; [unrolled: 1-line block ×3, first 2 shown]
	s_mov_b32 s6, 0x3fb8aa3b
	s_mov_b32 s10, 0xc2ce8ed0
	;; [unrolled: 1-line block ×3, first 2 shown]
	v_mov_b32_e32 v5, 0x7f800000
	s_mov_b32 s12, 0xc1a00000
.LBB50_3:                               ; =>This Inner Loop Header: Depth=1
	v_ashrrev_i32_e32 v1, 31, v0
	v_lshlrev_b64 v[10:11], 2, v[0:1]
	v_add_co_u32_e32 v10, vcc, s8, v10
	v_addc_co_u32_e32 v11, vcc, v4, v11, vcc
	global_load_dword v1, v[10:11], off
	s_ashr_i32 s5, s4, 31
	s_lshl_b64 s[0:1], s[4:5], 3
	s_add_u32 s0, s2, s0
	s_addc_u32 s1, s3, s1
	s_load_dwordx2 s[14:15], s[0:1], 0x0
	s_waitcnt vmcnt(1)
	v_mov_b32_e32 v9, v8
	v_max_f32_e32 v8, v6, v6
	v_mov_b32_e32 v10, v7
	s_add_i32 s9, s9, -1
	s_waitcnt lgkmcnt(0)
	v_max_f32_e64 v7, s14, s14
	v_max_f32_e32 v7, v8, v7
	v_sub_f32_e32 v11, s14, v7
	v_sub_f32_e32 v8, v6, v7
	v_mul_f32_e32 v12, 0x3fb8aa3b, v11
	v_mov_b32_e32 v6, v7
	v_mul_f32_e32 v7, 0x3fb8aa3b, v8
	v_fma_f32 v15, v11, s6, -v12
	v_rndne_f32_e32 v16, v12
	v_fma_f32 v13, v8, s6, -v7
	v_rndne_f32_e32 v14, v7
	v_fmac_f32_e32 v15, 0x32a5705f, v11
	v_sub_f32_e32 v12, v12, v16
	v_fmac_f32_e32 v13, 0x32a5705f, v8
	v_sub_f32_e32 v7, v7, v14
	v_add_f32_e32 v12, v12, v15
	v_cvt_i32_f32_e32 v16, v16
	v_add_f32_e32 v7, v7, v13
	v_exp_f32_e32 v12, v12
	v_cvt_i32_f32_e32 v14, v14
	v_exp_f32_e32 v7, v7
	v_cmp_ngt_f32_e32 vcc, s10, v11
	v_ldexp_f32 v12, v12, v16
	v_cmp_ngt_f32_e64 s[0:1], s10, v8
	v_ldexp_f32 v7, v7, v14
	v_cndmask_b32_e32 v12, 0, v12, vcc
	v_cmp_nlt_f32_e32 vcc, s11, v11
	v_cndmask_b32_e64 v7, 0, v7, s[0:1]
	v_cmp_nlt_f32_e64 s[0:1], s11, v8
	v_cndmask_b32_e32 v12, v5, v12, vcc
	v_cmp_le_f32_e32 vcc, s12, v11
	v_cndmask_b32_e64 v7, v5, v7, s[0:1]
	v_cmp_le_f32_e64 s[0:1], s12, v8
	v_cndmask_b32_e32 v8, 0, v12, vcc
	s_add_i32 s4, s4, -8
	v_cndmask_b32_e64 v11, 0, v7, s[0:1]
	v_mul_f32_e32 v7, s15, v8
	v_add_u32_e32 v0, 0xfffff800, v0
	s_cmp_le_i32 s9, s7
	v_fmac_f32_e32 v7, v10, v11
	s_waitcnt vmcnt(0)
	v_mul_f32_e32 v8, v1, v8
	v_fmac_f32_e32 v8, v9, v11
	s_cbranch_scc0 .LBB50_3
	s_branch .LBB50_5
.LBB50_4:
	s_waitcnt lgkmcnt(0)
	v_mov_b32_e32 v7, s10
.LBB50_5:
	s_waitcnt vmcnt(0)
	v_div_scale_f32 v0, s[0:1], v7, v7, v8
	v_rcp_f32_e32 v1, v0
	v_div_scale_f32 v4, vcc, v8, v7, v8
	v_fma_f32 v5, -v0, v1, 1.0
	v_fmac_f32_e32 v1, v5, v1
	v_mul_f32_e32 v5, v4, v1
	v_fma_f32 v6, -v0, v5, v4
	v_fmac_f32_e32 v5, v6, v1
	v_fma_f32 v0, -v0, v5, v4
	v_div_fmas_f32 v0, v0, v1, v5
	v_div_fixup_f32 v0, v0, v7, v8
	global_store_dword v[2:3], v0, off
.LBB50_6:
	s_endpgm
	.section	.rodata,"a",@progbits
	.p2align	6, 0x0
	.amdhsa_kernel _ZL33flash_attn_stream_k_fixup_uniformILi256ELi8ELi1EEvPfPK15HIP_vector_typeIfLj2EEiiiiiiS1_IjLj3EES5_S5_
		.amdhsa_group_segment_fixed_size 0
		.amdhsa_private_segment_fixed_size 0
		.amdhsa_kernarg_size 76
		.amdhsa_user_sgpr_count 6
		.amdhsa_user_sgpr_private_segment_buffer 1
		.amdhsa_user_sgpr_dispatch_ptr 0
		.amdhsa_user_sgpr_queue_ptr 0
		.amdhsa_user_sgpr_kernarg_segment_ptr 1
		.amdhsa_user_sgpr_dispatch_id 0
		.amdhsa_user_sgpr_flat_scratch_init 0
		.amdhsa_user_sgpr_kernarg_preload_length 0
		.amdhsa_user_sgpr_kernarg_preload_offset 0
		.amdhsa_user_sgpr_private_segment_size 0
		.amdhsa_uses_dynamic_stack 0
		.amdhsa_system_sgpr_private_segment_wavefront_offset 0
		.amdhsa_system_sgpr_workgroup_id_x 1
		.amdhsa_system_sgpr_workgroup_id_y 1
		.amdhsa_system_sgpr_workgroup_id_z 1
		.amdhsa_system_sgpr_workgroup_info 0
		.amdhsa_system_vgpr_workitem_id 0
		.amdhsa_next_free_vgpr 17
		.amdhsa_next_free_sgpr 20
		.amdhsa_accum_offset 20
		.amdhsa_reserve_vcc 1
		.amdhsa_reserve_flat_scratch 0
		.amdhsa_float_round_mode_32 0
		.amdhsa_float_round_mode_16_64 0
		.amdhsa_float_denorm_mode_32 3
		.amdhsa_float_denorm_mode_16_64 3
		.amdhsa_dx10_clamp 1
		.amdhsa_ieee_mode 1
		.amdhsa_fp16_overflow 0
		.amdhsa_tg_split 0
		.amdhsa_exception_fp_ieee_invalid_op 0
		.amdhsa_exception_fp_denorm_src 0
		.amdhsa_exception_fp_ieee_div_zero 0
		.amdhsa_exception_fp_ieee_overflow 0
		.amdhsa_exception_fp_ieee_underflow 0
		.amdhsa_exception_fp_ieee_inexact 0
		.amdhsa_exception_int_div_zero 0
	.end_amdhsa_kernel
	.section	.text._ZL33flash_attn_stream_k_fixup_uniformILi256ELi8ELi1EEvPfPK15HIP_vector_typeIfLj2EEiiiiiiS1_IjLj3EES5_S5_,"axG",@progbits,_ZL33flash_attn_stream_k_fixup_uniformILi256ELi8ELi1EEvPfPK15HIP_vector_typeIfLj2EEiiiiiiS1_IjLj3EES5_S5_,comdat
.Lfunc_end50:
	.size	_ZL33flash_attn_stream_k_fixup_uniformILi256ELi8ELi1EEvPfPK15HIP_vector_typeIfLj2EEiiiiiiS1_IjLj3EES5_S5_, .Lfunc_end50-_ZL33flash_attn_stream_k_fixup_uniformILi256ELi8ELi1EEvPfPK15HIP_vector_typeIfLj2EEiiiiiiS1_IjLj3EES5_S5_
                                        ; -- End function
	.section	.AMDGPU.csdata,"",@progbits
; Kernel info:
; codeLenInByte = 836
; NumSgprs: 24
; NumVgprs: 17
; NumAgprs: 0
; TotalNumVgprs: 17
; ScratchSize: 0
; MemoryBound: 0
; FloatMode: 240
; IeeeMode: 1
; LDSByteSize: 0 bytes/workgroup (compile time only)
; SGPRBlocks: 2
; VGPRBlocks: 2
; NumSGPRsForWavesPerEU: 24
; NumVGPRsForWavesPerEU: 17
; AccumOffset: 20
; Occupancy: 8
; WaveLimiterHint : 0
; COMPUTE_PGM_RSRC2:SCRATCH_EN: 0
; COMPUTE_PGM_RSRC2:USER_SGPR: 6
; COMPUTE_PGM_RSRC2:TRAP_HANDLER: 0
; COMPUTE_PGM_RSRC2:TGID_X_EN: 1
; COMPUTE_PGM_RSRC2:TGID_Y_EN: 1
; COMPUTE_PGM_RSRC2:TGID_Z_EN: 1
; COMPUTE_PGM_RSRC2:TIDIG_COMP_CNT: 0
; COMPUTE_PGM_RSRC3_GFX90A:ACCUM_OFFSET: 4
; COMPUTE_PGM_RSRC3_GFX90A:TG_SPLIT: 0
	.section	.text._ZL33flash_attn_stream_k_fixup_generalILi256ELi8ELi1EEvPfPK15HIP_vector_typeIfLj2EEiiiiS1_IjLj3EES5_S5_S5_,"axG",@progbits,_ZL33flash_attn_stream_k_fixup_generalILi256ELi8ELi1EEvPfPK15HIP_vector_typeIfLj2EEiiiiS1_IjLj3EES5_S5_S5_,comdat
	.globl	_ZL33flash_attn_stream_k_fixup_generalILi256ELi8ELi1EEvPfPK15HIP_vector_typeIfLj2EEiiiiS1_IjLj3EES5_S5_S5_ ; -- Begin function _ZL33flash_attn_stream_k_fixup_generalILi256ELi8ELi1EEvPfPK15HIP_vector_typeIfLj2EEiiiiS1_IjLj3EES5_S5_S5_
	.p2align	8
	.type	_ZL33flash_attn_stream_k_fixup_generalILi256ELi8ELi1EEvPfPK15HIP_vector_typeIfLj2EEiiiiS1_IjLj3EES5_S5_S5_,@function
_ZL33flash_attn_stream_k_fixup_generalILi256ELi8ELi1EEvPfPK15HIP_vector_typeIfLj2EEiiiiS1_IjLj3EES5_S5_S5_: ; @_ZL33flash_attn_stream_k_fixup_generalILi256ELi8ELi1EEvPfPK15HIP_vector_typeIfLj2EEiiiiS1_IjLj3EES5_S5_S5_
; %bb.0:
	s_load_dwordx4 s[12:15], s[4:5], 0x10
	s_load_dword s9, s[4:5], 0x50
	s_mov_b32 s2, 0
	s_waitcnt lgkmcnt(0)
	s_mul_hi_i32 s3, s15, s6
	s_cmp_lg_u64 s[2:3], 0
	s_mul_i32 s2, s15, s6
	s_cbranch_scc0 .LBB51_21
; %bb.1:
	v_cvt_f32_u32_e32 v1, s9
	v_cvt_f32_ubyte0_e32 v2, 0
	s_sub_u32 s10, 0, s9
	s_subb_u32 s11, 0, 0
	v_madmk_f32 v1, v2, 0x4f800000, v1
	v_rcp_f32_e32 v1, v1
	v_mul_f32_e32 v1, 0x5f7ffffc, v1
	v_mul_f32_e32 v2, 0x2f800000, v1
	v_trunc_f32_e32 v2, v2
	v_madmk_f32 v1, v2, 0xcf800000, v1
	v_cvt_u32_f32_e32 v2, v2
	v_cvt_u32_f32_e32 v1, v1
	v_readfirstlane_b32 s16, v2
	v_readfirstlane_b32 s17, v1
	s_mul_i32 s18, s10, s16
	s_mul_hi_u32 s20, s10, s17
	s_mul_i32 s19, s11, s17
	s_add_i32 s18, s20, s18
	s_add_i32 s18, s18, s19
	s_mul_i32 s21, s10, s17
	s_mul_hi_u32 s19, s17, s18
	s_mul_i32 s20, s17, s18
	s_mul_hi_u32 s17, s17, s21
	s_add_u32 s17, s17, s20
	s_addc_u32 s19, 0, s19
	s_mul_hi_u32 s22, s16, s21
	s_mul_i32 s21, s16, s21
	s_add_u32 s17, s17, s21
	s_mul_hi_u32 s20, s16, s18
	s_addc_u32 s17, s19, s22
	s_addc_u32 s19, s20, 0
	s_mul_i32 s18, s16, s18
	s_add_u32 s17, s17, s18
	s_addc_u32 s18, 0, s19
	v_add_co_u32_e32 v1, vcc, s17, v1
	s_cmp_lg_u64 vcc, 0
	s_addc_u32 s16, s16, s18
	v_readfirstlane_b32 s18, v1
	s_mul_i32 s17, s10, s16
	s_mul_hi_u32 s19, s10, s18
	s_add_i32 s17, s19, s17
	s_mul_i32 s11, s11, s18
	s_add_i32 s17, s17, s11
	s_mul_i32 s10, s10, s18
	s_mul_hi_u32 s19, s16, s10
	s_mul_i32 s20, s16, s10
	s_mul_i32 s22, s18, s17
	s_mul_hi_u32 s10, s18, s10
	s_mul_hi_u32 s21, s18, s17
	s_add_u32 s10, s10, s22
	s_addc_u32 s18, 0, s21
	s_add_u32 s10, s10, s20
	s_mul_hi_u32 s11, s16, s17
	s_addc_u32 s10, s18, s19
	s_addc_u32 s11, s11, 0
	s_mul_i32 s17, s16, s17
	s_add_u32 s10, s10, s17
	s_addc_u32 s11, 0, s11
	v_add_co_u32_e32 v1, vcc, s10, v1
	s_cmp_lg_u64 vcc, 0
	s_addc_u32 s18, s16, s11
	s_ashr_i32 s10, s3, 31
	s_add_u32 s16, s2, s10
	s_mov_b32 s11, s10
	s_addc_u32 s17, s3, s10
	s_xor_b64 s[16:17], s[16:17], s[10:11]
	v_readfirstlane_b32 s20, v1
	s_mul_i32 s19, s16, s18
	s_mul_hi_u32 s21, s16, s20
	s_mul_hi_u32 s3, s16, s18
	s_add_u32 s19, s21, s19
	s_addc_u32 s3, 0, s3
	s_mul_hi_u32 s22, s17, s20
	s_mul_i32 s20, s17, s20
	s_add_u32 s19, s19, s20
	s_mul_hi_u32 s21, s17, s18
	s_addc_u32 s3, s3, s22
	s_addc_u32 s19, s21, 0
	s_mul_i32 s18, s17, s18
	s_add_u32 s3, s3, s18
	s_addc_u32 s18, 0, s19
	s_add_u32 s19, s3, 1
	s_addc_u32 s20, s18, 0
	s_add_u32 s21, s3, 2
	s_mul_i32 s23, s9, s18
	s_mul_hi_u32 s24, s9, s3
	s_addc_u32 s22, s18, 0
	s_add_i32 s24, s24, s23
	s_mul_i32 s23, s9, s3
	v_mov_b32_e32 v1, s23
	v_sub_co_u32_e32 v1, vcc, s16, v1
	s_cmp_lg_u64 vcc, 0
	s_subb_u32 s16, s17, s24
	v_subrev_co_u32_e32 v2, vcc, s9, v1
	s_cmp_lg_u64 vcc, 0
	s_subb_u32 s17, s16, 0
	v_readfirstlane_b32 s23, v2
	s_cmp_ge_u32 s23, s9
	s_cselect_b32 s23, -1, 0
	s_cmp_eq_u32 s17, 0
	s_cselect_b32 s17, s23, -1
	s_cmp_lg_u32 s17, 0
	s_cselect_b32 s17, s22, s20
	v_readfirstlane_b32 s20, v1
	s_cselect_b32 s19, s21, s19
	s_cmp_ge_u32 s20, s9
	s_cselect_b32 s20, -1, 0
	s_cmp_eq_u32 s16, 0
	s_cselect_b32 s16, s20, -1
	s_cmp_lg_u32 s16, 0
	s_cselect_b32 s17, s17, s18
	s_cselect_b32 s16, s19, s3
	s_xor_b64 s[16:17], s[16:17], s[10:11]
	s_sub_u32 s20, s16, s10
	s_load_dwordx4 s[16:19], s[4:5], 0x44
	s_cbranch_execnz .LBB51_3
.LBB51_2:
	v_cvt_f32_u32_e32 v1, s9
	s_sub_i32 s0, 0, s9
	v_rcp_iflag_f32_e32 v1, v1
	v_mul_f32_e32 v1, 0x4f7ffffe, v1
	v_cvt_u32_f32_e32 v1, v1
	v_readfirstlane_b32 s1, v1
	s_mul_i32 s0, s0, s1
	s_mul_hi_u32 s0, s1, s0
	s_add_i32 s1, s1, s0
	s_mul_hi_u32 s0, s2, s1
	s_mul_i32 s3, s0, s9
	s_sub_i32 s2, s2, s3
	s_add_i32 s1, s0, 1
	s_sub_i32 s3, s2, s9
	s_cmp_ge_u32 s2, s9
	s_cselect_b32 s0, s1, s0
	s_cselect_b32 s2, s3, s2
	s_add_i32 s1, s0, 1
	s_cmp_ge_u32 s2, s9
	s_cselect_b32 s20, s1, s0
.LBB51_3:
	s_add_i32 s0, s6, 1
	s_mul_hi_i32 s3, s15, s0
	s_mov_b32 s2, 0
	s_cmp_lg_u64 s[2:3], 0
	s_mul_i32 s2, s15, s0
	s_cbranch_scc0 .LBB51_22
; %bb.4:
	v_cvt_f32_u32_e32 v1, s9
	v_cvt_f32_ubyte0_e32 v2, 0
	s_sub_u32 s10, 0, s9
	s_subb_u32 s11, 0, 0
	v_madmk_f32 v1, v2, 0x4f800000, v1
	v_rcp_f32_e32 v1, v1
	v_mul_f32_e32 v1, 0x5f7ffffc, v1
	v_mul_f32_e32 v2, 0x2f800000, v1
	v_trunc_f32_e32 v2, v2
	v_madmk_f32 v1, v2, 0xcf800000, v1
	v_cvt_u32_f32_e32 v2, v2
	v_cvt_u32_f32_e32 v1, v1
	s_waitcnt lgkmcnt(0)
	v_readfirstlane_b32 s19, v2
	v_readfirstlane_b32 s21, v1
	s_mul_i32 s22, s10, s19
	s_mul_hi_u32 s24, s10, s21
	s_mul_i32 s23, s11, s21
	s_add_i32 s22, s24, s22
	s_add_i32 s22, s22, s23
	s_mul_i32 s25, s10, s21
	s_mul_hi_u32 s23, s21, s22
	s_mul_i32 s24, s21, s22
	s_mul_hi_u32 s21, s21, s25
	s_add_u32 s21, s21, s24
	s_addc_u32 s23, 0, s23
	s_mul_hi_u32 s26, s19, s25
	s_mul_i32 s25, s19, s25
	s_add_u32 s21, s21, s25
	s_mul_hi_u32 s24, s19, s22
	s_addc_u32 s21, s23, s26
	s_addc_u32 s23, s24, 0
	s_mul_i32 s22, s19, s22
	s_add_u32 s21, s21, s22
	s_addc_u32 s22, 0, s23
	v_add_co_u32_e32 v1, vcc, s21, v1
	s_cmp_lg_u64 vcc, 0
	s_addc_u32 s19, s19, s22
	v_readfirstlane_b32 s22, v1
	s_mul_i32 s21, s10, s19
	s_mul_hi_u32 s23, s10, s22
	s_add_i32 s21, s23, s21
	s_mul_i32 s11, s11, s22
	s_add_i32 s21, s21, s11
	s_mul_i32 s10, s10, s22
	s_mul_hi_u32 s23, s19, s10
	s_mul_i32 s24, s19, s10
	s_mul_i32 s26, s22, s21
	s_mul_hi_u32 s10, s22, s10
	s_mul_hi_u32 s25, s22, s21
	s_add_u32 s10, s10, s26
	s_addc_u32 s22, 0, s25
	s_add_u32 s10, s10, s24
	s_mul_hi_u32 s11, s19, s21
	s_addc_u32 s10, s22, s23
	s_addc_u32 s11, s11, 0
	s_mul_i32 s21, s19, s21
	s_add_u32 s10, s10, s21
	s_addc_u32 s11, 0, s11
	v_add_co_u32_e32 v1, vcc, s10, v1
	s_cmp_lg_u64 vcc, 0
	s_addc_u32 s19, s19, s11
	s_ashr_i32 s10, s3, 31
	s_add_u32 s22, s2, s10
	s_mov_b32 s11, s10
	s_addc_u32 s23, s3, s10
	s_xor_b64 s[22:23], s[22:23], s[10:11]
	v_readfirstlane_b32 s21, v1
	s_mul_i32 s11, s22, s19
	s_mul_hi_u32 s24, s22, s21
	s_mul_hi_u32 s3, s22, s19
	s_add_u32 s11, s24, s11
	s_addc_u32 s3, 0, s3
	s_mul_hi_u32 s25, s23, s21
	s_mul_i32 s21, s23, s21
	s_add_u32 s11, s11, s21
	s_mul_hi_u32 s24, s23, s19
	s_addc_u32 s3, s3, s25
	s_addc_u32 s11, s24, 0
	s_mul_i32 s19, s23, s19
	s_add_u32 s3, s3, s19
	s_addc_u32 s11, 0, s11
	s_mul_i32 s11, s9, s11
	s_mul_hi_u32 s24, s9, s3
	s_add_i32 s24, s24, s11
	s_mul_i32 s11, s9, s3
	v_mov_b32_e32 v1, s11
	s_add_u32 s19, s3, 1
	s_add_u32 s21, s3, 2
	v_sub_co_u32_e32 v1, vcc, s22, v1
	s_cmp_lg_u64 vcc, 0
	s_subb_u32 s11, s23, s24
	v_subrev_co_u32_e32 v2, vcc, s9, v1
	s_cmp_lg_u64 vcc, 0
	s_subb_u32 s22, s11, 0
	v_cmp_le_u32_e32 vcc, s9, v2
	s_cmp_eq_u32 s22, 0
	v_cndmask_b32_e64 v2, 0, -1, vcc
	s_cselect_b64 vcc, -1, 0
	v_cndmask_b32_e32 v2, -1, v2, vcc
	v_mov_b32_e32 v3, s19
	v_mov_b32_e32 v4, s21
	v_cmp_ne_u32_e32 vcc, 0, v2
	v_cndmask_b32_e32 v2, v3, v4, vcc
	v_cmp_le_u32_e32 vcc, s9, v1
	s_cmp_eq_u32 s11, 0
	v_cndmask_b32_e64 v1, 0, -1, vcc
	s_cselect_b64 vcc, -1, 0
	v_cndmask_b32_e32 v1, -1, v1, vcc
	v_mov_b32_e32 v3, s3
	v_cmp_ne_u32_e32 vcc, 0, v1
	v_cndmask_b32_e32 v1, v3, v2, vcc
	v_xor_b32_e32 v1, s10, v1
	v_subrev_co_u32_e32 v2, vcc, s10, v1
	s_cbranch_execnz .LBB51_6
.LBB51_5:
	v_cvt_f32_u32_e32 v1, s9
	s_sub_i32 s0, 0, s9
	s_mov_b32 s1, 0
	v_rcp_iflag_f32_e32 v1, v1
	v_mul_f32_e32 v1, 0x4f7ffffe, v1
	v_cvt_u32_f32_e32 v1, v1
	v_readfirstlane_b32 s3, v1
	s_mul_i32 s0, s0, s3
	s_mul_hi_u32 s0, s3, s0
	s_add_i32 s3, s3, s0
	s_mul_hi_u32 s0, s2, s3
	s_mul_i32 s10, s0, s9
	s_sub_i32 s2, s2, s10
	s_add_i32 s3, s0, 1
	s_sub_i32 s10, s2, s9
	s_cmp_ge_u32 s2, s9
	s_cselect_b32 s0, s3, s0
	s_cselect_b32 s2, s10, s2
	s_add_i32 s3, s0, 1
	s_cmp_ge_u32 s2, s9
	s_cselect_b32 s0, s3, s0
	v_pk_mov_b32 v[2:3], s[0:1], s[0:1] op_sel:[0,1]
.LBB51_6:
	s_waitcnt lgkmcnt(0)
	s_mul_hi_u32 s0, s20, s16
	s_add_i32 s0, s0, s20
	v_mul_hi_u32 v1, v2, s16
	s_lshr_b32 s19, s0, s17
	v_add_u32_e32 v1, v1, v2
	s_mul_i32 s0, s19, s18
	v_lshrrev_b32_e32 v1, s17, v1
	s_cmp_eq_u32 s0, s20
	v_cmp_eq_u32_e64 s[0:1], s19, v1
	v_mul_lo_u32 v1, v1, s18
	v_cmp_eq_u32_e32 vcc, s20, v2
	s_cselect_b64 s[10:11], -1, 0
	v_cmp_ne_u32_e64 s[2:3], v1, v2
	s_and_b64 s[0:1], s[0:1], s[2:3]
	s_or_b64 s[2:3], vcc, s[10:11]
	s_or_b64 s[0:1], s[2:3], s[0:1]
	s_and_b64 vcc, exec, s[0:1]
	s_cbranch_vccnz .LBB51_24
; %bb.7:
	s_load_dwordx8 s[24:31], s[4:5], 0x20
	s_load_dword s0, s[4:5], 0x40
	s_mov_b32 s10, 0
	s_waitcnt lgkmcnt(0)
	s_mul_hi_u32 s1, s20, s24
	s_add_i32 s1, s1, s20
	s_lshr_b32 s11, s1, s25
	s_mul_i32 s1, s11, s26
	s_sub_i32 s1, s20, s1
	s_mul_hi_u32 s2, s1, s27
	s_add_i32 s2, s1, s2
	s_lshr_b32 s25, s2, s28
	s_mul_i32 s2, s25, s29
	s_sub_i32 s1, s1, s2
	;; [unrolled: 5-line block ×3, first 2 shown]
	s_mul_hi_u32 s1, s0, s16
	s_add_i32 s0, s0, s1
	s_lshr_b32 s26, s0, s17
	s_lshl_b32 s0, s26, 3
	s_add_i32 s0, s0, s7
	s_cmp_lt_i32 s0, s12
	s_cselect_b64 s[0:1], -1, 0
	s_add_i32 s2, s24, s8
	s_cmp_lt_i32 s2, s14
	s_cselect_b64 s[2:3], -1, 0
	s_and_b64 s[0:1], s[0:1], s[2:3]
	s_andn2_b64 vcc, exec, s[0:1]
	s_cbranch_vccnz .LBB51_24
; %bb.8:
	s_load_dwordx4 s[0:3], s[4:5], 0x0
	s_lshl_b32 s4, s9, 5
	s_mov_b32 s5, s10
	s_add_i32 s21, s7, s8
	s_lshl_b64 s[4:5], s[4:5], 2
	s_waitcnt lgkmcnt(0)
	s_add_u32 s22, s2, s4
	s_mul_i32 s4, s11, s12
	s_addc_u32 s23, s3, s5
	s_add_i32 s4, s4, s7
	s_mul_i32 s4, s4, s13
	s_mul_i32 s25, s25, s14
	s_add_i32 s4, s4, s8
	s_add_i32 s4, s4, s25
	s_mul_i32 s5, s13, s26
	s_add_i32 s4, s4, s24
	s_lshl_b32 s5, s5, 11
	s_lshl_b32 s4, s4, 8
	s_add_i32 s5, s5, s4
	v_or_b32_e32 v2, s5, v0
	v_ashrrev_i32_e32 v3, 31, v2
	v_lshlrev_b64 v[2:3], 2, v[2:3]
	v_mov_b32_e32 v1, s1
	v_add_co_u32_e32 v2, vcc, s0, v2
	v_addc_co_u32_e32 v3, vcc, v1, v3, vcc
	global_load_dword v5, v[2:3], off
	v_lshl_or_b32 v4, s21, 8, v0
	v_cvt_f32_u32_e32 v0, s9
	v_cvt_f32_ubyte0_e32 v1, 0
	s_lshl_b32 s0, s6, 3
	s_add_i32 s0, s0, s21
	v_mac_f32_e32 v0, 0x4f800000, v1
	v_rcp_f32_e32 v0, v0
	v_cvt_f32_u32_e32 v1, s9
	s_ashr_i32 s1, s0, 31
	s_lshl_b64 s[0:1], s[0:1], 3
	v_mul_f32_e32 v0, 0x5f7ffffc, v0
	v_rcp_iflag_f32_e32 v1, v1
	s_add_u32 s0, s2, s0
	v_mul_f32_e32 v9, 0x2f800000, v0
	s_addc_u32 s1, s3, s1
	v_trunc_f32_e32 v10, v9
	s_load_dwordx2 s[0:1], s[0:1], 0x0
	v_mac_f32_e32 v0, 0xcf800000, v10
	v_cvt_u32_f32_e32 v9, v0
	v_mul_f32_e32 v0, 0x4f7ffffe, v1
	v_cvt_u32_f32_e32 v10, v10
	v_cvt_u32_f32_e32 v11, v0
	s_add_i32 s8, s6, -1
	s_waitcnt lgkmcnt(0)
	v_mov_b32_e32 v6, s1
	v_mov_b32_e32 v7, s0
	;; [unrolled: 1-line block ×3, first 2 shown]
	s_mov_b32 s6, 0x3fb8aa3b
	s_mov_b32 s7, 0xc2ce8ed0
	;; [unrolled: 1-line block ×4, first 2 shown]
	v_mov_b32_e32 v12, 0x7f800000
	s_mul_hi_i32 s11, s8, s15
	s_cmp_lg_u64 s[10:11], 0
	s_mul_i32 s4, s8, s15
	s_cbranch_scc0 .LBB51_15
.LBB51_9:
	s_sub_u32 s0, 0, s9
	v_readfirstlane_b32 s5, v9
	v_readfirstlane_b32 s24, v10
	s_subb_u32 s1, 0, 0
	s_mul_hi_u32 s20, s0, s5
	s_mul_i32 s25, s0, s24
	s_mul_i32 s14, s1, s5
	s_add_i32 s20, s20, s25
	s_add_i32 s20, s20, s14
	s_mul_i32 s26, s0, s5
	s_mul_hi_u32 s14, s5, s20
	s_mul_i32 s25, s5, s20
	s_mul_hi_u32 s5, s5, s26
	s_add_u32 s5, s5, s25
	s_addc_u32 s14, 0, s14
	s_mul_hi_u32 s27, s24, s26
	s_mul_i32 s26, s24, s26
	s_add_u32 s5, s5, s26
	s_mul_hi_u32 s25, s24, s20
	s_addc_u32 s5, s14, s27
	s_addc_u32 s14, s25, 0
	s_mul_i32 s20, s24, s20
	s_add_u32 s5, s5, s20
	s_addc_u32 s14, 0, s14
	v_add_co_u32_e32 v0, vcc, s5, v9
	s_cmp_lg_u64 vcc, 0
	s_addc_u32 s5, s24, s14
	v_readfirstlane_b32 s20, v0
	s_mul_i32 s14, s0, s5
	s_mul_hi_u32 s24, s0, s20
	s_add_i32 s14, s24, s14
	s_mul_i32 s1, s1, s20
	s_add_i32 s14, s14, s1
	s_mul_i32 s0, s0, s20
	s_mul_hi_u32 s24, s5, s0
	s_mul_i32 s25, s5, s0
	s_mul_i32 s27, s20, s14
	s_mul_hi_u32 s0, s20, s0
	s_mul_hi_u32 s26, s20, s14
	s_add_u32 s0, s0, s27
	s_addc_u32 s20, 0, s26
	s_add_u32 s0, s0, s25
	s_mul_hi_u32 s1, s5, s14
	s_addc_u32 s0, s20, s24
	s_addc_u32 s1, s1, 0
	s_mul_i32 s14, s5, s14
	s_add_u32 s0, s0, s14
	s_addc_u32 s1, 0, s1
	v_add_co_u32_e32 v0, vcc, s0, v0
	s_cmp_lg_u64 vcc, 0
	s_addc_u32 s5, s5, s1
	s_ashr_i32 s0, s11, 31
	s_add_u32 s24, s4, s0
	s_mov_b32 s1, s0
	s_addc_u32 s25, s11, s0
	s_xor_b64 s[24:25], s[24:25], s[0:1]
	v_readfirstlane_b32 s14, v0
	s_mul_i32 s11, s24, s5
	s_mul_hi_u32 s20, s24, s14
	s_mul_hi_u32 s1, s24, s5
	s_add_u32 s11, s20, s11
	s_addc_u32 s1, 0, s1
	s_mul_hi_u32 s26, s25, s14
	s_mul_i32 s14, s25, s14
	s_add_u32 s11, s11, s14
	s_mul_hi_u32 s20, s25, s5
	s_addc_u32 s1, s1, s26
	s_addc_u32 s11, s20, 0
	s_mul_i32 s5, s25, s5
	s_add_u32 s1, s1, s5
	s_addc_u32 s5, 0, s11
	s_mul_i32 s5, s9, s5
	s_mul_hi_u32 s20, s9, s1
	s_add_i32 s20, s20, s5
	s_mul_i32 s5, s9, s1
	v_mov_b32_e32 v0, s5
	s_add_u32 s11, s1, 1
	s_add_u32 s14, s1, 2
	v_sub_co_u32_e32 v0, vcc, s24, v0
	s_cmp_lg_u64 vcc, 0
	s_subb_u32 s5, s25, s20
	v_subrev_co_u32_e32 v1, vcc, s9, v0
	s_cmp_lg_u64 vcc, 0
	s_subb_u32 s20, s5, 0
	v_cmp_le_u32_e32 vcc, s9, v1
	s_cmp_eq_u32 s20, 0
	v_cndmask_b32_e64 v1, 0, -1, vcc
	s_cselect_b64 vcc, -1, 0
	v_cndmask_b32_e32 v1, -1, v1, vcc
	v_mov_b32_e32 v13, s11
	v_mov_b32_e32 v14, s14
	v_cmp_ne_u32_e32 vcc, 0, v1
	v_cndmask_b32_e32 v1, v13, v14, vcc
	v_cmp_le_u32_e32 vcc, s9, v0
	s_cmp_eq_u32 s5, 0
	v_cndmask_b32_e64 v0, 0, -1, vcc
	s_cselect_b64 vcc, -1, 0
	v_cndmask_b32_e32 v0, -1, v0, vcc
	v_mov_b32_e32 v13, s1
	v_cmp_ne_u32_e32 vcc, 0, v0
	v_cndmask_b32_e32 v0, v13, v1, vcc
	v_xor_b32_e32 v0, s0, v0
	v_subrev_co_u32_e32 v0, vcc, s0, v0
	s_cbranch_execnz .LBB51_11
.LBB51_10:
	s_sub_i32 s0, 0, s9
	v_mul_lo_u32 v0, s0, v11
	v_mul_hi_u32 v0, v11, v0
	v_add_u32_e32 v0, v11, v0
	v_mul_hi_u32 v0, s4, v0
	v_mul_lo_u32 v13, v0, s9
	v_sub_u32_e32 v13, s4, v13
	v_add_u32_e32 v1, 1, v0
	v_subrev_u32_e32 v14, s9, v13
	v_cmp_le_u32_e32 vcc, s9, v13
	v_cndmask_b32_e32 v13, v13, v14, vcc
	v_cndmask_b32_e32 v0, v0, v1, vcc
	v_add_u32_e32 v1, 1, v0
	v_cmp_le_u32_e32 vcc, s9, v13
	v_cndmask_b32_e32 v0, v0, v1, vcc
.LBB51_11:
	v_cmp_ne_u32_e32 vcc, v8, v0
	s_cbranch_vccz .LBB51_14
; %bb.12:
	s_add_i32 s0, s8, s9
	s_lshl_b32 s0, s0, 3
	v_mul_hi_u32 v1, v0, s16
	s_add_i32 s0, s0, s21
	s_mov_b32 s1, s10
	v_add_u32_e32 v1, v1, v0
	s_lshl_b64 s[0:1], s[0:1], 3
	v_lshrrev_b32_e32 v1, s17, v1
	s_add_u32 s4, s2, s0
	v_mul_lo_u32 v13, v1, s18
	s_addc_u32 s5, s3, s1
	v_cmp_eq_u32_e32 vcc, v13, v0
	v_cmp_gt_u32_e64 s[0:1], s19, v1
	s_or_b64 s[0:1], s[0:1], vcc
	s_and_b64 vcc, exec, s[0:1]
	s_cbranch_vccnz .LBB51_16
; %bb.13:
	s_add_i32 s11, s8, -1
	s_mov_b64 s[0:1], 0
	s_branch .LBB51_17
.LBB51_14:
                                        ; implicit-def: $sgpr0_sgpr1
                                        ; implicit-def: $vgpr14
                                        ; implicit-def: $vgpr1
                                        ; implicit-def: $vgpr13
                                        ; implicit-def: $sgpr11
                                        ; implicit-def: $vgpr0
	s_branch .LBB51_18
.LBB51_15:
                                        ; implicit-def: $vgpr0_vgpr1
	s_branch .LBB51_10
.LBB51_16:
	s_mov_b64 s[0:1], -1
	s_mov_b32 s11, s8
	v_mov_b32_e32 v0, v8
.LBB51_17:
	v_lshl_add_u32 v14, s8, 11, v4
	v_ashrrev_i32_e32 v15, 31, v14
	v_lshlrev_b64 v[14:15], 2, v[14:15]
	v_mov_b32_e32 v1, s23
	v_add_co_u32_e32 v14, vcc, s22, v14
	v_addc_co_u32_e32 v15, vcc, v1, v15, vcc
	global_load_dword v14, v[14:15], off
	s_load_dwordx2 s[4:5], s[4:5], 0x0
	v_max_f32_e32 v1, v7, v7
	s_waitcnt lgkmcnt(0)
	v_max_f32_e64 v13, s4, s4
	v_max_f32_e32 v1, v1, v13
	v_sub_f32_e32 v13, v7, v1
	v_sub_f32_e32 v15, s4, v1
	v_mul_f32_e32 v16, 0x3fb8aa3b, v13
	v_mul_f32_e32 v17, 0x3fb8aa3b, v15
	v_fma_f32 v18, v13, s6, -v16
	v_rndne_f32_e32 v19, v16
	v_fma_f32 v20, v15, s6, -v17
	v_rndne_f32_e32 v21, v17
	v_fmac_f32_e32 v18, 0x32a5705f, v13
	v_sub_f32_e32 v16, v16, v19
	v_fmac_f32_e32 v20, 0x32a5705f, v15
	v_sub_f32_e32 v17, v17, v21
	v_add_f32_e32 v16, v16, v18
	v_cvt_i32_f32_e32 v19, v19
	v_add_f32_e32 v17, v17, v20
	v_exp_f32_e32 v16, v16
	v_cvt_i32_f32_e32 v21, v21
	v_exp_f32_e32 v17, v17
	v_cmp_ngt_f32_e32 vcc, s7, v13
	v_ldexp_f32 v16, v16, v19
	v_cndmask_b32_e32 v16, 0, v16, vcc
	v_ldexp_f32 v17, v17, v21
	v_cmp_ngt_f32_e32 vcc, s7, v15
	v_cndmask_b32_e32 v17, 0, v17, vcc
	v_cmp_nlt_f32_e32 vcc, s12, v13
	v_cndmask_b32_e32 v16, v12, v16, vcc
	v_cmp_nlt_f32_e32 vcc, s12, v15
	v_cndmask_b32_e32 v17, v12, v17, vcc
	v_cmp_le_f32_e32 vcc, s13, v13
	v_cndmask_b32_e32 v16, 0, v16, vcc
	v_cmp_le_f32_e32 vcc, s13, v15
	v_cndmask_b32_e32 v15, 0, v17, vcc
	v_mul_f32_e32 v13, s5, v15
	v_fmac_f32_e32 v13, v6, v16
	s_waitcnt vmcnt(0)
	v_mul_f32_e32 v14, v14, v15
	v_fmac_f32_e32 v14, v5, v16
	s_cbranch_execnz .LBB51_19
.LBB51_18:
	s_add_i32 s11, s8, -1
	s_mov_b64 s[0:1], 0
	v_mov_b32_e32 v0, v8
	v_mov_b32_e32 v13, v6
	;; [unrolled: 1-line block ×3, first 2 shown]
	s_waitcnt vmcnt(0)
	v_mov_b32_e32 v14, v5
.LBB51_19:
	s_andn2_b64 vcc, exec, s[0:1]
	s_cbranch_vccz .LBB51_23
; %bb.20:
	v_mov_b32_e32 v8, v0
	s_mov_b32 s8, s11
	v_mov_b32_e32 v6, v13
	v_mov_b32_e32 v7, v1
	s_waitcnt vmcnt(0)
	v_mov_b32_e32 v5, v14
	s_mul_hi_i32 s11, s8, s15
	s_cmp_lg_u64 s[10:11], 0
	s_mul_i32 s4, s8, s15
	s_cbranch_scc1 .LBB51_9
	s_branch .LBB51_15
.LBB51_21:
                                        ; implicit-def: $sgpr20_sgpr21
	s_load_dwordx4 s[16:19], s[4:5], 0x44
	s_branch .LBB51_2
.LBB51_22:
                                        ; implicit-def: $vgpr2_vgpr3
	s_branch .LBB51_5
.LBB51_23:
	v_div_scale_f32 v0, s[0:1], v13, v13, v14
	v_rcp_f32_e32 v1, v0
	v_div_scale_f32 v4, vcc, v14, v13, v14
	s_waitcnt vmcnt(0)
	v_fma_f32 v5, -v0, v1, 1.0
	v_fmac_f32_e32 v1, v5, v1
	v_mul_f32_e32 v5, v4, v1
	v_fma_f32 v6, -v0, v5, v4
	v_fmac_f32_e32 v5, v6, v1
	v_fma_f32 v0, -v0, v5, v4
	v_div_fmas_f32 v0, v0, v1, v5
	v_div_fixup_f32 v0, v0, v13, v14
	global_store_dword v[2:3], v0, off
.LBB51_24:
	s_endpgm
	.section	.rodata,"a",@progbits
	.p2align	6, 0x0
	.amdhsa_kernel _ZL33flash_attn_stream_k_fixup_generalILi256ELi8ELi1EEvPfPK15HIP_vector_typeIfLj2EEiiiiS1_IjLj3EES5_S5_S5_
		.amdhsa_group_segment_fixed_size 0
		.amdhsa_private_segment_fixed_size 0
		.amdhsa_kernarg_size 336
		.amdhsa_user_sgpr_count 6
		.amdhsa_user_sgpr_private_segment_buffer 1
		.amdhsa_user_sgpr_dispatch_ptr 0
		.amdhsa_user_sgpr_queue_ptr 0
		.amdhsa_user_sgpr_kernarg_segment_ptr 1
		.amdhsa_user_sgpr_dispatch_id 0
		.amdhsa_user_sgpr_flat_scratch_init 0
		.amdhsa_user_sgpr_kernarg_preload_length 0
		.amdhsa_user_sgpr_kernarg_preload_offset 0
		.amdhsa_user_sgpr_private_segment_size 0
		.amdhsa_uses_dynamic_stack 0
		.amdhsa_system_sgpr_private_segment_wavefront_offset 0
		.amdhsa_system_sgpr_workgroup_id_x 1
		.amdhsa_system_sgpr_workgroup_id_y 1
		.amdhsa_system_sgpr_workgroup_id_z 1
		.amdhsa_system_sgpr_workgroup_info 0
		.amdhsa_system_vgpr_workitem_id 0
		.amdhsa_next_free_vgpr 22
		.amdhsa_next_free_sgpr 32
		.amdhsa_accum_offset 24
		.amdhsa_reserve_vcc 1
		.amdhsa_reserve_flat_scratch 0
		.amdhsa_float_round_mode_32 0
		.amdhsa_float_round_mode_16_64 0
		.amdhsa_float_denorm_mode_32 3
		.amdhsa_float_denorm_mode_16_64 3
		.amdhsa_dx10_clamp 1
		.amdhsa_ieee_mode 1
		.amdhsa_fp16_overflow 0
		.amdhsa_tg_split 0
		.amdhsa_exception_fp_ieee_invalid_op 0
		.amdhsa_exception_fp_denorm_src 0
		.amdhsa_exception_fp_ieee_div_zero 0
		.amdhsa_exception_fp_ieee_overflow 0
		.amdhsa_exception_fp_ieee_underflow 0
		.amdhsa_exception_fp_ieee_inexact 0
		.amdhsa_exception_int_div_zero 0
	.end_amdhsa_kernel
	.section	.text._ZL33flash_attn_stream_k_fixup_generalILi256ELi8ELi1EEvPfPK15HIP_vector_typeIfLj2EEiiiiS1_IjLj3EES5_S5_S5_,"axG",@progbits,_ZL33flash_attn_stream_k_fixup_generalILi256ELi8ELi1EEvPfPK15HIP_vector_typeIfLj2EEiiiiS1_IjLj3EES5_S5_S5_,comdat
.Lfunc_end51:
	.size	_ZL33flash_attn_stream_k_fixup_generalILi256ELi8ELi1EEvPfPK15HIP_vector_typeIfLj2EEiiiiS1_IjLj3EES5_S5_S5_, .Lfunc_end51-_ZL33flash_attn_stream_k_fixup_generalILi256ELi8ELi1EEvPfPK15HIP_vector_typeIfLj2EEiiiiS1_IjLj3EES5_S5_S5_
                                        ; -- End function
	.section	.AMDGPU.csdata,"",@progbits
; Kernel info:
; codeLenInByte = 2816
; NumSgprs: 36
; NumVgprs: 22
; NumAgprs: 0
; TotalNumVgprs: 22
; ScratchSize: 0
; MemoryBound: 0
; FloatMode: 240
; IeeeMode: 1
; LDSByteSize: 0 bytes/workgroup (compile time only)
; SGPRBlocks: 4
; VGPRBlocks: 2
; NumSGPRsForWavesPerEU: 36
; NumVGPRsForWavesPerEU: 22
; AccumOffset: 24
; Occupancy: 8
; WaveLimiterHint : 0
; COMPUTE_PGM_RSRC2:SCRATCH_EN: 0
; COMPUTE_PGM_RSRC2:USER_SGPR: 6
; COMPUTE_PGM_RSRC2:TRAP_HANDLER: 0
; COMPUTE_PGM_RSRC2:TGID_X_EN: 1
; COMPUTE_PGM_RSRC2:TGID_Y_EN: 1
; COMPUTE_PGM_RSRC2:TGID_Z_EN: 1
; COMPUTE_PGM_RSRC2:TIDIG_COMP_CNT: 0
; COMPUTE_PGM_RSRC3_GFX90A:ACCUM_OFFSET: 5
; COMPUTE_PGM_RSRC3_GFX90A:TG_SPLIT: 0
	.section	.text._ZL15flash_attn_tileILi256ELi256ELi4ELi1ELb0EEvPKcS1_S1_S1_S1_PKiPfP15HIP_vector_typeIfLj2EEffffjfiS5_IjLj3EEiiiiiiiiiiiliiliiiiil,"axG",@progbits,_ZL15flash_attn_tileILi256ELi256ELi4ELi1ELb0EEvPKcS1_S1_S1_S1_PKiPfP15HIP_vector_typeIfLj2EEffffjfiS5_IjLj3EEiiiiiiiiiiiliiliiiiil,comdat
	.globl	_ZL15flash_attn_tileILi256ELi256ELi4ELi1ELb0EEvPKcS1_S1_S1_S1_PKiPfP15HIP_vector_typeIfLj2EEffffjfiS5_IjLj3EEiiiiiiiiiiiliiliiiiil ; -- Begin function _ZL15flash_attn_tileILi256ELi256ELi4ELi1ELb0EEvPKcS1_S1_S1_S1_PKiPfP15HIP_vector_typeIfLj2EEffffjfiS5_IjLj3EEiiiiiiiiiiiliiliiiiil
	.p2align	8
	.type	_ZL15flash_attn_tileILi256ELi256ELi4ELi1ELb0EEvPKcS1_S1_S1_S1_PKiPfP15HIP_vector_typeIfLj2EEffffjfiS5_IjLj3EEiiiiiiiiiiiliiliiiiil,@function
_ZL15flash_attn_tileILi256ELi256ELi4ELi1ELb0EEvPKcS1_S1_S1_S1_PKiPfP15HIP_vector_typeIfLj2EEffffjfiS5_IjLj3EEiiiiiiiiiiiliiliiiiil: ; @_ZL15flash_attn_tileILi256ELi256ELi4ELi1ELb0EEvPKcS1_S1_S1_S1_PKiPfP15HIP_vector_typeIfLj2EEffffjfiS5_IjLj3EEiiiiiiiiiiiliiliiiiil
; %bb.0:
	s_load_dwordx4 s[36:39], s[4:5], 0x5c
	s_load_dwordx2 s[14:15], s[4:5], 0x80
	s_add_u32 flat_scratch_lo, s6, s11
	s_addc_u32 flat_scratch_hi, s7, 0
	s_add_u32 s0, s0, s11
	s_waitcnt lgkmcnt(0)
	v_cvt_f32_u32_e32 v1, s39
	s_addc_u32 s1, s1, 0
	s_sub_i32 s6, 0, s39
	s_load_dwordx16 s[16:31], s[4:5], 0x0
	v_rcp_iflag_f32_e32 v1, v1
	s_load_dwordx2 s[46:47], s[4:5], 0xb8
	s_mov_b64 s[44:45], 0
	v_mul_f32_e32 v1, 0x4f7ffffe, v1
	v_cvt_u32_f32_e32 v1, v1
	v_readfirstlane_b32 s7, v1
	s_mul_i32 s6, s6, s7
	s_mul_hi_u32 s6, s7, s6
	s_add_i32 s7, s7, s6
	s_mul_hi_u32 s6, s10, s7
	s_mul_i32 s7, s6, s39
	s_sub_i32 s7, s10, s7
	s_add_i32 s11, s6, 1
	s_sub_i32 s12, s7, s39
	s_cmp_ge_u32 s7, s39
	s_cselect_b32 s6, s11, s6
	s_cselect_b32 s7, s12, s7
	s_add_i32 s11, s6, 1
	s_cmp_ge_u32 s7, s39
	s_cselect_b32 s33, s11, s6
	s_abs_i32 s6, s15
	v_cvt_f32_u32_e32 v1, s6
	s_mul_i32 s12, s33, s39
	s_sub_i32 s13, 0, s6
	s_sub_i32 s34, s10, s12
	v_rcp_iflag_f32_e32 v1, v1
	s_abs_i32 s11, s39
	s_xor_b32 s7, s39, s15
	s_ashr_i32 s7, s7, 31
	v_mul_f32_e32 v1, 0x4f7ffffe, v1
	v_cvt_u32_f32_e32 v1, v1
	v_readfirstlane_b32 s10, v1
	s_mul_i32 s13, s13, s10
	s_mul_hi_u32 s12, s10, s13
	s_add_i32 s10, s10, s12
	s_mul_hi_u32 s10, s11, s10
	s_mul_i32 s12, s10, s6
	s_sub_i32 s11, s11, s12
	s_add_i32 s13, s10, 1
	s_sub_i32 s12, s11, s6
	s_cmp_ge_u32 s11, s6
	s_cselect_b32 s10, s13, s10
	s_cselect_b32 s11, s12, s11
	s_add_i32 s12, s10, 1
	s_cmp_ge_u32 s11, s6
	s_cselect_b32 s6, s12, s10
	s_xor_b32 s6, s6, s7
	s_sub_i32 s15, s6, s7
	s_abs_i32 s48, s15
	v_cvt_f32_u32_e32 v1, s48
	s_sub_i32 s6, 0, s48
	s_abs_i32 s49, s34
	v_rcp_iflag_f32_e32 v1, v1
	v_mul_f32_e32 v1, 0x4f7ffffe, v1
	v_cvt_u32_f32_e32 v1, v1
	v_readfirstlane_b32 s7, v1
	s_mul_i32 s6, s6, s7
	s_mul_hi_u32 s6, s7, s6
	s_add_i32 s6, s7, s6
	s_waitcnt lgkmcnt(0)
	s_cmp_eq_u64 s[22:23], 0
	s_cbranch_scc1 .LBB52_2
; %bb.1:
	s_abs_i32 s7, s46
	v_cvt_f32_u32_e32 v1, s7
	s_sub_i32 s35, 0, s7
	s_abs_i32 s13, s33
	s_ashr_i32 s12, s33, 31
	v_rcp_iflag_f32_e32 v1, v1
	s_load_dwordx2 s[10:11], s[4:5], 0xc8
	v_mul_f32_e32 v1, 0x4f7ffffe, v1
	v_cvt_u32_f32_e32 v1, v1
	v_readfirstlane_b32 s40, v1
	s_mul_i32 s35, s35, s40
	s_mul_hi_u32 s35, s40, s35
	s_add_i32 s40, s40, s35
	s_mul_hi_u32 s35, s13, s40
	s_mul_i32 s35, s35, s7
	s_sub_i32 s13, s13, s35
	s_sub_i32 s35, s13, s7
	s_cmp_ge_u32 s13, s7
	s_cselect_b32 s13, s35, s13
	s_sub_i32 s35, s13, s7
	s_cmp_ge_u32 s13, s7
	s_cselect_b32 s7, s35, s13
	s_xor_b32 s7, s7, s12
	s_sub_i32 s7, s7, s12
	s_ashr_i32 s12, s7, 31
	s_waitcnt lgkmcnt(0)
	s_mul_i32 s11, s7, s11
	s_mul_hi_u32 s13, s7, s10
	s_add_i32 s11, s13, s11
	s_mul_i32 s12, s12, s10
	s_add_i32 s11, s11, s12
	s_mul_i32 s7, s7, s10
	s_add_u32 s44, s22, s7
	s_addc_u32 s45, s23, s11
.LBB52_2:
	s_load_dwordx4 s[40:43], s[4:5], 0x40
	s_mul_hi_u32 s23, s49, s6
	s_load_dword s6, s[4:5], 0x50
	v_mov_b32_e32 v7, 1.0
	s_waitcnt lgkmcnt(0)
	v_cmp_le_f32_e64 s[10:11], s41, 0
	s_and_b64 vcc, exec, s[10:11]
	s_cbranch_vccnz .LBB52_4
; %bb.3:
	s_sub_i32 s7, s34, s6
	s_lshl_b32 s7, s7, 1
	s_add_i32 s10, s34, 1
	s_or_b32 s11, s7, 1
	s_cmp_lt_u32 s34, s6
	s_cselect_b64 vcc, -1, 0
	s_and_b64 s[6:7], vcc, exec
	v_mov_b32_e32 v1, s43
	v_mov_b32_e32 v2, s42
	s_cselect_b32 s6, s10, s11
	v_cndmask_b32_e32 v18, v1, v2, vcc
	v_cvt_f32_i32_e32 v1, s6
	v_cmp_neq_f32_e32 vcc, 1.0, v18
	s_mov_b32 s6, 0x3f2aaaab
	s_movk_i32 s10, 0x204
	v_cndmask_b32_e32 v19, 1.0, v1, vcc
	v_cmp_eq_f32_e32 vcc, 0, v19
	v_cndmask_b32_e64 v20, |v18|, 1.0, vcc
	v_frexp_mant_f32_e32 v1, v20
	v_cmp_gt_f32_e64 s[6:7], s6, v1
	v_cndmask_b32_e64 v2, 1.0, 2.0, s[6:7]
	v_mul_f32_e32 v1, v1, v2
	v_add_f32_e32 v2, 1.0, v1
	v_rcp_f32_e32 v10, v2
	v_add_f32_e32 v3, -1.0, v2
	v_sub_f32_e32 v5, v1, v3
	v_add_f32_e32 v3, -1.0, v1
	v_mul_f32_e32 v1, v3, v10
	v_mul_f32_e32 v4, v2, v1
	v_fma_f32 v6, v1, v2, -v4
	v_fmac_f32_e32 v6, v1, v5
	v_add_f32_e32 v2, v4, v6
	v_sub_f32_e32 v5, v3, v2
	v_pk_add_f32 v[8:9], v[2:3], v[4:5] neg_lo:[0,1] neg_hi:[0,1]
	v_mov_b32_e32 v7, v2
	v_pk_add_f32 v[2:3], v[8:9], v[6:7] neg_lo:[0,1] neg_hi:[0,1]
	v_add_f32_e32 v2, v2, v3
	v_add_f32_e32 v2, v5, v2
	v_mul_f32_e32 v3, v10, v2
	v_add_f32_e32 v2, v1, v3
	v_sub_f32_e32 v1, v2, v1
	v_sub_f32_e32 v1, v3, v1
	v_mul_f32_e32 v3, v2, v2
	v_fma_f32 v5, v2, v2, -v3
	v_add_f32_e32 v4, v1, v1
	v_fmac_f32_e32 v5, v2, v4
	v_add_f32_e32 v4, v3, v5
	v_mov_b32_e32 v6, 0x3e91f4c4
	v_fmac_f32_e32 v6, 0x3e76c4e1, v4
	v_mov_b32_e32 v7, 0x3ecccdef
	v_fmac_f32_e32 v7, v4, v6
	v_sub_f32_e32 v3, v4, v3
	v_sub_f32_e32 v12, v5, v3
	v_mul_f32_e32 v3, v4, v7
	v_fma_f32 v5, v4, v7, -v3
	v_fmac_f32_e32 v5, v12, v7
	v_add_f32_e32 v6, v3, v5
	v_add_f32_e32 v7, 0x3f2aaaaa, v6
	v_sub_f32_e32 v3, v6, v3
	v_sub_f32_e32 v3, v5, v3
	v_add_f32_e32 v5, 0xbf2aaaaa, v7
	v_add_f32_e32 v3, 0x31739010, v3
	v_sub_f32_e32 v5, v6, v5
	v_pk_mul_f32 v[8:9], v[2:3], v[4:5]
	v_fma_f32 v6, v4, v2, -v8
	v_pk_add_f32 v[10:11], v[2:3], v[4:5]
	v_fmac_f32_e32 v6, v4, v1
	v_mov_b32_e32 v9, v11
	v_fmac_f32_e32 v6, v12, v2
	v_pk_add_f32 v[4:5], v[8:9], v[6:7]
	v_sub_f32_e32 v3, v4, v8
	v_sub_f32_e32 v3, v6, v3
	;; [unrolled: 1-line block ×3, first 2 shown]
	v_add_f32_e32 v9, v11, v6
	v_mov_b32_e32 v6, v5
	v_pk_mul_f32 v[6:7], v[4:5], v[6:7]
	v_cvt_f64_f32_e32 v[10:11], v20
	v_frexp_exp_i32_f64_e32 v7, v[10:11]
	v_subbrev_co_u32_e64 v7, s[6:7], 0, v7, s[6:7]
	v_cvt_f32_i32_e32 v7, v7
	v_fma_f32 v8, v4, v5, -v6
	v_fmac_f32_e32 v8, v4, v9
	s_mov_b32 s6, 0x3f317218
	v_mul_f32_e32 v4, 0x3f317218, v7
	v_fmac_f32_e32 v8, v3, v5
	v_fma_f32 v10, v7, s6, -v4
	v_fmac_f32_e32 v10, 0xb102e308, v7
	v_ldexp_f32 v11, v2, 1
	v_add_f32_e32 v5, v6, v8
	v_pk_add_f32 v[2:3], v[4:5], v[10:11]
	v_mov_b32_e32 v12, v5
	v_mov_b32_e32 v13, v3
	v_mov_b32_e32 v7, v11
	v_pk_add_f32 v[6:7], v[12:13], v[6:7] neg_lo:[0,1] neg_hi:[0,1]
	v_mov_b32_e32 v9, v5
	v_ldexp_f32 v1, v1, 1
	v_pk_add_f32 v[6:7], v[8:9], v[6:7] neg_lo:[0,1] neg_hi:[0,1]
	v_add_f32_e32 v1, v1, v6
	v_add_f32_e32 v5, v1, v7
	v_pk_add_f32 v[6:7], v[2:3], v[4:5] neg_lo:[0,1] neg_hi:[0,1]
	v_pk_add_f32 v[8:9], v[2:3], v[4:5]
	v_mov_b32_e32 v12, v6
	v_mov_b32_e32 v13, v9
	;; [unrolled: 1-line block ×3, first 2 shown]
	v_pk_add_f32 v[12:13], v[10:11], v[12:13]
	v_mov_b32_e32 v4, v13
	v_pk_add_f32 v[14:15], v[4:5], v[2:3] neg_lo:[0,1] neg_hi:[0,1]
	v_mov_b32_e32 v1, v14
	v_mov_b32_e32 v12, v9
	;; [unrolled: 1-line block ×4, first 2 shown]
	v_pk_add_f32 v[6:7], v[10:11], v[6:7] neg_lo:[0,1] neg_hi:[0,1]
	v_pk_add_f32 v[16:17], v[8:9], v[0:1] neg_lo:[0,1] neg_hi:[0,1]
	;; [unrolled: 1-line block ×3, first 2 shown]
	v_mov_b32_e32 v10, v5
	v_pk_add_f32 v[2:3], v[10:11], v[2:3] neg_lo:[0,1] neg_hi:[0,1]
	v_mov_b32_e32 v16, v6
	v_pk_add_f32 v[8:9], v[16:17], v[2:3]
	v_mov_b32_e32 v10, v9
	v_pk_add_f32 v[10:11], v[8:9], v[10:11]
	v_pk_add_f32 v[4:5], v[4:5], v[10:11]
	v_mov_b32_e32 v7, v13
	v_mov_b32_e32 v9, v4
	v_pk_add_f32 v[12:13], v[8:9], v[6:7] neg_lo:[0,1] neg_hi:[0,1]
	v_mov_b32_e32 v3, v10
	v_sub_f32_e32 v1, v8, v12
	v_pk_add_f32 v[2:3], v[2:3], v[12:13] neg_lo:[0,1] neg_hi:[0,1]
	v_sub_f32_e32 v1, v6, v1
	v_add_f32_e32 v1, v2, v1
	v_add_f32_e32 v1, v1, v3
	;; [unrolled: 1-line block ×3, first 2 shown]
	v_sub_f32_e32 v3, v2, v4
	v_sub_f32_e32 v1, v1, v3
	v_mul_f32_e32 v3, v19, v2
	v_fma_f32 v2, v19, v2, -v3
	v_fmac_f32_e32 v2, v19, v1
	v_add_f32_e32 v1, v3, v2
	v_cmp_class_f32_e64 s[6:7], v3, s10
	v_sub_f32_e32 v4, v1, v3
	v_cndmask_b32_e64 v1, v1, v3, s[6:7]
	s_mov_b32 s12, 0x42b17218
	v_mov_b32_e32 v3, 0x37000000
	v_cmp_eq_f32_e64 s[6:7], s12, v1
	v_cndmask_b32_e64 v3, 0, v3, s[6:7]
	v_sub_f32_e32 v2, v2, v4
	v_sub_f32_e32 v4, v1, v3
	s_mov_b32 s6, 0x3fb8aa3b
	v_mul_f32_e32 v5, 0x3fb8aa3b, v4
	v_fma_f32 v6, v4, s6, -v5
	v_rndne_f32_e32 v7, v5
	v_fmac_f32_e32 v6, 0x32a5705f, v4
	v_sub_f32_e32 v5, v5, v7
	v_add_f32_e32 v5, v5, v6
	v_exp_f32_e32 v5, v5
	v_cvt_i32_f32_e32 v6, v7
	s_mov_b32 s11, 0x7f800000
	v_cmp_neq_f32_e64 s[6:7], |v1|, s11
	v_cndmask_b32_e64 v1, 0, v2, s[6:7]
	s_mov_b32 s6, 0xc2ce8ed0
	v_ldexp_f32 v2, v5, v6
	v_cmp_ngt_f32_e64 s[6:7], s6, v4
	v_add_f32_e32 v1, v3, v1
	v_cndmask_b32_e64 v2, 0, v2, s[6:7]
	v_mov_b32_e32 v3, 0x7f800000
	v_cmp_nlt_f32_e64 s[6:7], s12, v4
	v_cndmask_b32_e64 v2, v3, v2, s[6:7]
	v_fma_f32 v1, v2, v1, v2
	v_cmp_class_f32_e64 s[6:7], v2, s10
	v_trunc_f32_e32 v4, v19
	v_cndmask_b32_e64 v1, v1, v2, s[6:7]
	v_cndmask_b32_e64 v2, v18, 1.0, vcc
	v_cmp_eq_f32_e32 vcc, v4, v19
	v_mul_f32_e32 v4, 0.5, v19
	v_trunc_f32_e32 v6, v4
	v_cmp_neq_f32_e64 s[6:7], v6, v4
	s_and_b64 s[6:7], vcc, s[6:7]
	v_cndmask_b32_e64 v4, 1.0, v2, s[6:7]
	s_brev_b32 s22, -2
	v_mov_b32_e32 v5, 0x7fc00000
	v_bfi_b32 v1, s22, v1, v4
	v_cndmask_b32_e32 v4, v5, v1, vcc
	v_cmp_gt_f32_e32 vcc, 0, v2
	v_cndmask_b32_e32 v1, v1, v4, vcc
	v_cmp_eq_f32_e32 vcc, s11, v20
	v_cmp_eq_f32_e64 s[10:11], 0, v2
	v_cmp_gt_f32_e64 s[12:13], 0, v19
	s_xor_b64 s[12:13], s[12:13], s[10:11]
	v_cndmask_b32_e64 v3, v3, 0, s[12:13]
	v_cndmask_b32_e64 v4, 0, v2, s[6:7]
	v_bfi_b32 v3, s22, v3, v4
	s_or_b64 vcc, vcc, s[10:11]
	v_cndmask_b32_e32 v1, v1, v3, vcc
	v_cmp_o_f32_e32 vcc, v2, v2
	v_cndmask_b32_e32 v7, v5, v1, vcc
.LBB52_4:
	s_load_dwordx4 s[52:55], s[4:5], 0x70
	v_bfe_u32 v79, v0, 10, 10
	v_lshrrev_b32_e32 v6, 1, v79
	v_lshl_add_u32 v77, s8, 2, v6
	s_ashr_i32 s35, s34, 31
	s_waitcnt lgkmcnt(0)
	s_mul_i32 s6, s33, s54
	s_ashr_i32 s10, s15, 31
	s_ashr_i32 s11, s6, 31
	v_mul_hi_u32 v1, s36, v77
	s_mul_i32 s7, s34, s53
	s_add_u32 s6, s16, s6
	v_add_u32_e32 v1, v77, v1
	s_addc_u32 s11, s17, s11
	s_ashr_i32 s12, s7, 31
	v_lshrrev_b32_e32 v1, s37, v1
	s_add_u32 s13, s6, s7
	v_mul_lo_u32 v1, v1, s38
	s_addc_u32 s11, s11, s12
	v_sub_u32_e32 v35, v77, v1
	s_ashr_i32 s12, s52, 31
	v_mov_b32_e32 v1, s52
	v_alignbit_b32 v1, s12, v1, 2
	v_mad_u64_u32 v[2:3], s[6:7], v1, v35, 0
	v_mov_b32_e32 v4, v3
	s_lshr_b32 s6, s12, 2
	v_mad_u64_u32 v[4:5], s[6:7], s6, v35, v[4:5]
	v_mov_b32_e32 v3, v4
	v_and_b32_e32 v76, 0x3ff, v0
	v_lshlrev_b64 v[0:1], 2, v[2:3]
	v_mov_b32_e32 v2, s11
	v_add_co_u32_e32 v0, vcc, s13, v0
	v_addc_co_u32_e32 v1, vcc, v2, v1, vcc
	v_lshlrev_b32_e32 v2, 9, v79
	v_and_b32_e32 v2, 0x200, v2
	v_add_co_u32_e32 v0, vcc, v0, v2
	v_addc_co_u32_e32 v1, vcc, 0, v1, vcc
	v_lshlrev_b32_e32 v2, 4, v76
	v_add_co_u32_e32 v0, vcc, v0, v2
	v_addc_co_u32_e32 v1, vcc, 0, v1, vcc
	global_load_dwordx4 v[0:3], v[0:1], off
	v_lshlrev_b32_e32 v4, 7, v6
	v_lshlrev_b32_e32 v38, 6, v79
	v_and_b32_e32 v5, 64, v38
	v_lshl_add_u32 v5, v76, 1, v5
	s_mov_b32 s7, 0
	v_lshlrev_b32_e32 v78, 2, v76
	s_cmp_eq_u64 s[26:27], 0
	s_waitcnt vmcnt(0)
	v_pk_mul_f32 v[0:1], v[0:1], s[40:41] op_sel_hi:[1,0]
	v_pk_mul_f32 v[2:3], v[2:3], s[40:41] op_sel_hi:[1,0]
	v_cvt_f16_f32_e32 v6, v1
	v_cvt_f16_f32_e32 v1, v3
	;; [unrolled: 1-line block ×4, first 2 shown]
	v_add_lshl_u32 v3, v5, v4, 2
	v_pack_b32_f16 v1, v2, v1
	v_pack_b32_f16 v0, v0, v6
	ds_write_b64 v3, v[0:1] offset:17408
	s_waitcnt lgkmcnt(0)
	s_barrier
	s_cbranch_scc1 .LBB52_6
; %bb.5:
	s_load_dword s6, s[4:5], 0xd0
	s_waitcnt lgkmcnt(0)
	s_mul_i32 s6, s6, s33
	s_add_i32 s6, s6, s8
	s_lshl_b64 s[6:7], s[6:7], 2
	s_add_u32 s6, s26, s6
	s_addc_u32 s7, s27, s7
	s_load_dword s14, s[6:7], 0x0
.LBB52_6:
	s_nop 0
	s_load_dwordx2 s[6:7], s[4:5], 0x8c
	s_load_dwordx4 s[40:43], s[4:5], 0x98
	s_load_dwordx2 s[12:13], s[4:5], 0xa8
	s_ashr_i32 s22, s47, 1
	s_mul_i32 s17, s23, s48
	s_waitcnt lgkmcnt(0)
	s_ashr_i32 s15, s6, 2
	s_ashr_i32 s6, s33, 31
	s_mul_i32 s11, s33, s41
	s_mul_hi_u32 s16, s33, s40
	s_add_i32 s11, s16, s11
	s_mul_i32 s16, s6, s40
	s_ashr_i32 s8, s42, 2
	s_add_i32 s11, s11, s16
	s_mul_i32 s16, s33, s40
	s_add_u32 s16, s18, s16
	s_addc_u32 s11, s19, s11
	s_sub_i32 s17, s49, s17
	s_xor_b32 s10, s35, s10
	s_add_i32 s18, s23, 1
	s_sub_i32 s19, s17, s48
	s_cmp_ge_u32 s17, s48
	s_cselect_b32 s18, s18, s23
	s_cselect_b32 s17, s19, s17
	s_add_i32 s19, s18, 1
	s_cmp_ge_u32 s17, s48
	s_cselect_b32 s17, s19, s18
	s_xor_b32 s17, s17, s10
	s_sub_i32 s10, s17, s10
	s_mul_i32 s7, s10, s7
	s_ashr_i32 s17, s7, 31
	s_add_u32 s23, s16, s7
	s_addc_u32 s26, s11, s17
	s_mul_i32 s7, s33, s13
	s_mul_hi_u32 s11, s33, s12
	s_add_i32 s7, s11, s7
	s_mul_i32 s6, s6, s12
	s_add_i32 s7, s7, s6
	s_mul_i32 s6, s33, s12
	s_add_u32 s6, s20, s6
	s_mul_i32 s10, s10, s43
	s_addc_u32 s7, s21, s7
	s_ashr_i32 s11, s10, 31
	s_add_u32 s18, s6, s10
	s_addc_u32 s19, s7, s11
	s_lshl_b32 s20, s9, 6
	s_sub_i32 s21, s14, 64
	v_mul_lo_u32 v4, s8, v79
	s_cmp_ge_i32 s20, s21
	v_mov_b32_e32 v3, 0
	v_lshrrev_b32_e32 v39, 4, v76
	v_and_b32_e32 v6, 60, v78
	v_lshlrev_b32_e32 v34, 5, v79
	v_and_b32_e32 v36, 1, v76
	v_lshlrev_b32_e32 v80, 2, v78
	v_ashrrev_i32_e32 v5, 31, v4
	v_and_b32_e32 v69, 1, v79
	v_mbcnt_lo_u32_b32 v37, -1, 0
	s_cbranch_scc1 .LBB52_14
; %bb.7:
	v_lshl_add_u32 v1, v79, 1, v39
	v_lshlrev_b32_e32 v2, 2, v6
	s_movk_i32 s6, 0x110
	v_mad_u32_u24 v40, v1, s6, v2
	s_lshl_b32 s6, s15, 4
	v_and_b32_e32 v10, 0xff80, v38
	v_mov_b32_e32 v9, 0x4400
	s_cmp_lg_u64 s[44:45], 0
	s_movk_i32 s10, 0x3fe
	v_mul_lo_u32 v2, s15, v1
	v_and_b32_e32 v1, 32, v34
	v_lshl_add_u32 v45, v10, 2, v9
	v_and_or_b32 v18, v79, s10, v36
	v_add_u32_e32 v10, 0x4c00, v10
	s_cselect_b64 s[10:11], -1, 0
	s_lshl_b32 s12, s8, 3
	v_add_u32_e32 v12, s6, v2
	v_add_u32_e32 v8, v1, v76
	v_lshl_or_b32 v1, v1, 1, v10
	v_add_u32_e32 v20, s12, v4
	v_add_u32_e32 v14, s6, v12
	v_lshl_add_u32 v47, v76, 1, v1
	v_add_u32_e32 v22, s12, v20
	v_and_b32_e32 v1, 1, v79
	v_ashrrev_i32_e32 v3, 31, v2
	v_add_u32_e32 v16, s6, v14
	v_mul_u32_u24_e32 v44, 0x110, v8
	v_mad_u64_u32 v[8:9], s[6:7], v35, s22, v[8:9]
	v_mov_b32_e32 v11, 0x4e00
	v_add_u32_e32 v24, s12, v22
	v_lshlrev_b32_e32 v53, 9, v1
	v_mov_b32_e32 v0, 0
	v_ashrrev_i32_e32 v13, 31, v12
	v_ashrrev_i32_e32 v15, 31, v14
	;; [unrolled: 1-line block ×3, first 2 shown]
	v_lshl_add_u32 v9, v79, 2, v11
	v_lshl_add_u32 v46, v18, 2, v11
	;; [unrolled: 1-line block ×3, first 2 shown]
	v_ashrrev_i32_e32 v21, 31, v20
	v_ashrrev_i32_e32 v23, 31, v22
	;; [unrolled: 1-line block ×3, first 2 shown]
	v_lshlrev_b32_e32 v52, 3, v76
	v_lshl_or_b32 v54, v1, 1, v10
	v_or_b32_e32 v1, 0x400, v53
	v_or_b32_e32 v26, 0x800, v53
	;; [unrolled: 1-line block ×15, first 2 shown]
	s_add_u32 s12, s4, 0xd0
	v_lshlrev_b64 v[10:11], 2, v[2:3]
	v_cndmask_b32_e64 v2, 0, 1, s[10:11]
	v_add_u32_e32 v41, 0x1100, v40
	v_add_u32_e32 v42, 0x2200, v40
	;; [unrolled: 1-line block ×3, first 2 shown]
	v_cmp_eq_u32_e64 s[6:7], 0, v76
	v_add_u32_e32 v49, 0x1000, v48
	v_add_u32_e32 v50, 0x2000, v48
	;; [unrolled: 1-line block ×3, first 2 shown]
	s_addc_u32 s13, s5, 0
	v_mov_b32_e32 v75, 0xfeffffff
	v_lshlrev_b32_e32 v55, 2, v6
	v_lshlrev_b64 v[12:13], 2, v[12:13]
	v_lshlrev_b64 v[14:15], 2, v[14:15]
	;; [unrolled: 1-line block ×3, first 2 shown]
	v_mbcnt_hi_u32_b32 v56, -1, v37
	s_mov_b32 s27, 0x3fb8aa3b
	s_mov_b32 s36, 0xc2ce8ed0
	;; [unrolled: 1-line block ×3, first 2 shown]
	v_lshlrev_b64 v[18:19], 2, v[4:5]
	v_lshlrev_b64 v[20:21], 2, v[20:21]
	;; [unrolled: 1-line block ×4, first 2 shown]
	v_add_u32_e32 v57, v52, v1
	v_add_u32_e32 v58, v52, v26
	;; [unrolled: 1-line block ×15, first 2 shown]
	v_cmp_ne_u32_e64 s[10:11], 1, v2
	v_mov_b32_e32 v74, 0x7f800000
	v_mov_b32_e32 v1, v0
	;; [unrolled: 1-line block ×5, first 2 shown]
.LBB52_8:                               ; =>This Inner Loop Header: Depth=1
	s_mul_hi_i32 s17, s20, s15
	s_mul_i32 s16, s20, s15
	s_lshl_b64 s[16:17], s[16:17], 2
	s_add_u32 s16, s23, s16
	s_addc_u32 s17, s26, s17
	v_mov_b32_e32 v26, s17
	v_add_co_u32_e32 v27, vcc, s16, v10
	v_addc_co_u32_e32 v28, vcc, v26, v11, vcc
	v_add_co_u32_e32 v26, vcc, v27, v55
	v_addc_co_u32_e32 v27, vcc, 0, v28, vcc
	v_mov_b32_e32 v28, s17
	v_add_co_u32_e32 v29, vcc, s16, v12
	v_addc_co_u32_e32 v30, vcc, v28, v13, vcc
	v_add_co_u32_e32 v28, vcc, v29, v55
	v_addc_co_u32_e32 v29, vcc, 0, v30, vcc
	;; [unrolled: 5-line block ×3, first 2 shown]
	v_mov_b32_e32 v32, s17
	v_add_co_u32_e32 v33, vcc, s16, v16
	v_addc_co_u32_e32 v68, vcc, v32, v17, vcc
	v_add_co_u32_e32 v32, vcc, v33, v55
	global_load_dwordx4 v[82:85], v[26:27], off
	global_load_dwordx4 v[86:89], v[28:29], off
	v_addc_co_u32_e32 v33, vcc, 0, v68, vcc
	global_load_dwordx4 v[90:93], v[30:31], off
	global_load_dwordx4 v[94:97], v[32:33], off
	v_mov_b32_e32 v68, 0
	s_and_b64 vcc, exec, s[10:11]
	s_waitcnt vmcnt(3)
	ds_write_b128 v40, v[82:85]
	s_waitcnt vmcnt(2)
	ds_write_b128 v41, v[86:89]
	;; [unrolled: 2-line block ×4, first 2 shown]
	s_waitcnt lgkmcnt(0)
	s_barrier
	ds_read_b128 v[82:85], v44
	ds_read_b128 v[86:89], v45
	s_waitcnt lgkmcnt(0)
	;;#ASMSTART
	v_dot2_f32_f16 v68, v82, v86, v68
	;;#ASMEND
	;;#ASMSTART
	v_dot2_f32_f16 v68, v83, v87, v68
	;;#ASMEND
	;;#ASMSTART
	v_dot2_f32_f16 v68, v84, v88, v68
	;;#ASMEND
	;;#ASMSTART
	v_dot2_f32_f16 v68, v85, v89, v68
	;;#ASMEND
	ds_read_b128 v[82:85], v44 offset:16
	ds_read_b128 v[86:89], v45 offset:16
	s_waitcnt lgkmcnt(0)
	;;#ASMSTART
	v_dot2_f32_f16 v68, v82, v86, v68
	;;#ASMEND
	;;#ASMSTART
	v_dot2_f32_f16 v68, v83, v87, v68
	;;#ASMEND
	;;#ASMSTART
	v_dot2_f32_f16 v68, v84, v88, v68
	;;#ASMEND
	;;#ASMSTART
	v_dot2_f32_f16 v68, v85, v89, v68
	;;#ASMEND
	ds_read_b128 v[82:85], v44 offset:32
	ds_read_b128 v[86:89], v45 offset:32
	;; [unrolled: 15-line block ×15, first 2 shown]
	s_waitcnt lgkmcnt(0)
	;;#ASMSTART
	v_dot2_f32_f16 v68, v82, v86, v68
	;;#ASMEND
	;;#ASMSTART
	v_dot2_f32_f16 v68, v83, v87, v68
	;;#ASMEND
	;; [unrolled: 3-line block ×4, first 2 shown]
	s_barrier
	global_load_dwordx4 v[82:85], v[26:27], off offset:256
	global_load_dwordx4 v[86:89], v[28:29], off offset:256
	;; [unrolled: 1-line block ×4, first 2 shown]
	s_waitcnt vmcnt(3)
	ds_write_b128 v40, v[82:85]
	s_waitcnt vmcnt(2)
	ds_write_b128 v41, v[86:89]
	;; [unrolled: 2-line block ×4, first 2 shown]
	s_waitcnt lgkmcnt(0)
	s_barrier
	ds_read_b128 v[26:29], v44
	ds_read_b128 v[30:33], v45 offset:256
	s_waitcnt lgkmcnt(0)
	;;#ASMSTART
	v_dot2_f32_f16 v68, v26, v30, v68
	;;#ASMEND
	;;#ASMSTART
	v_dot2_f32_f16 v68, v27, v31, v68
	;;#ASMEND
	;;#ASMSTART
	v_dot2_f32_f16 v68, v28, v32, v68
	;;#ASMEND
	;;#ASMSTART
	v_dot2_f32_f16 v68, v29, v33, v68
	;;#ASMEND
	ds_read_b128 v[26:29], v44 offset:16
	ds_read_b128 v[30:33], v45 offset:272
	s_waitcnt lgkmcnt(0)
	;;#ASMSTART
	v_dot2_f32_f16 v68, v26, v30, v68
	;;#ASMEND
	;;#ASMSTART
	v_dot2_f32_f16 v68, v27, v31, v68
	;;#ASMEND
	;;#ASMSTART
	v_dot2_f32_f16 v68, v28, v32, v68
	;;#ASMEND
	;;#ASMSTART
	v_dot2_f32_f16 v68, v29, v33, v68
	;;#ASMEND
	ds_read_b128 v[26:29], v44 offset:32
	;; [unrolled: 15-line block ×15, first 2 shown]
	ds_read_b128 v[30:33], v45 offset:496
	s_waitcnt lgkmcnt(0)
	;;#ASMSTART
	v_dot2_f32_f16 v68, v26, v30, v68
	;;#ASMEND
	;;#ASMSTART
	v_dot2_f32_f16 v68, v27, v31, v68
	;;#ASMEND
	;; [unrolled: 3-line block ×3, first 2 shown]
	v_mov_b32_e32 v26, 0
	;;#ASMSTART
	v_dot2_f32_f16 v68, v29, v33, v68
	;;#ASMEND
	s_cbranch_vccnz .LBB52_10
; %bb.9:                                ;   in Loop: Header=BB52_8 Depth=1
	v_add_u32_e32 v26, s20, v8
	v_ashrrev_i32_e32 v27, 31, v26
	v_lshlrev_b64 v[26:27], 1, v[26:27]
	v_mov_b32_e32 v28, s45
	v_add_co_u32_e32 v26, vcc, s44, v26
	v_addc_co_u32_e32 v27, vcc, v28, v27, vcc
	flat_load_ushort v26, v[26:27]
	s_waitcnt vmcnt(0) lgkmcnt(0)
	v_cvt_f32_f16_e32 v26, v26
	v_mul_f32_e32 v26, v7, v26
.LBB52_10:                              ;   in Loop: Header=BB52_8 Depth=1
	v_add_f32_e32 v26, v68, v26
	v_add_f32_e32 v27, 0x40051340, v26
	v_max_f32_e32 v28, v75, v75
	v_max_f32_e32 v27, v28, v27
	v_and_b32_e32 v28, 0x60, v56
	v_add_u32_e32 v29, 32, v28
	v_xor_b32_e32 v28, 16, v56
	v_cmp_lt_i32_e32 vcc, v28, v29
	v_cndmask_b32_e32 v28, v56, v28, vcc
	v_lshlrev_b32_e32 v28, 2, v28
	ds_bpermute_b32 v28, v28, v27
	s_waitcnt lgkmcnt(0)
	v_max_f32_e32 v28, v28, v28
	v_max_f32_e32 v27, v27, v28
	v_xor_b32_e32 v28, 8, v56
	v_cmp_lt_i32_e32 vcc, v28, v29
	v_cndmask_b32_e32 v28, v56, v28, vcc
	v_lshlrev_b32_e32 v28, 2, v28
	ds_bpermute_b32 v28, v28, v27
	s_waitcnt lgkmcnt(0)
	v_max_f32_e32 v28, v28, v28
	v_max_f32_e32 v27, v27, v28
	;; [unrolled: 8-line block ×4, first 2 shown]
	v_xor_b32_e32 v27, 1, v56
	v_cmp_lt_i32_e32 vcc, v27, v29
	v_cndmask_b32_e32 v29, v56, v27, vcc
	v_lshlrev_b32_e32 v29, 2, v29
	ds_bpermute_b32 v29, v29, v28
	s_and_saveexec_b64 s[16:17], s[6:7]
	s_cbranch_execz .LBB52_12
; %bb.11:                               ;   in Loop: Header=BB52_8 Depth=1
	s_waitcnt lgkmcnt(0)
	v_max_f32_e32 v29, v29, v29
	v_max_f32_e32 v28, v28, v28
	;; [unrolled: 1-line block ×3, first 2 shown]
	ds_write_b32 v9, v28
.LBB52_12:                              ;   in Loop: Header=BB52_8 Depth=1
	s_or_b64 exec, exec, s[16:17]
	s_waitcnt lgkmcnt(0)
	s_barrier
	ds_read_b32 v28, v46
	v_and_b32_e32 v29, 0x7e, v56
	v_add_u32_e32 v29, 2, v29
	v_cmp_lt_i32_e32 vcc, v27, v29
	v_cndmask_b32_e32 v27, v56, v27, vcc
	v_lshlrev_b32_e32 v27, 2, v27
	s_waitcnt lgkmcnt(0)
	ds_bpermute_b32 v27, v27, v28
	v_max_f32_e32 v28, v28, v28
	s_mul_hi_i32 s17, s20, s8
	s_mul_i32 s16, s20, s8
	s_lshl_b64 s[16:17], s[16:17], 2
	s_waitcnt lgkmcnt(0)
	v_max_f32_e32 v27, v27, v27
	v_max_f32_e32 v68, v28, v27
	v_sub_f32_e32 v27, v75, v68
	v_mul_f32_e32 v28, 0x3fb8aa3b, v27
	v_fma_f32 v29, v27, s27, -v28
	v_rndne_f32_e32 v30, v28
	v_fmac_f32_e32 v29, 0x32a5705f, v27
	v_sub_f32_e32 v28, v28, v30
	v_add_f32_e32 v28, v28, v29
	v_exp_f32_e32 v28, v28
	v_cvt_i32_f32_e32 v29, v30
	v_cmp_ngt_f32_e32 vcc, s36, v27
	v_sub_f32_e32 v26, v26, v68
	s_add_u32 s16, s18, s16
	v_ldexp_f32 v28, v28, v29
	v_cndmask_b32_e32 v28, 0, v28, vcc
	v_cmp_nlt_f32_e32 vcc, s37, v27
	v_cndmask_b32_e32 v27, v74, v28, vcc
	v_mul_f32_e32 v28, 0x3fb8aa3b, v26
	v_fma_f32 v29, v26, s27, -v28
	v_rndne_f32_e32 v30, v28
	v_fmac_f32_e32 v29, 0x32a5705f, v26
	v_sub_f32_e32 v28, v28, v30
	v_add_f32_e32 v28, v28, v29
	v_exp_f32_e32 v28, v28
	v_cvt_i32_f32_e32 v29, v30
	v_cvt_f16_f32_e32 v30, v27
	v_cmp_ngt_f32_e32 vcc, s36, v26
	s_addc_u32 s17, s19, s17
	v_ldexp_f32 v28, v28, v29
	v_cndmask_b32_e32 v28, 0, v28, vcc
	v_cmp_nlt_f32_e32 vcc, s37, v26
	v_cndmask_b32_e32 v26, v74, v28, vcc
	v_pk_mul_f16 v31, v2, v30 op_sel_hi:[1,0]
	v_cvt_f16_f32_e32 v2, v26
	v_pk_mul_f16 v32, v30, v3 op_sel_hi:[0,1]
	v_mov_b32_e32 v3, s17
	v_fma_f32 v81, v81, v27, v26
	ds_write_b16 v47, v2
	v_add_co_u32_e32 v2, vcc, s16, v18
	v_addc_co_u32_e32 v3, vcc, v3, v19, vcc
	v_add_co_u32_e32 v2, vcc, v2, v80
	v_addc_co_u32_e32 v3, vcc, 0, v3, vcc
	global_load_dwordx4 v[26:29], v[2:3], off
	v_add_co_u32_e32 v2, vcc, s16, v20
	v_mov_b32_e32 v3, s17
	v_addc_co_u32_e32 v3, vcc, v3, v21, vcc
	v_add_co_u32_e32 v2, vcc, v2, v80
	v_addc_co_u32_e32 v3, vcc, 0, v3, vcc
	v_add_u32_e32 v33, v52, v53
	s_waitcnt vmcnt(0)
	ds_write_b128 v48, v[26:29]
	global_load_dwordx4 v[26:29], v[2:3], off
	v_add_co_u32_e32 v2, vcc, s16, v22
	v_mov_b32_e32 v3, s17
	v_addc_co_u32_e32 v3, vcc, v3, v23, vcc
	v_add_co_u32_e32 v2, vcc, v2, v80
	v_addc_co_u32_e32 v3, vcc, 0, v3, vcc
	s_waitcnt vmcnt(0)
	ds_write_b128 v49, v[26:29]
	global_load_dwordx4 v[26:29], v[2:3], off
	v_add_co_u32_e32 v2, vcc, s16, v24
	v_mov_b32_e32 v3, s17
	v_addc_co_u32_e32 v3, vcc, v3, v25, vcc
	v_add_co_u32_e32 v2, vcc, v2, v80
	v_addc_co_u32_e32 v3, vcc, 0, v3, vcc
	s_or_b32 s16, s20, 32
	s_mul_hi_i32 s17, s16, s8
	s_mul_i32 s16, s16, s8
	s_lshl_b64 s[16:17], s[16:17], 2
	s_add_u32 s16, s18, s16
	s_addc_u32 s17, s19, s17
	s_waitcnt vmcnt(0)
	ds_write_b128 v50, v[26:29]
	global_load_dwordx4 v[26:29], v[2:3], off
	s_waitcnt vmcnt(0)
	ds_write_b128 v51, v[26:29]
	s_waitcnt lgkmcnt(0)
	s_barrier
	ds_read2_b64 v[26:29], v33 offset1:32
	ds_read_u16 v2, v54
	ds_read_u16 v75, v54 offset:4
	ds_read_u16 v82, v54 offset:8
	;; [unrolled: 1-line block ×15, first 2 shown]
	s_waitcnt lgkmcnt(14)
	v_pk_mul_f16 v3, v26, v2 op_sel_hi:[1,0]
	v_pk_fma_f16 v26, v0, v30, v3 op_sel_hi:[1,0,1]
	v_pk_mul_f16 v0, v27, v2 op_sel_hi:[1,0]
	v_pk_fma_f16 v27, v1, v30, v0 op_sel_hi:[1,0,1]
	v_pk_fma_f16 v28, v28, v2, v31 op_sel_hi:[1,0,1]
	v_pk_fma_f16 v29, v29, v2, v32 op_sel_hi:[1,0,1]
	ds_read2_b64 v[0:3], v57 offset1:32
	s_waitcnt lgkmcnt(0)
	v_pk_fma_f16 v26, v0, v75, v26 op_sel_hi:[1,0,1]
	v_pk_fma_f16 v27, v1, v75, v27 op_sel_hi:[1,0,1]
	v_pk_fma_f16 v28, v2, v75, v28 op_sel_hi:[1,0,1]
	v_pk_fma_f16 v29, v3, v75, v29 op_sel_hi:[1,0,1]
	ds_read2_b64 v[0:3], v58 offset1:32
	s_waitcnt lgkmcnt(0)
	v_pk_fma_f16 v26, v0, v82, v26 op_sel_hi:[1,0,1]
	;; [unrolled: 6-line block ×14, first 2 shown]
	v_pk_fma_f16 v27, v1, v94, v27 op_sel_hi:[1,0,1]
	v_pk_fma_f16 v28, v2, v94, v28 op_sel_hi:[1,0,1]
	;; [unrolled: 1-line block ×3, first 2 shown]
	ds_read2_b64 v[0:3], v73 offset1:32
	s_waitcnt lgkmcnt(0)
	s_barrier
	v_pk_fma_f16 v26, v0, v95, v26 op_sel_hi:[1,0,1]
	v_pk_fma_f16 v27, v1, v95, v27 op_sel_hi:[1,0,1]
	v_add_co_u32_e32 v0, vcc, s16, v18
	v_mov_b32_e32 v1, s17
	v_addc_co_u32_e32 v1, vcc, v1, v19, vcc
	v_add_co_u32_e32 v0, vcc, v0, v80
	v_addc_co_u32_e32 v1, vcc, 0, v1, vcc
	v_pk_fma_f16 v28, v2, v95, v28 op_sel_hi:[1,0,1]
	v_pk_fma_f16 v29, v3, v95, v29 op_sel_hi:[1,0,1]
	global_load_dwordx4 v[0:3], v[0:1], off
	s_waitcnt vmcnt(0)
	ds_write_b128 v48, v[0:3]
	v_add_co_u32_e32 v0, vcc, s16, v20
	v_mov_b32_e32 v1, s17
	v_addc_co_u32_e32 v1, vcc, v1, v21, vcc
	v_add_co_u32_e32 v0, vcc, v0, v80
	v_addc_co_u32_e32 v1, vcc, 0, v1, vcc
	global_load_dwordx4 v[0:3], v[0:1], off
	s_waitcnt vmcnt(0)
	ds_write_b128 v49, v[0:3]
	v_add_co_u32_e32 v0, vcc, s16, v22
	v_mov_b32_e32 v1, s17
	v_addc_co_u32_e32 v1, vcc, v1, v23, vcc
	v_add_co_u32_e32 v0, vcc, v0, v80
	v_addc_co_u32_e32 v1, vcc, 0, v1, vcc
	;; [unrolled: 8-line block ×3, first 2 shown]
	global_load_dwordx4 v[0:3], v[0:1], off
	s_waitcnt vmcnt(0)
	ds_write_b128 v51, v[0:3]
	s_waitcnt lgkmcnt(0)
	s_barrier
	ds_read2_b64 v[0:3], v33 offset1:32
	ds_read_u16 v30, v54 offset:64
	ds_read_u16 v31, v54 offset:68
	;; [unrolled: 1-line block ×16, first 2 shown]
	s_waitcnt lgkmcnt(14)
	v_pk_fma_f16 v26, v0, v30, v26 op_sel_hi:[1,0,1]
	v_pk_fma_f16 v27, v1, v30, v27 op_sel_hi:[1,0,1]
	v_pk_fma_f16 v28, v2, v30, v28 op_sel_hi:[1,0,1]
	v_pk_fma_f16 v29, v3, v30, v29 op_sel_hi:[1,0,1]
	ds_read2_b64 v[0:3], v57 offset1:32
	s_waitcnt lgkmcnt(0)
	v_pk_fma_f16 v26, v0, v31, v26 op_sel_hi:[1,0,1]
	v_pk_fma_f16 v27, v1, v31, v27 op_sel_hi:[1,0,1]
	v_pk_fma_f16 v28, v2, v31, v28 op_sel_hi:[1,0,1]
	v_pk_fma_f16 v29, v3, v31, v29 op_sel_hi:[1,0,1]
	ds_read2_b64 v[0:3], v58 offset1:32
	;; [unrolled: 6-line block ×15, first 2 shown]
	s_waitcnt lgkmcnt(0)
	s_barrier
	s_load_dword s16, s[12:13], 0x4
	v_pk_fma_f16 v0, v0, v92, v26 op_sel_hi:[1,0,1]
	v_pk_fma_f16 v1, v1, v92, v27 op_sel_hi:[1,0,1]
	;; [unrolled: 1-line block ×4, first 2 shown]
	s_waitcnt lgkmcnt(0)
	s_lshl_b32 s16, s16, 6
	s_add_i32 s20, s16, s20
	s_cmp_lt_i32 s20, s21
	s_cbranch_scc0 .LBB52_15
; %bb.13:                               ;   in Loop: Header=BB52_8 Depth=1
	v_mov_b32_e32 v75, v68
	s_branch .LBB52_8
.LBB52_14:
	v_mov_b32_e32 v68, 0xfeffffff
	v_mov_b32_e32 v81, 0
	;; [unrolled: 1-line block ×5, first 2 shown]
.LBB52_15:
	v_lshlrev_b32_e32 v82, 7, v79
	s_cmp_gt_i32 s14, s20
	s_cbranch_scc1 .LBB52_17
; %bb.16:
	v_mbcnt_hi_u32_b32 v83, -1, v37
	v_and_b32_e32 v8, 0x60, v83
	v_add_u32_e32 v84, 32, v8
	v_xor_b32_e32 v85, 16, v83
	v_xor_b32_e32 v86, 8, v83
	;; [unrolled: 1-line block ×5, first 2 shown]
	v_and_b32_e32 v8, 1, v79
	s_cbranch_execz .LBB52_18
	s_branch .LBB52_25
.LBB52_17:
                                        ; implicit-def: $vgpr83
                                        ; implicit-def: $vgpr84
                                        ; implicit-def: $vgpr85
                                        ; implicit-def: $vgpr86
                                        ; implicit-def: $vgpr87
                                        ; implicit-def: $vgpr88
                                        ; implicit-def: $vgpr89
                                        ; implicit-def: $vgpr8
.LBB52_18:
	s_mul_hi_i32 s7, s20, s15
	s_mul_i32 s6, s20, s15
	v_lshl_add_u32 v8, v79, 1, v39
	s_sub_i32 s16, s14, s20
	s_lshl_b64 s[6:7], s[6:7], 2
	v_mul_lo_u32 v14, s15, v8
	s_add_u32 s14, s23, s6
	v_ashrrev_i32_e32 v15, 31, v14
	s_addc_u32 s17, s26, s7
	v_lshlrev_b64 v[10:11], 2, v[14:15]
	v_mov_b32_e32 v12, s17
	v_add_co_u32_e32 v10, vcc, s14, v10
	v_lshlrev_b32_e32 v6, 2, v6
	v_addc_co_u32_e32 v11, vcc, v12, v11, vcc
	v_add_co_u32_e32 v20, vcc, v10, v6
	s_mov_b64 s[6:7], src_private_base
	v_addc_co_u32_e32 v21, vcc, 0, v11, vcc
	v_mov_b32_e32 v9, 0
	v_mov_b32_e32 v22, s7
	v_cmp_gt_i32_e32 vcc, s16, v8
	v_mov_b32_e32 v23, 0
	buffer_store_dword v9, off, s[0:3], 0
	buffer_store_dword v9, off, s[0:3], 0 offset:8
	buffer_store_dword v9, off, s[0:3], 0 offset:4
	;; [unrolled: 1-line block ×3, first 2 shown]
	v_cndmask_b32_e32 v11, v22, v21, vcc
	v_cndmask_b32_e32 v10, v23, v20, vcc
	flat_load_dwordx4 v[10:13], v[10:11]
	s_lshl_b32 s15, s15, 4
	v_add_u32_e32 v14, s15, v14
	v_ashrrev_i32_e32 v15, 31, v14
	s_movk_i32 s6, 0x110
	v_lshlrev_b64 v[16:17], 2, v[14:15]
	v_mad_u32_u24 v24, v8, s6, v6
	v_mov_b32_e32 v19, s17
	v_add_co_u32_e64 v15, s[6:7], s14, v16
	v_addc_co_u32_e64 v16, s[6:7], v19, v17, s[6:7]
	v_add_co_u32_e64 v25, s[6:7], v15, v6
	v_add_u32_e32 v18, 16, v8
	v_addc_co_u32_e64 v26, s[6:7], 0, v16, s[6:7]
	v_cmp_gt_i32_e64 s[6:7], s16, v18
	buffer_store_dword v9, off, s[0:3], 0
	buffer_store_dword v9, off, s[0:3], 0 offset:8
	buffer_store_dword v9, off, s[0:3], 0 offset:4
	;; [unrolled: 1-line block ×3, first 2 shown]
	v_cndmask_b32_e64 v17, v22, v26, s[6:7]
	v_cndmask_b32_e64 v16, v23, v25, s[6:7]
	v_add_u32_e32 v14, s15, v14
	v_ashrrev_i32_e32 v15, 31, v14
	v_add_u32_e32 v18, 32, v8
	v_cmp_gt_i32_e64 s[12:13], s16, v18
	v_add_u32_e32 v8, 48, v8
	s_waitcnt vmcnt(0) lgkmcnt(0)
	ds_write_b128 v24, v[10:13]
	flat_load_dwordx4 v[10:13], v[16:17]
	v_lshlrev_b64 v[16:17], 2, v[14:15]
	v_add_co_u32_e64 v15, s[10:11], s14, v16
	v_addc_co_u32_e64 v16, s[10:11], v19, v17, s[10:11]
	v_add_co_u32_e64 v27, s[10:11], v15, v6
	v_addc_co_u32_e64 v28, s[10:11], 0, v16, s[10:11]
	v_cndmask_b32_e64 v17, v22, v28, s[12:13]
	v_cndmask_b32_e64 v16, v23, v27, s[12:13]
	buffer_store_dword v9, off, s[0:3], 0
	buffer_store_dword v9, off, s[0:3], 0 offset:8
	buffer_store_dword v9, off, s[0:3], 0 offset:4
	buffer_store_dword v9, off, s[0:3], 0 offset:12
	v_add_u32_e32 v14, s15, v14
	v_ashrrev_i32_e32 v15, 31, v14
	v_lshlrev_b64 v[14:15], 2, v[14:15]
	v_add_co_u32_e64 v14, s[10:11], s14, v14
	s_waitcnt vmcnt(0) lgkmcnt(0)
	ds_write_b128 v24, v[10:13] offset:4352
	flat_load_dwordx4 v[10:13], v[16:17]
	v_mov_b32_e32 v16, s17
	v_addc_co_u32_e64 v15, s[10:11], v16, v15, s[10:11]
	v_add_co_u32_e64 v29, s[10:11], v14, v6
	v_addc_co_u32_e64 v30, s[10:11], 0, v15, s[10:11]
	v_cmp_gt_i32_e64 s[10:11], s16, v8
	v_cndmask_b32_e64 v15, v22, v30, s[10:11]
	v_cndmask_b32_e64 v14, v23, v29, s[10:11]
	buffer_store_dword v9, off, s[0:3], 0
	buffer_store_dword v9, off, s[0:3], 0 offset:8
	buffer_store_dword v9, off, s[0:3], 0 offset:4
	;; [unrolled: 1-line block ×3, first 2 shown]
	v_and_b32_e32 v6, 32, v34
	v_add_u32_e32 v6, v6, v76
	v_and_b32_e32 v8, 0xff80, v38
	s_movk_i32 s17, 0x100
	v_add_co_u32_e64 v20, s[14:15], s17, v20
	v_addc_co_u32_e64 v21, s[14:15], 0, v21, s[14:15]
	v_cndmask_b32_e32 v20, v23, v20, vcc
	v_cndmask_b32_e32 v21, v22, v21, vcc
	s_waitcnt vmcnt(0) lgkmcnt(0)
	ds_write_b128 v24, v[10:13] offset:8704
	flat_load_dwordx4 v[12:15], v[14:15]
	v_mul_u32_u24_e32 v11, 0x110, v6
	v_lshlrev_b32_e32 v10, 2, v8
	v_mov_b32_e32 v8, 0
	s_waitcnt vmcnt(0) lgkmcnt(0)
	ds_write_b128 v24, v[12:15] offset:13056
	s_waitcnt lgkmcnt(0)
	s_barrier
	ds_read_b128 v[12:15], v11
	ds_read_b128 v[16:19], v10 offset:17408
	s_waitcnt lgkmcnt(0)
	;;#ASMSTART
	v_dot2_f32_f16 v8, v12, v16, v8
	;;#ASMEND
	;;#ASMSTART
	v_dot2_f32_f16 v8, v13, v17, v8
	;;#ASMEND
	;;#ASMSTART
	v_dot2_f32_f16 v8, v14, v18, v8
	;;#ASMEND
	;;#ASMSTART
	v_dot2_f32_f16 v8, v15, v19, v8
	;;#ASMEND
	ds_read_b128 v[12:15], v11 offset:16
	ds_read_b128 v[16:19], v10 offset:17424
	s_waitcnt lgkmcnt(0)
	;;#ASMSTART
	v_dot2_f32_f16 v8, v12, v16, v8
	;;#ASMEND
	;;#ASMSTART
	v_dot2_f32_f16 v8, v13, v17, v8
	;;#ASMEND
	;;#ASMSTART
	v_dot2_f32_f16 v8, v14, v18, v8
	;;#ASMEND
	;;#ASMSTART
	v_dot2_f32_f16 v8, v15, v19, v8
	;;#ASMEND
	ds_read_b128 v[12:15], v11 offset:32
	;; [unrolled: 15-line block ×15, first 2 shown]
	ds_read_b128 v[16:19], v10 offset:17648
	s_waitcnt lgkmcnt(0)
	;;#ASMSTART
	v_dot2_f32_f16 v8, v12, v16, v8
	;;#ASMEND
	;;#ASMSTART
	v_dot2_f32_f16 v8, v13, v17, v8
	;;#ASMEND
	;;#ASMSTART
	v_dot2_f32_f16 v8, v14, v18, v8
	;;#ASMEND
	;;#ASMSTART
	v_dot2_f32_f16 v8, v15, v19, v8
	;;#ASMEND
	s_barrier
	buffer_store_dword v9, off, s[0:3], 0
	buffer_store_dword v9, off, s[0:3], 0 offset:8
	buffer_store_dword v9, off, s[0:3], 0 offset:4
	;; [unrolled: 1-line block ×3, first 2 shown]
	flat_load_dwordx4 v[12:15], v[20:21]
	v_add_co_u32_e32 v16, vcc, s17, v25
	v_addc_co_u32_e32 v17, vcc, 0, v26, vcc
	v_cndmask_b32_e64 v17, v22, v17, s[6:7]
	v_cndmask_b32_e64 v16, v23, v16, s[6:7]
	buffer_store_dword v9, off, s[0:3], 0
	buffer_store_dword v9, off, s[0:3], 0 offset:8
	buffer_store_dword v9, off, s[0:3], 0 offset:4
	;; [unrolled: 1-line block ×3, first 2 shown]
	s_waitcnt vmcnt(0) lgkmcnt(0)
	ds_write_b128 v24, v[12:15]
	flat_load_dwordx4 v[12:15], v[16:17]
	v_add_co_u32_e32 v16, vcc, s17, v27
	v_addc_co_u32_e32 v17, vcc, 0, v28, vcc
	v_cndmask_b32_e64 v17, v22, v17, s[12:13]
	v_cndmask_b32_e64 v16, v23, v16, s[12:13]
	buffer_store_dword v9, off, s[0:3], 0
	buffer_store_dword v9, off, s[0:3], 0 offset:8
	buffer_store_dword v9, off, s[0:3], 0 offset:4
	;; [unrolled: 1-line block ×3, first 2 shown]
	s_waitcnt vmcnt(0) lgkmcnt(0)
	ds_write_b128 v24, v[12:15] offset:4352
	flat_load_dwordx4 v[12:15], v[16:17]
	v_add_co_u32_e32 v16, vcc, s17, v29
	v_addc_co_u32_e32 v17, vcc, 0, v30, vcc
	v_cndmask_b32_e64 v17, v22, v17, s[10:11]
	v_cndmask_b32_e64 v16, v23, v16, s[10:11]
	buffer_store_dword v9, off, s[0:3], 0
	buffer_store_dword v9, off, s[0:3], 0 offset:8
	buffer_store_dword v9, off, s[0:3], 0 offset:4
	buffer_store_dword v9, off, s[0:3], 0 offset:12
	v_cmp_gt_i32_e32 vcc, s16, v6
	s_waitcnt vmcnt(0) lgkmcnt(0)
	ds_write_b128 v24, v[12:15] offset:8704
	flat_load_dwordx4 v[12:15], v[16:17]
	s_waitcnt vmcnt(0) lgkmcnt(0)
	ds_write_b128 v24, v[12:15] offset:13056
	s_waitcnt lgkmcnt(0)
	s_barrier
	ds_read_b128 v[12:15], v11
	ds_read_b128 v[16:19], v10 offset:17664
	s_waitcnt lgkmcnt(0)
	;;#ASMSTART
	v_dot2_f32_f16 v8, v12, v16, v8
	;;#ASMEND
	;;#ASMSTART
	v_dot2_f32_f16 v8, v13, v17, v8
	;;#ASMEND
	;;#ASMSTART
	v_dot2_f32_f16 v8, v14, v18, v8
	;;#ASMEND
	;;#ASMSTART
	v_dot2_f32_f16 v8, v15, v19, v8
	;;#ASMEND
	ds_read_b128 v[12:15], v11 offset:16
	ds_read_b128 v[16:19], v10 offset:17680
	s_waitcnt lgkmcnt(0)
	;;#ASMSTART
	v_dot2_f32_f16 v8, v12, v16, v8
	;;#ASMEND
	;;#ASMSTART
	v_dot2_f32_f16 v8, v13, v17, v8
	;;#ASMEND
	;;#ASMSTART
	v_dot2_f32_f16 v8, v14, v18, v8
	;;#ASMEND
	;;#ASMSTART
	v_dot2_f32_f16 v8, v15, v19, v8
	;;#ASMEND
	ds_read_b128 v[12:15], v11 offset:32
	;; [unrolled: 15-line block ×15, first 2 shown]
	ds_read_b128 v[16:19], v10 offset:17904
	s_waitcnt lgkmcnt(0)
	;;#ASMSTART
	v_dot2_f32_f16 v8, v12, v16, v8
	;;#ASMEND
	;;#ASMSTART
	v_dot2_f32_f16 v8, v13, v17, v8
	;;#ASMEND
	;; [unrolled: 3-line block ×3, first 2 shown]
	v_mov_b32_e32 v10, v68
	;;#ASMSTART
	v_dot2_f32_f16 v8, v15, v19, v8
	;;#ASMEND
	s_and_saveexec_b64 s[6:7], vcc
	s_cbranch_execz .LBB52_22
; %bb.19:
	s_cmp_eq_u64 s[44:45], 0
	s_cbranch_scc1 .LBB52_21
; %bb.20:
	v_mul_lo_u32 v9, v35, s22
	v_add3_u32 v10, v9, v6, s20
	v_ashrrev_i32_e32 v11, 31, v10
	v_lshlrev_b64 v[10:11], 1, v[10:11]
	v_mov_b32_e32 v9, s45
	v_add_co_u32_e32 v10, vcc, s44, v10
	v_addc_co_u32_e32 v11, vcc, v9, v11, vcc
	flat_load_ushort v9, v[10:11]
	s_waitcnt vmcnt(0) lgkmcnt(0)
	v_cvt_f32_f16_e32 v9, v9
	v_mul_f32_e32 v9, v7, v9
.LBB52_21:
	v_add_f32_e32 v8, v8, v9
	v_add_f32_e32 v7, 0x40051340, v8
	v_max_f32_e32 v9, v68, v68
	v_max_f32_e32 v10, v9, v7
.LBB52_22:
	s_or_b64 exec, exec, s[6:7]
	v_mbcnt_hi_u32_b32 v83, -1, v37
	v_and_b32_e32 v7, 0x60, v83
	v_add_u32_e32 v84, 32, v7
	v_xor_b32_e32 v85, 16, v83
	v_cmp_lt_i32_e32 vcc, v85, v84
	v_cndmask_b32_e32 v7, v83, v85, vcc
	v_lshlrev_b32_e32 v7, 2, v7
	ds_bpermute_b32 v7, v7, v10
	v_xor_b32_e32 v86, 8, v83
	v_max_f32_e32 v9, v10, v10
	v_cmp_lt_i32_e32 vcc, v86, v84
	v_xor_b32_e32 v87, 4, v83
	s_waitcnt lgkmcnt(0)
	v_max_f32_e32 v7, v7, v7
	v_max_f32_e32 v7, v9, v7
	v_cndmask_b32_e32 v9, v83, v86, vcc
	v_lshlrev_b32_e32 v9, 2, v9
	ds_bpermute_b32 v9, v9, v7
	v_cmp_lt_i32_e32 vcc, v87, v84
	v_xor_b32_e32 v88, 2, v83
	v_xor_b32_e32 v89, 1, v83
	s_waitcnt lgkmcnt(0)
	v_max_f32_e32 v9, v9, v9
	v_max_f32_e32 v7, v7, v9
	v_cndmask_b32_e32 v9, v83, v87, vcc
	v_lshlrev_b32_e32 v9, 2, v9
	ds_bpermute_b32 v9, v9, v7
	v_cmp_lt_i32_e32 vcc, v88, v84
	s_waitcnt lgkmcnt(0)
	v_max_f32_e32 v9, v9, v9
	v_max_f32_e32 v7, v7, v9
	v_cndmask_b32_e32 v9, v83, v88, vcc
	v_lshlrev_b32_e32 v9, 2, v9
	ds_bpermute_b32 v9, v9, v7
	v_cmp_lt_i32_e32 vcc, v89, v84
	s_waitcnt lgkmcnt(0)
	v_max_f32_e32 v9, v9, v9
	v_max_f32_e32 v7, v7, v9
	v_cndmask_b32_e32 v9, v83, v89, vcc
	v_lshlrev_b32_e32 v9, 2, v9
	ds_bpermute_b32 v9, v9, v7
	v_cmp_eq_u32_e32 vcc, 0, v76
	s_and_saveexec_b64 s[6:7], vcc
	s_cbranch_execz .LBB52_24
; %bb.23:
	s_waitcnt lgkmcnt(0)
	v_max_f32_e32 v9, v9, v9
	v_max_f32_e32 v7, v7, v7
	;; [unrolled: 1-line block ×3, first 2 shown]
	v_lshlrev_b32_e32 v9, 2, v79
	ds_write_b32 v9, v7 offset:20000
.LBB52_24:
	s_or_b64 exec, exec, s[6:7]
	s_movk_i32 s6, 0x3fe
	v_and_or_b32 v7, v79, s6, v36
	v_lshlrev_b32_e32 v7, 2, v7
	s_waitcnt lgkmcnt(0)
	s_barrier
	ds_read_b32 v7, v7 offset:20000
	v_and_b32_e32 v9, 0x7e, v83
	v_add_u32_e32 v9, 2, v9
	v_cmp_lt_i32_e32 vcc, v89, v9
	v_cndmask_b32_e32 v9, v83, v89, vcc
	v_lshlrev_b32_e32 v9, 2, v9
	s_waitcnt lgkmcnt(0)
	ds_bpermute_b32 v9, v9, v7
	v_max_f32_e32 v7, v7, v7
	s_mov_b32 s6, 0x3fb8aa3b
	s_mov_b32 s10, 0xc2ce8ed0
	;; [unrolled: 1-line block ×3, first 2 shown]
	s_waitcnt lgkmcnt(0)
	v_max_f32_e32 v9, v9, v9
	v_max_f32_e32 v90, v7, v9
	v_sub_f32_e32 v7, v8, v90
	v_mul_f32_e32 v8, 0x3fb8aa3b, v7
	v_fma_f32 v9, v7, s6, -v8
	v_rndne_f32_e32 v10, v8
	v_fmac_f32_e32 v9, 0x32a5705f, v7
	v_sub_f32_e32 v8, v8, v10
	v_add_f32_e32 v8, v8, v9
	v_exp_f32_e32 v8, v8
	v_cvt_i32_f32_e32 v9, v10
	v_cmp_ngt_f32_e32 vcc, s10, v7
	v_mov_b32_e32 v98, 0x7f800000
	s_mul_hi_i32 s15, s20, s8
	v_ldexp_f32 v8, v8, v9
	v_cndmask_b32_e32 v8, 0, v8, vcc
	v_cmp_nlt_f32_e32 vcc, s7, v7
	v_cndmask_b32_e32 v7, v98, v8, vcc
	v_cmp_gt_u32_e32 vcc, s16, v6
	v_cndmask_b32_e32 v91, 0, v7, vcc
	v_cvt_f16_f32_e32 v7, v91
	v_and_b32_e32 v8, 0x7fc0, v34
	v_mov_b32_e32 v9, 0x4c00
	s_mul_i32 s14, s20, s8
	v_lshl_add_u32 v14, v8, 1, v9
	s_mov_b64 s[12:13], src_private_base
	s_lshl_b32 s11, s8, 3
	s_lshl_b64 s[14:15], s[14:15], 2
	v_lshl_add_u32 v6, v6, 1, v14
	s_add_u32 s12, s18, s14
	ds_write_b16 v6, v7
	s_addc_u32 s14, s19, s15
	v_lshlrev_b64 v[6:7], 2, v[4:5]
	v_mov_b32_e32 v5, s14
	v_add_co_u32_e32 v8, vcc, s12, v6
	v_addc_co_u32_e32 v5, vcc, v5, v7, vcc
	v_add_co_u32_e32 v8, vcc, v8, v80
	v_addc_co_u32_e32 v5, vcc, 0, v5, vcc
	v_mov_b32_e32 v99, 0
	v_mov_b32_e32 v100, s13
	v_cmp_gt_i32_e32 vcc, s16, v79
	v_mov_b32_e32 v101, 0
	buffer_store_dword v99, off, s[0:3], 0
	buffer_store_dword v99, off, s[0:3], 0 offset:8
	buffer_store_dword v99, off, s[0:3], 0 offset:4
	buffer_store_dword v99, off, s[0:3], 0 offset:12
	v_cndmask_b32_e32 v9, v100, v5, vcc
	v_cndmask_b32_e32 v8, v101, v8, vcc
	flat_load_dwordx4 v[8:11], v[8:9]
	v_add_u32_e32 v4, s11, v4
	v_ashrrev_i32_e32 v5, 31, v4
	v_lshlrev_b64 v[70:71], 2, v[4:5]
	v_mov_b32_e32 v5, s14
	v_add_co_u32_e32 v12, vcc, s12, v70
	v_addc_co_u32_e32 v5, vcc, v5, v71, vcc
	v_add_co_u32_e32 v12, vcc, v12, v80
	v_add_u32_e32 v103, 8, v79
	v_addc_co_u32_e32 v5, vcc, 0, v5, vcc
	v_lshl_add_u32 v102, v79, 9, v80
	v_cmp_gt_i32_e32 vcc, s16, v103
	v_cndmask_b32_e32 v13, v100, v5, vcc
	v_cndmask_b32_e32 v12, v101, v12, vcc
	buffer_store_dword v99, off, s[0:3], 0
	buffer_store_dword v99, off, s[0:3], 0 offset:8
	buffer_store_dword v99, off, s[0:3], 0 offset:4
	;; [unrolled: 1-line block ×3, first 2 shown]
	v_add_u32_e32 v4, s11, v4
	v_ashrrev_i32_e32 v5, 31, v4
	v_lshlrev_b64 v[72:73], 2, v[4:5]
	v_mov_b32_e32 v5, s14
	v_add_u32_e32 v104, 16, v79
	v_lshl_add_u32 v105, v103, 9, v80
	v_add_u32_e32 v4, s11, v4
	v_add_u32_e32 v106, 24, v79
	v_lshl_add_u32 v107, v104, 9, v80
	s_or_b32 s11, s20, 32
	s_mul_hi_i32 s13, s11, s8
	v_lshl_add_u32 v108, v106, 9, v80
	v_lshl_or_b32 v93, v69, 1, v14
	v_sub_f32_e32 v68, v68, v90
	s_waitcnt vmcnt(0) lgkmcnt(0)
	ds_write_b128 v102, v[8:11]
	flat_load_dwordx4 v[8:11], v[12:13]
	v_add_co_u32_e32 v12, vcc, s12, v72
	v_addc_co_u32_e32 v5, vcc, v5, v73, vcc
	v_add_co_u32_e32 v12, vcc, v12, v80
	v_addc_co_u32_e32 v5, vcc, 0, v5, vcc
	v_cmp_gt_i32_e32 vcc, s16, v104
	v_cndmask_b32_e32 v13, v100, v5, vcc
	v_cndmask_b32_e32 v12, v101, v12, vcc
	buffer_store_dword v99, off, s[0:3], 0
	buffer_store_dword v99, off, s[0:3], 0 offset:8
	buffer_store_dword v99, off, s[0:3], 0 offset:4
	;; [unrolled: 1-line block ×3, first 2 shown]
	v_ashrrev_i32_e32 v5, 31, v4
	v_lshlrev_b64 v[74:75], 2, v[4:5]
	v_add_co_u32_e32 v4, vcc, s12, v74
	s_mul_i32 s12, s11, s8
	s_lshl_b64 s[12:13], s[12:13], 2
	s_add_u32 s8, s18, s12
	s_addc_u32 s11, s19, s13
	s_sub_i32 s12, s16, 32
	v_mov_b32_e32 v132, s11
	s_waitcnt vmcnt(0) lgkmcnt(0)
	ds_write_b128 v105, v[8:11]
	flat_load_dwordx4 v[8:11], v[12:13]
	v_mov_b32_e32 v12, s14
	v_addc_co_u32_e32 v5, vcc, v12, v75, vcc
	v_add_co_u32_e32 v4, vcc, v4, v80
	v_addc_co_u32_e32 v5, vcc, 0, v5, vcc
	v_cmp_gt_i32_e32 vcc, s16, v106
	v_cndmask_b32_e32 v5, v100, v5, vcc
	v_cndmask_b32_e32 v4, v101, v4, vcc
	buffer_store_dword v99, off, s[0:3], 0
	buffer_store_dword v99, off, s[0:3], 0 offset:8
	buffer_store_dword v99, off, s[0:3], 0 offset:4
	buffer_store_dword v99, off, s[0:3], 0 offset:12
	s_waitcnt vmcnt(0) lgkmcnt(0)
	ds_write_b128 v107, v[8:11]
	flat_load_dwordx4 v[8:11], v[4:5]
	v_lshlrev_b32_e32 v4, 9, v69
	v_lshl_add_u32 v92, v76, 3, v4
	v_mov_b32_e32 v4, s11
	v_add_co_u32_e32 v5, vcc, s8, v6
	v_addc_co_u32_e32 v4, vcc, v4, v7, vcc
	v_add_co_u32_e32 v5, vcc, v5, v80
	v_addc_co_u32_e32 v4, vcc, 0, v4, vcc
	v_cmp_gt_i32_e32 vcc, s12, v79
	v_add_u32_e32 v109, 0x800, v92
	v_add_u32_e32 v110, 0x1000, v92
	;; [unrolled: 1-line block ×7, first 2 shown]
	v_cndmask_b32_e32 v95, v100, v4, vcc
	v_cndmask_b32_e32 v94, v101, v5, vcc
	v_add_co_u32_e32 v70, vcc, s8, v70
	v_addc_co_u32_e32 v71, vcc, v132, v71, vcc
	v_add_co_u32_e32 v70, vcc, v70, v80
	v_addc_co_u32_e32 v71, vcc, 0, v71, vcc
	v_cmp_gt_i32_e32 vcc, s12, v103
	v_cndmask_b32_e32 v71, v100, v71, vcc
	v_cndmask_b32_e32 v70, v101, v70, vcc
	s_waitcnt vmcnt(0) lgkmcnt(0)
	ds_write_b128 v108, v[8:11]
	s_waitcnt lgkmcnt(0)
	s_barrier
	ds_read2_b64 v[48:51], v92 offset1:32
	ds_read_u16 v116, v93
	ds_read_u16 v117, v93 offset:4
	ds_read_u16 v118, v93 offset:8
	;; [unrolled: 1-line block ×15, first 2 shown]
	ds_read2_b64 v[64:67], v92 offset0:128 offset1:160
	ds_read2_b64 v[60:63], v109 offset1:32
	ds_read2_b64 v[56:59], v109 offset0:128 offset1:160
	ds_read2_b64 v[52:55], v110 offset1:32
	;; [unrolled: 2-line block ×7, first 2 shown]
	ds_read2_b64 v[4:7], v115 offset0:128 offset1:160
	s_waitcnt lgkmcnt(0)
	s_barrier
	buffer_store_dword v99, off, s[0:3], 0
	buffer_store_dword v99, off, s[0:3], 0 offset:8
	buffer_store_dword v99, off, s[0:3], 0 offset:4
	;; [unrolled: 1-line block ×3, first 2 shown]
	flat_load_dwordx4 v[94:97], v[94:95]
	s_nop 0
	buffer_store_dword v99, off, s[0:3], 0
	buffer_store_dword v99, off, s[0:3], 0 offset:8
	buffer_store_dword v99, off, s[0:3], 0 offset:4
	;; [unrolled: 1-line block ×3, first 2 shown]
	v_pk_mul_f16 v48, v48, v116 op_sel_hi:[1,0]
	v_pk_mul_f16 v49, v49, v116 op_sel_hi:[1,0]
	s_waitcnt vmcnt(0) lgkmcnt(0)
	ds_write_b128 v102, v[94:97]
	flat_load_dwordx4 v[94:97], v[70:71]
	v_mov_b32_e32 v70, s11
	v_add_co_u32_e32 v71, vcc, s8, v72
	v_addc_co_u32_e32 v70, vcc, v70, v73, vcc
	v_add_co_u32_e32 v72, vcc, v71, v80
	v_addc_co_u32_e32 v70, vcc, 0, v70, vcc
	v_cmp_gt_i32_e32 vcc, s12, v104
	v_cndmask_b32_e32 v71, v100, v70, vcc
	v_cndmask_b32_e32 v70, v101, v72, vcc
	buffer_store_dword v99, off, s[0:3], 0
	buffer_store_dword v99, off, s[0:3], 0 offset:8
	buffer_store_dword v99, off, s[0:3], 0 offset:4
	;; [unrolled: 1-line block ×3, first 2 shown]
	v_add_co_u32_e32 v74, vcc, s8, v74
	s_waitcnt vmcnt(0) lgkmcnt(0)
	ds_write_b128 v105, v[94:97]
	flat_load_dwordx4 v[70:73], v[70:71]
	v_mov_b32_e32 v94, s11
	v_addc_co_u32_e32 v75, vcc, v94, v75, vcc
	v_add_co_u32_e32 v74, vcc, v74, v80
	v_addc_co_u32_e32 v75, vcc, 0, v75, vcc
	v_cmp_gt_i32_e32 vcc, s12, v106
	v_cndmask_b32_e32 v75, v100, v75, vcc
	v_cndmask_b32_e32 v74, v101, v74, vcc
	buffer_store_dword v99, off, s[0:3], 0
	buffer_store_dword v99, off, s[0:3], 0 offset:8
	buffer_store_dword v99, off, s[0:3], 0 offset:4
	buffer_store_dword v99, off, s[0:3], 0 offset:12
	v_mul_f32_e32 v94, 0x3fb8aa3b, v68
	v_fma_f32 v95, v68, s6, -v94
	v_rndne_f32_e32 v96, v94
	v_fmac_f32_e32 v95, 0x32a5705f, v68
	v_sub_f32_e32 v94, v94, v96
	v_add_f32_e32 v94, v94, v95
	v_cvt_i32_f32_e32 v96, v96
	v_exp_f32_e32 v94, v94
	v_cmp_ngt_f32_e32 vcc, s10, v68
	s_waitcnt vmcnt(0) lgkmcnt(0)
	ds_write_b128 v107, v[70:73]
	flat_load_dwordx4 v[70:73], v[74:75]
	v_ldexp_f32 v74, v94, v96
	v_cndmask_b32_e32 v74, 0, v74, vcc
	v_cmp_nlt_f32_e32 vcc, s7, v68
	v_cndmask_b32_e32 v74, v98, v74, vcc
	v_cvt_f16_f32_e32 v75, v74
	v_mov_b32_e32 v68, v90
	v_fma_f32 v81, v81, v74, v91
	v_pk_mul_f16 v2, v2, v75 op_sel_hi:[1,0]
	v_pk_mul_f16 v3, v75, v3 op_sel_hi:[0,1]
	v_pk_fma_f16 v2, v50, v116, v2 op_sel_hi:[1,0,1]
	v_pk_fma_f16 v3, v51, v116, v3 op_sel_hi:[1,0,1]
	v_pk_fma_f16 v0, v75, v0, v48 op_sel_hi:[0,1,1]
	v_pk_fma_f16 v1, v1, v75, v49 op_sel_hi:[1,0,1]
	v_pk_fma_f16 v2, v66, v117, v2 op_sel_hi:[1,0,1]
	v_pk_fma_f16 v3, v67, v117, v3 op_sel_hi:[1,0,1]
	v_pk_fma_f16 v0, v64, v117, v0 op_sel_hi:[1,0,1]
	v_pk_fma_f16 v1, v65, v117, v1 op_sel_hi:[1,0,1]
	v_pk_fma_f16 v2, v62, v118, v2 op_sel_hi:[1,0,1]
	v_pk_fma_f16 v3, v63, v118, v3 op_sel_hi:[1,0,1]
	v_pk_fma_f16 v0, v60, v118, v0 op_sel_hi:[1,0,1]
	v_pk_fma_f16 v1, v61, v118, v1 op_sel_hi:[1,0,1]
	v_pk_fma_f16 v2, v58, v119, v2 op_sel_hi:[1,0,1]
	v_pk_fma_f16 v3, v59, v119, v3 op_sel_hi:[1,0,1]
	v_pk_fma_f16 v0, v56, v119, v0 op_sel_hi:[1,0,1]
	v_pk_fma_f16 v1, v57, v119, v1 op_sel_hi:[1,0,1]
	v_pk_fma_f16 v2, v54, v120, v2 op_sel_hi:[1,0,1]
	v_pk_fma_f16 v3, v55, v120, v3 op_sel_hi:[1,0,1]
	v_pk_fma_f16 v0, v52, v120, v0 op_sel_hi:[1,0,1]
	v_pk_fma_f16 v1, v53, v120, v1 op_sel_hi:[1,0,1]
	v_pk_fma_f16 v2, v46, v121, v2 op_sel_hi:[1,0,1]
	v_pk_fma_f16 v3, v47, v121, v3 op_sel_hi:[1,0,1]
	v_pk_fma_f16 v0, v44, v121, v0 op_sel_hi:[1,0,1]
	v_pk_fma_f16 v1, v45, v121, v1 op_sel_hi:[1,0,1]
	v_pk_fma_f16 v2, v42, v122, v2 op_sel_hi:[1,0,1]
	v_pk_fma_f16 v3, v43, v122, v3 op_sel_hi:[1,0,1]
	v_pk_fma_f16 v0, v40, v122, v0 op_sel_hi:[1,0,1]
	v_pk_fma_f16 v1, v41, v122, v1 op_sel_hi:[1,0,1]
	v_pk_fma_f16 v2, v38, v123, v2 op_sel_hi:[1,0,1]
	v_pk_fma_f16 v3, v39, v123, v3 op_sel_hi:[1,0,1]
	v_pk_fma_f16 v0, v36, v123, v0 op_sel_hi:[1,0,1]
	v_pk_fma_f16 v1, v37, v123, v1 op_sel_hi:[1,0,1]
	v_pk_fma_f16 v2, v34, v124, v2 op_sel_hi:[1,0,1]
	v_pk_fma_f16 v3, v35, v124, v3 op_sel_hi:[1,0,1]
	v_pk_fma_f16 v0, v32, v124, v0 op_sel_hi:[1,0,1]
	v_pk_fma_f16 v1, v33, v124, v1 op_sel_hi:[1,0,1]
	v_pk_fma_f16 v2, v30, v125, v2 op_sel_hi:[1,0,1]
	v_pk_fma_f16 v3, v31, v125, v3 op_sel_hi:[1,0,1]
	v_pk_fma_f16 v0, v28, v125, v0 op_sel_hi:[1,0,1]
	v_pk_fma_f16 v1, v29, v125, v1 op_sel_hi:[1,0,1]
	v_pk_fma_f16 v2, v26, v126, v2 op_sel_hi:[1,0,1]
	v_pk_fma_f16 v3, v27, v126, v3 op_sel_hi:[1,0,1]
	v_pk_fma_f16 v0, v24, v126, v0 op_sel_hi:[1,0,1]
	v_pk_fma_f16 v1, v25, v126, v1 op_sel_hi:[1,0,1]
	v_pk_fma_f16 v2, v22, v127, v2 op_sel_hi:[1,0,1]
	v_pk_fma_f16 v3, v23, v127, v3 op_sel_hi:[1,0,1]
	v_pk_fma_f16 v0, v20, v127, v0 op_sel_hi:[1,0,1]
	v_pk_fma_f16 v1, v21, v127, v1 op_sel_hi:[1,0,1]
	v_pk_fma_f16 v2, v18, v128, v2 op_sel_hi:[1,0,1]
	v_pk_fma_f16 v3, v19, v128, v3 op_sel_hi:[1,0,1]
	v_pk_fma_f16 v0, v16, v128, v0 op_sel_hi:[1,0,1]
	v_pk_fma_f16 v1, v17, v128, v1 op_sel_hi:[1,0,1]
	v_pk_fma_f16 v2, v14, v129, v2 op_sel_hi:[1,0,1]
	v_pk_fma_f16 v3, v15, v129, v3 op_sel_hi:[1,0,1]
	v_pk_fma_f16 v0, v12, v129, v0 op_sel_hi:[1,0,1]
	v_pk_fma_f16 v1, v13, v129, v1 op_sel_hi:[1,0,1]
	v_pk_fma_f16 v2, v10, v130, v2 op_sel_hi:[1,0,1]
	v_pk_fma_f16 v3, v11, v130, v3 op_sel_hi:[1,0,1]
	v_pk_fma_f16 v0, v8, v130, v0 op_sel_hi:[1,0,1]
	v_pk_fma_f16 v1, v9, v130, v1 op_sel_hi:[1,0,1]
	v_pk_fma_f16 v64, v6, v131, v2 op_sel_hi:[1,0,1]
	v_pk_fma_f16 v65, v7, v131, v3 op_sel_hi:[1,0,1]
	v_pk_fma_f16 v66, v4, v131, v0 op_sel_hi:[1,0,1]
	v_pk_fma_f16 v67, v5, v131, v1 op_sel_hi:[1,0,1]
	s_waitcnt vmcnt(0) lgkmcnt(0)
	ds_write_b128 v108, v[70:73]
	s_waitcnt lgkmcnt(0)
	s_barrier
	ds_read2_b64 v[0:3], v92 offset1:32
	ds_read_u16 v70, v93 offset:64
	ds_read_u16 v71, v93 offset:68
	;; [unrolled: 1-line block ×16, first 2 shown]
	ds_read2_b64 v[4:7], v92 offset0:128 offset1:160
	ds_read2_b64 v[8:11], v109 offset1:32
	ds_read2_b64 v[12:15], v109 offset0:128 offset1:160
	ds_read2_b64 v[16:19], v110 offset1:32
	;; [unrolled: 2-line block ×7, first 2 shown]
	ds_read2_b64 v[60:63], v115 offset0:128 offset1:160
	s_waitcnt lgkmcnt(14)
	v_pk_fma_f16 v0, v0, v70, v66 op_sel_hi:[1,0,1]
	v_pk_fma_f16 v1, v1, v70, v67 op_sel_hi:[1,0,1]
	;; [unrolled: 1-line block ×8, first 2 shown]
	s_waitcnt lgkmcnt(13)
	v_pk_fma_f16 v0, v8, v72, v0 op_sel_hi:[1,0,1]
	v_pk_fma_f16 v1, v9, v72, v1 op_sel_hi:[1,0,1]
	v_pk_fma_f16 v2, v10, v72, v2 op_sel_hi:[1,0,1]
	v_pk_fma_f16 v3, v11, v72, v3 op_sel_hi:[1,0,1]
	s_waitcnt lgkmcnt(12)
	v_pk_fma_f16 v0, v12, v73, v0 op_sel_hi:[1,0,1]
	v_pk_fma_f16 v1, v13, v73, v1 op_sel_hi:[1,0,1]
	v_pk_fma_f16 v2, v14, v73, v2 op_sel_hi:[1,0,1]
	v_pk_fma_f16 v3, v15, v73, v3 op_sel_hi:[1,0,1]
	;; [unrolled: 5-line block ×14, first 2 shown]
	v_mov_b32_e32 v8, v69
	s_barrier
.LBB52_25:
	v_cmp_lt_i32_e32 vcc, v85, v84
	v_cndmask_b32_e32 v4, v83, v85, vcc
	v_lshlrev_b32_e32 v4, 2, v4
	ds_bpermute_b32 v4, v4, v81
	v_cmp_lt_i32_e32 vcc, v86, v84
	v_cndmask_b32_e32 v5, v83, v86, vcc
	v_lshlrev_b32_e32 v5, 2, v5
	v_cmp_lt_i32_e32 vcc, v87, v84
	s_waitcnt lgkmcnt(0)
	v_add_f32_e32 v4, v81, v4
	ds_bpermute_b32 v5, v5, v4
	v_cndmask_b32_e32 v6, v83, v87, vcc
	v_lshlrev_b32_e32 v6, 2, v6
	v_cmp_lt_i32_e32 vcc, v88, v84
	v_cmp_ne_u32_e64 s[6:7], 0, v8
	s_waitcnt lgkmcnt(0)
	v_add_f32_e32 v4, v4, v5
	ds_bpermute_b32 v5, v6, v4
	v_cndmask_b32_e32 v6, v83, v88, vcc
	v_lshlrev_b32_e32 v6, 2, v6
	v_cmp_lt_i32_e32 vcc, v89, v84
	s_waitcnt lgkmcnt(0)
	v_add_f32_e32 v4, v4, v5
	ds_bpermute_b32 v5, v6, v4
	v_cndmask_b32_e32 v6, v83, v89, vcc
	v_lshlrev_b32_e32 v6, 2, v6
	v_cmp_eq_u32_e32 vcc, 0, v8
	s_waitcnt lgkmcnt(0)
	v_add_f32_e32 v4, v4, v5
	ds_bpermute_b32 v5, v6, v4
	s_waitcnt lgkmcnt(0)
	v_add_f32_e32 v69, v4, v5
	s_and_saveexec_b64 s[10:11], s[6:7]
	s_xor_b64 s[10:11], exec, s[10:11]
	s_cbranch_execnz .LBB52_29
; %bb.26:
	s_andn2_saveexec_b64 s[6:7], s[10:11]
	s_cbranch_execnz .LBB52_32
.LBB52_27:
	s_or_b64 exec, exec, s[6:7]
	s_and_saveexec_b64 s[6:7], vcc
	s_cbranch_execnz .LBB52_33
.LBB52_28:
	s_endpgm
.LBB52_29:
	v_lshl_add_u32 v4, v82, 2, v80
	v_cmp_eq_u32_e64 s[6:7], 0, v76
	ds_write_b128 v4, v[0:3]
	s_and_saveexec_b64 s[12:13], s[6:7]
	s_cbranch_execz .LBB52_31
; %bb.30:
	v_lshlrev_b32_e32 v4, 2, v79
	ds_write_b32 v4, v69 offset:17408
.LBB52_31:
	s_or_b64 exec, exec, s[12:13]
                                        ; implicit-def: $vgpr82
                                        ; implicit-def: $vgpr80
                                        ; implicit-def: $vgpr79
	s_andn2_saveexec_b64 s[6:7], s[10:11]
	s_cbranch_execz .LBB52_27
.LBB52_32:
	v_lshl_add_u32 v4, v82, 2, v80
	v_lshlrev_b32_e32 v8, 2, v79
	s_waitcnt lgkmcnt(0)
	s_barrier
	ds_read_b128 v[4:7], v4 offset:512
	ds_read_b32 v8, v8 offset:17412
	s_waitcnt lgkmcnt(1)
	v_pk_add_f16 v0, v4, v0
	v_pk_add_f16 v1, v5, v1
	;; [unrolled: 1-line block ×4, first 2 shown]
	s_waitcnt lgkmcnt(0)
	v_add_f32_e32 v69, v69, v8
	s_or_b64 exec, exec, s[6:7]
	s_and_saveexec_b64 s[6:7], vcc
	s_cbranch_execz .LBB52_28
.LBB52_33:
	s_cmp_eq_u64 s[24:25], 0
	s_cselect_b64 s[6:7], -1, 0
	s_cmp_lg_u32 s9, 0
	s_cselect_b64 s[10:11], -1, 0
	s_or_b64 s[6:7], s[10:11], s[6:7]
	s_and_b64 vcc, exec, s[6:7]
	s_cbranch_vccnz .LBB52_35
; %bb.34:
	s_lshl_b64 s[6:7], s[34:35], 2
	s_add_u32 s6, s24, s6
	s_addc_u32 s7, s25, s7
	v_mov_b32_e32 v4, 0
	global_load_dword v5, v4, s[6:7]
	v_max_f32_e32 v4, v68, v68
	s_mov_b32 s6, 0x3fb8aa3b
	s_mov_b32 s7, 0xc2ce8ed0
	s_waitcnt vmcnt(0)
	v_max_f32_e32 v6, v5, v5
	v_max_f32_e32 v4, v4, v6
	v_sub_f32_e32 v6, v68, v4
	v_sub_f32_e32 v5, v5, v4
	v_mul_f32_e32 v7, 0x3fb8aa3b, v6
	v_mul_f32_e32 v8, 0x3fb8aa3b, v5
	v_fma_f32 v9, v6, s6, -v7
	v_rndne_f32_e32 v10, v7
	v_fma_f32 v11, v5, s6, -v8
	v_rndne_f32_e32 v12, v8
	v_fmac_f32_e32 v9, 0x32a5705f, v6
	v_sub_f32_e32 v7, v7, v10
	v_fmac_f32_e32 v11, 0x32a5705f, v5
	v_sub_f32_e32 v8, v8, v12
	v_add_f32_e32 v7, v7, v9
	v_cvt_i32_f32_e32 v10, v10
	v_add_f32_e32 v8, v8, v11
	v_exp_f32_e32 v7, v7
	v_cvt_i32_f32_e32 v12, v12
	v_exp_f32_e32 v8, v8
	v_cmp_ngt_f32_e32 vcc, s7, v6
	v_ldexp_f32 v7, v7, v10
	s_mov_b32 s6, 0x42b17218
	v_ldexp_f32 v8, v8, v12
	v_cndmask_b32_e32 v7, 0, v7, vcc
	v_cmp_ngt_f32_e32 vcc, s7, v5
	v_mov_b32_e32 v9, 0x7f800000
	v_cndmask_b32_e32 v8, 0, v8, vcc
	v_cmp_nlt_f32_e32 vcc, s6, v6
	v_cndmask_b32_e32 v6, v9, v7, vcc
	v_cvt_f16_f32_e32 v7, v6
	v_cmp_nlt_f32_e32 vcc, s6, v5
	v_cndmask_b32_e32 v5, v9, v8, vcc
	v_fmac_f32_e32 v5, v69, v6
	v_pk_mul_f16 v0, v7, v0 op_sel_hi:[0,1]
	v_pk_mul_f16 v1, v7, v1 op_sel_hi:[0,1]
	;; [unrolled: 1-line block ×4, first 2 shown]
	v_pk_mov_b32 v[68:69], v[4:5], v[4:5] op_sel:[0,1]
	v_cmp_gt_i32_e32 vcc, s38, v77
	s_and_b64 exec, exec, vcc
	s_cbranch_execz .LBB52_28
	s_branch .LBB52_36
.LBB52_35:
	v_mov_b32_e32 v5, v69
	v_cmp_gt_i32_e32 vcc, s38, v77
	s_and_b64 exec, exec, vcc
	s_cbranch_execz .LBB52_28
.LBB52_36:
	s_load_dword s6, s[4:5], 0xd4
	v_div_scale_f32 v4, s[4:5], v5, v5, 1.0
	v_rcp_f32_e32 v6, v4
	s_mul_i32 s33, s33, s38
	s_waitcnt lgkmcnt(0)
	s_cmp_lg_u32 s6, 1
	s_cselect_b64 s[4:5], -1, 0
	v_fma_f32 v7, -v4, v6, 1.0
	v_fmac_f32_e32 v6, v7, v6
	v_div_scale_f32 v7, vcc, 1.0, v5, 1.0
	v_mul_f32_e32 v8, v7, v6
	v_fma_f32 v9, -v4, v8, v7
	v_fmac_f32_e32 v8, v9, v6
	v_fma_f32 v4, -v4, v8, v7
	v_div_fmas_f32 v4, v4, v6, v8
	v_div_fixup_f32 v4, v4, v5, 1.0
	v_cndmask_b32_e64 v10, v4, 1.0, s[4:5]
	v_add_u32_e32 v4, s33, v77
	v_mul_lo_u32 v4, v4, s39
	v_add_u32_e32 v4, s34, v4
	v_mul_lo_u32 v4, s6, v4
	v_add_u32_e32 v4, s9, v4
	v_cvt_f32_f16_sdwa v9, v0 dst_sel:DWORD dst_unused:UNUSED_PAD src0_sel:WORD_1
	v_cvt_f32_f16_e32 v8, v0
	v_cvt_f32_f16_sdwa v15, v1 dst_sel:DWORD dst_unused:UNUSED_PAD src0_sel:WORD_1
	v_cvt_f32_f16_e32 v14, v1
	v_lshl_add_u32 v12, v4, 8, v78
	v_mov_b32_e32 v13, 0
	v_lshlrev_b64 v[6:7], 2, v[12:13]
	v_mov_b32_e32 v5, s29
	v_add_co_u32_e32 v0, vcc, s28, v6
	v_addc_co_u32_e32 v1, vcc, v5, v7, vcc
	v_pk_mul_f32 v[6:7], v[10:11], v[8:9] op_sel_hi:[0,1]
	v_pk_mul_f32 v[8:9], v[10:11], v[14:15] op_sel_hi:[0,1]
	v_add_u32_e32 v12, 0x80, v12
	global_store_dwordx4 v[0:1], v[6:9], off
	v_lshlrev_b64 v[0:1], 2, v[12:13]
	v_cvt_f32_f16_sdwa v7, v2 dst_sel:DWORD dst_unused:UNUSED_PAD src0_sel:WORD_1
	v_cvt_f32_f16_e32 v6, v2
	v_cvt_f32_f16_sdwa v9, v3 dst_sel:DWORD dst_unused:UNUSED_PAD src0_sel:WORD_1
	v_cvt_f32_f16_e32 v8, v3
	v_add_co_u32_e32 v12, vcc, s28, v0
	v_addc_co_u32_e32 v13, vcc, v5, v1, vcc
	v_cmp_eq_u32_e32 vcc, 0, v76
	v_pk_mul_f32 v[0:1], v[10:11], v[6:7] op_sel_hi:[0,1]
	v_pk_mul_f32 v[2:3], v[10:11], v[8:9] op_sel_hi:[0,1]
	s_and_b64 s[4:5], vcc, s[4:5]
	global_store_dwordx4 v[12:13], v[0:3], off
	s_and_b64 exec, exec, s[4:5]
	s_cbranch_execz .LBB52_28
; %bb.37:
	v_ashrrev_i32_e32 v5, 31, v4
	v_lshlrev_b64 v[0:1], 3, v[4:5]
	v_mov_b32_e32 v2, s31
	v_add_co_u32_e32 v0, vcc, s30, v0
	v_addc_co_u32_e32 v1, vcc, v2, v1, vcc
	global_store_dwordx2 v[0:1], v[68:69], off
	s_endpgm
	.section	.rodata,"a",@progbits
	.p2align	6, 0x0
	.amdhsa_kernel _ZL15flash_attn_tileILi256ELi256ELi4ELi1ELb0EEvPKcS1_S1_S1_S1_PKiPfP15HIP_vector_typeIfLj2EEffffjfiS5_IjLj3EEiiiiiiiiiiiliiliiiiil
		.amdhsa_group_segment_fixed_size 20032
		.amdhsa_private_segment_fixed_size 32
		.amdhsa_kernarg_size 464
		.amdhsa_user_sgpr_count 8
		.amdhsa_user_sgpr_private_segment_buffer 1
		.amdhsa_user_sgpr_dispatch_ptr 0
		.amdhsa_user_sgpr_queue_ptr 0
		.amdhsa_user_sgpr_kernarg_segment_ptr 1
		.amdhsa_user_sgpr_dispatch_id 0
		.amdhsa_user_sgpr_flat_scratch_init 1
		.amdhsa_user_sgpr_kernarg_preload_length 0
		.amdhsa_user_sgpr_kernarg_preload_offset 0
		.amdhsa_user_sgpr_private_segment_size 0
		.amdhsa_uses_dynamic_stack 0
		.amdhsa_system_sgpr_private_segment_wavefront_offset 1
		.amdhsa_system_sgpr_workgroup_id_x 1
		.amdhsa_system_sgpr_workgroup_id_y 1
		.amdhsa_system_sgpr_workgroup_id_z 1
		.amdhsa_system_sgpr_workgroup_info 0
		.amdhsa_system_vgpr_workitem_id 1
		.amdhsa_next_free_vgpr 133
		.amdhsa_next_free_sgpr 56
		.amdhsa_accum_offset 136
		.amdhsa_reserve_vcc 1
		.amdhsa_reserve_flat_scratch 1
		.amdhsa_float_round_mode_32 0
		.amdhsa_float_round_mode_16_64 0
		.amdhsa_float_denorm_mode_32 3
		.amdhsa_float_denorm_mode_16_64 3
		.amdhsa_dx10_clamp 1
		.amdhsa_ieee_mode 1
		.amdhsa_fp16_overflow 0
		.amdhsa_tg_split 0
		.amdhsa_exception_fp_ieee_invalid_op 0
		.amdhsa_exception_fp_denorm_src 0
		.amdhsa_exception_fp_ieee_div_zero 0
		.amdhsa_exception_fp_ieee_overflow 0
		.amdhsa_exception_fp_ieee_underflow 0
		.amdhsa_exception_fp_ieee_inexact 0
		.amdhsa_exception_int_div_zero 0
	.end_amdhsa_kernel
	.section	.text._ZL15flash_attn_tileILi256ELi256ELi4ELi1ELb0EEvPKcS1_S1_S1_S1_PKiPfP15HIP_vector_typeIfLj2EEffffjfiS5_IjLj3EEiiiiiiiiiiiliiliiiiil,"axG",@progbits,_ZL15flash_attn_tileILi256ELi256ELi4ELi1ELb0EEvPKcS1_S1_S1_S1_PKiPfP15HIP_vector_typeIfLj2EEffffjfiS5_IjLj3EEiiiiiiiiiiiliiliiiiil,comdat
.Lfunc_end52:
	.size	_ZL15flash_attn_tileILi256ELi256ELi4ELi1ELb0EEvPKcS1_S1_S1_S1_PKiPfP15HIP_vector_typeIfLj2EEffffjfiS5_IjLj3EEiiiiiiiiiiiliiliiiiil, .Lfunc_end52-_ZL15flash_attn_tileILi256ELi256ELi4ELi1ELb0EEvPKcS1_S1_S1_S1_PKiPfP15HIP_vector_typeIfLj2EEffffjfiS5_IjLj3EEiiiiiiiiiiiliiliiiiil
                                        ; -- End function
	.section	.AMDGPU.csdata,"",@progbits
; Kernel info:
; codeLenInByte = 14380
; NumSgprs: 62
; NumVgprs: 133
; NumAgprs: 0
; TotalNumVgprs: 133
; ScratchSize: 32
; MemoryBound: 0
; FloatMode: 240
; IeeeMode: 1
; LDSByteSize: 20032 bytes/workgroup (compile time only)
; SGPRBlocks: 7
; VGPRBlocks: 16
; NumSGPRsForWavesPerEU: 62
; NumVGPRsForWavesPerEU: 133
; AccumOffset: 136
; Occupancy: 3
; WaveLimiterHint : 1
; COMPUTE_PGM_RSRC2:SCRATCH_EN: 1
; COMPUTE_PGM_RSRC2:USER_SGPR: 8
; COMPUTE_PGM_RSRC2:TRAP_HANDLER: 0
; COMPUTE_PGM_RSRC2:TGID_X_EN: 1
; COMPUTE_PGM_RSRC2:TGID_Y_EN: 1
; COMPUTE_PGM_RSRC2:TGID_Z_EN: 1
; COMPUTE_PGM_RSRC2:TIDIG_COMP_CNT: 1
; COMPUTE_PGM_RSRC3_GFX90A:ACCUM_OFFSET: 33
; COMPUTE_PGM_RSRC3_GFX90A:TG_SPLIT: 0
	.section	.text._ZL33flash_attn_stream_k_fixup_uniformILi256ELi4ELi1EEvPfPK15HIP_vector_typeIfLj2EEiiiiiiS1_IjLj3EES5_S5_,"axG",@progbits,_ZL33flash_attn_stream_k_fixup_uniformILi256ELi4ELi1EEvPfPK15HIP_vector_typeIfLj2EEiiiiiiS1_IjLj3EES5_S5_,comdat
	.globl	_ZL33flash_attn_stream_k_fixup_uniformILi256ELi4ELi1EEvPfPK15HIP_vector_typeIfLj2EEiiiiiiS1_IjLj3EES5_S5_ ; -- Begin function _ZL33flash_attn_stream_k_fixup_uniformILi256ELi4ELi1EEvPfPK15HIP_vector_typeIfLj2EEiiiiiiS1_IjLj3EES5_S5_
	.p2align	8
	.type	_ZL33flash_attn_stream_k_fixup_uniformILi256ELi4ELi1EEvPfPK15HIP_vector_typeIfLj2EEiiiiiiS1_IjLj3EES5_S5_,@function
_ZL33flash_attn_stream_k_fixup_uniformILi256ELi4ELi1EEvPfPK15HIP_vector_typeIfLj2EEiiiiiiS1_IjLj3EES5_S5_: ; @_ZL33flash_attn_stream_k_fixup_uniformILi256ELi4ELi1EEvPfPK15HIP_vector_typeIfLj2EEiiiiiiS1_IjLj3EES5_S5_
; %bb.0:
	s_load_dwordx8 s[12:19], s[4:5], 0x1c
	s_load_dwordx2 s[10:11], s[4:5], 0x10
	s_load_dwordx4 s[0:3], s[4:5], 0x3c
	s_waitcnt lgkmcnt(0)
	s_mul_hi_u32 s9, s15, s6
	s_add_i32 s9, s6, s9
	s_lshr_b32 s9, s9, s16
	s_mul_i32 s15, s9, s17
	s_sub_i32 s15, s6, s15
	s_mul_hi_u32 s16, s15, s18
	s_add_i32 s16, s15, s16
	s_lshr_b32 s16, s16, s19
	s_mul_i32 s0, s16, s0
	s_sub_i32 s0, s15, s0
	;; [unrolled: 5-line block ×3, first 2 shown]
	s_lshl_b32 s0, s17, 2
	s_add_i32 s0, s0, s7
	s_cmp_lt_i32 s0, s10
	s_cselect_b64 s[0:1], -1, 0
	s_add_i32 s2, s15, s8
	s_cmp_lt_i32 s2, s13
	s_cselect_b64 s[2:3], -1, 0
	s_and_b64 s[0:1], s[0:1], s[2:3]
	s_andn2_b64 vcc, exec, s[0:1]
	s_cbranch_vccnz .LBB53_6
; %bb.1:
	s_load_dwordx4 s[0:3], s[4:5], 0x0
	s_mul_i32 s4, s9, s10
	s_add_i32 s4, s4, s7
	s_mul_i32 s4, s4, s11
	s_mul_i32 s16, s16, s13
	s_add_i32 s4, s4, s8
	s_add_i32 s4, s4, s16
	s_mul_i32 s5, s11, s17
	s_add_i32 s4, s4, s15
	s_lshl_b32 s5, s5, 10
	s_lshl_b32 s4, s4, 8
	s_add_i32 s5, s5, s4
	v_or_b32_e32 v2, s5, v0
	v_ashrrev_i32_e32 v3, 31, v2
	v_lshlrev_b64 v[2:3], 2, v[2:3]
	s_waitcnt lgkmcnt(0)
	v_mov_b32_e32 v1, s1
	v_add_co_u32_e32 v2, vcc, s0, v2
	v_addc_co_u32_e32 v3, vcc, v1, v3, vcc
	global_load_dword v8, v[2:3], off
	s_add_i32 s4, s7, s8
	s_mul_i32 s7, s6, s14
	s_add_i32 s5, s7, s14
	s_lshl_b32 s0, s5, 2
	s_add_i32 s0, s4, s0
	s_add_i32 s0, s0, -4
	s_ashr_i32 s1, s0, 31
	s_lshl_b64 s[0:1], s[0:1], 3
	s_add_u32 s0, s2, s0
	s_addc_u32 s1, s3, s1
	s_load_dword s10, s[0:1], 0x4
	s_add_i32 s8, s5, -2
	s_cmp_lt_i32 s8, s7
	s_cbranch_scc1 .LBB53_4
; %bb.2:
	s_lshl_b32 s8, s12, 4
	s_ashr_i32 s9, s8, 31
	s_lshl_b64 s[8:9], s[8:9], 2
	s_add_u32 s8, s2, s8
	s_addc_u32 s11, s3, s9
	s_add_i32 s6, s6, 1
	s_add_i32 s9, s5, -1
	s_mul_i32 s5, s14, s6
	s_load_dword s0, s[0:1], 0x0
	s_lshl_b32 s1, s4, 8
	s_lshl_b32 s6, s5, 10
	s_add_i32 s1, s1, s6
	v_or_b32_e32 v0, s1, v0
	s_lshl_b32 s1, s5, 2
	s_add_i32 s1, s4, s1
	s_lshl_b32 s4, s12, 2
	s_add_i32 s1, s1, s4
	v_add_u32_e32 v0, 0xfffff800, v0
	s_add_i32 s4, s1, -8
	s_waitcnt lgkmcnt(0)
	v_mov_b32_e32 v7, s10
	v_mov_b32_e32 v6, s0
	;; [unrolled: 1-line block ×3, first 2 shown]
	s_mov_b32 s6, 0x3fb8aa3b
	s_mov_b32 s10, 0xc2ce8ed0
	;; [unrolled: 1-line block ×3, first 2 shown]
	v_mov_b32_e32 v5, 0x7f800000
	s_mov_b32 s12, 0xc1a00000
.LBB53_3:                               ; =>This Inner Loop Header: Depth=1
	v_ashrrev_i32_e32 v1, 31, v0
	v_lshlrev_b64 v[10:11], 2, v[0:1]
	v_add_co_u32_e32 v10, vcc, s8, v10
	v_addc_co_u32_e32 v11, vcc, v4, v11, vcc
	global_load_dword v1, v[10:11], off
	s_ashr_i32 s5, s4, 31
	s_lshl_b64 s[0:1], s[4:5], 3
	s_add_u32 s0, s2, s0
	s_addc_u32 s1, s3, s1
	s_load_dwordx2 s[14:15], s[0:1], 0x0
	s_waitcnt vmcnt(1)
	v_mov_b32_e32 v9, v8
	v_max_f32_e32 v8, v6, v6
	v_mov_b32_e32 v10, v7
	s_add_i32 s9, s9, -1
	s_waitcnt lgkmcnt(0)
	v_max_f32_e64 v7, s14, s14
	v_max_f32_e32 v7, v8, v7
	v_sub_f32_e32 v11, s14, v7
	v_sub_f32_e32 v8, v6, v7
	v_mul_f32_e32 v12, 0x3fb8aa3b, v11
	v_mov_b32_e32 v6, v7
	v_mul_f32_e32 v7, 0x3fb8aa3b, v8
	v_fma_f32 v15, v11, s6, -v12
	v_rndne_f32_e32 v16, v12
	v_fma_f32 v13, v8, s6, -v7
	v_rndne_f32_e32 v14, v7
	v_fmac_f32_e32 v15, 0x32a5705f, v11
	v_sub_f32_e32 v12, v12, v16
	v_fmac_f32_e32 v13, 0x32a5705f, v8
	v_sub_f32_e32 v7, v7, v14
	v_add_f32_e32 v12, v12, v15
	v_cvt_i32_f32_e32 v16, v16
	v_add_f32_e32 v7, v7, v13
	v_exp_f32_e32 v12, v12
	v_cvt_i32_f32_e32 v14, v14
	v_exp_f32_e32 v7, v7
	v_cmp_ngt_f32_e32 vcc, s10, v11
	v_ldexp_f32 v12, v12, v16
	v_cmp_ngt_f32_e64 s[0:1], s10, v8
	v_ldexp_f32 v7, v7, v14
	v_cndmask_b32_e32 v12, 0, v12, vcc
	v_cmp_nlt_f32_e32 vcc, s11, v11
	v_cndmask_b32_e64 v7, 0, v7, s[0:1]
	v_cmp_nlt_f32_e64 s[0:1], s11, v8
	v_cndmask_b32_e32 v12, v5, v12, vcc
	v_cmp_le_f32_e32 vcc, s12, v11
	v_cndmask_b32_e64 v7, v5, v7, s[0:1]
	v_cmp_le_f32_e64 s[0:1], s12, v8
	v_cndmask_b32_e32 v8, 0, v12, vcc
	s_add_i32 s4, s4, -4
	v_cndmask_b32_e64 v11, 0, v7, s[0:1]
	v_mul_f32_e32 v7, s15, v8
	v_add_u32_e32 v0, 0xfffffc00, v0
	s_cmp_le_i32 s9, s7
	v_fmac_f32_e32 v7, v10, v11
	s_waitcnt vmcnt(0)
	v_mul_f32_e32 v8, v1, v8
	v_fmac_f32_e32 v8, v9, v11
	s_cbranch_scc0 .LBB53_3
	s_branch .LBB53_5
.LBB53_4:
	s_waitcnt lgkmcnt(0)
	v_mov_b32_e32 v7, s10
.LBB53_5:
	s_waitcnt vmcnt(0)
	v_div_scale_f32 v0, s[0:1], v7, v7, v8
	v_rcp_f32_e32 v1, v0
	v_div_scale_f32 v4, vcc, v8, v7, v8
	v_fma_f32 v5, -v0, v1, 1.0
	v_fmac_f32_e32 v1, v5, v1
	v_mul_f32_e32 v5, v4, v1
	v_fma_f32 v6, -v0, v5, v4
	v_fmac_f32_e32 v5, v6, v1
	v_fma_f32 v0, -v0, v5, v4
	v_div_fmas_f32 v0, v0, v1, v5
	v_div_fixup_f32 v0, v0, v7, v8
	global_store_dword v[2:3], v0, off
.LBB53_6:
	s_endpgm
	.section	.rodata,"a",@progbits
	.p2align	6, 0x0
	.amdhsa_kernel _ZL33flash_attn_stream_k_fixup_uniformILi256ELi4ELi1EEvPfPK15HIP_vector_typeIfLj2EEiiiiiiS1_IjLj3EES5_S5_
		.amdhsa_group_segment_fixed_size 0
		.amdhsa_private_segment_fixed_size 0
		.amdhsa_kernarg_size 76
		.amdhsa_user_sgpr_count 6
		.amdhsa_user_sgpr_private_segment_buffer 1
		.amdhsa_user_sgpr_dispatch_ptr 0
		.amdhsa_user_sgpr_queue_ptr 0
		.amdhsa_user_sgpr_kernarg_segment_ptr 1
		.amdhsa_user_sgpr_dispatch_id 0
		.amdhsa_user_sgpr_flat_scratch_init 0
		.amdhsa_user_sgpr_kernarg_preload_length 0
		.amdhsa_user_sgpr_kernarg_preload_offset 0
		.amdhsa_user_sgpr_private_segment_size 0
		.amdhsa_uses_dynamic_stack 0
		.amdhsa_system_sgpr_private_segment_wavefront_offset 0
		.amdhsa_system_sgpr_workgroup_id_x 1
		.amdhsa_system_sgpr_workgroup_id_y 1
		.amdhsa_system_sgpr_workgroup_id_z 1
		.amdhsa_system_sgpr_workgroup_info 0
		.amdhsa_system_vgpr_workitem_id 0
		.amdhsa_next_free_vgpr 17
		.amdhsa_next_free_sgpr 20
		.amdhsa_accum_offset 20
		.amdhsa_reserve_vcc 1
		.amdhsa_reserve_flat_scratch 0
		.amdhsa_float_round_mode_32 0
		.amdhsa_float_round_mode_16_64 0
		.amdhsa_float_denorm_mode_32 3
		.amdhsa_float_denorm_mode_16_64 3
		.amdhsa_dx10_clamp 1
		.amdhsa_ieee_mode 1
		.amdhsa_fp16_overflow 0
		.amdhsa_tg_split 0
		.amdhsa_exception_fp_ieee_invalid_op 0
		.amdhsa_exception_fp_denorm_src 0
		.amdhsa_exception_fp_ieee_div_zero 0
		.amdhsa_exception_fp_ieee_overflow 0
		.amdhsa_exception_fp_ieee_underflow 0
		.amdhsa_exception_fp_ieee_inexact 0
		.amdhsa_exception_int_div_zero 0
	.end_amdhsa_kernel
	.section	.text._ZL33flash_attn_stream_k_fixup_uniformILi256ELi4ELi1EEvPfPK15HIP_vector_typeIfLj2EEiiiiiiS1_IjLj3EES5_S5_,"axG",@progbits,_ZL33flash_attn_stream_k_fixup_uniformILi256ELi4ELi1EEvPfPK15HIP_vector_typeIfLj2EEiiiiiiS1_IjLj3EES5_S5_,comdat
.Lfunc_end53:
	.size	_ZL33flash_attn_stream_k_fixup_uniformILi256ELi4ELi1EEvPfPK15HIP_vector_typeIfLj2EEiiiiiiS1_IjLj3EES5_S5_, .Lfunc_end53-_ZL33flash_attn_stream_k_fixup_uniformILi256ELi4ELi1EEvPfPK15HIP_vector_typeIfLj2EEiiiiiiS1_IjLj3EES5_S5_
                                        ; -- End function
	.section	.AMDGPU.csdata,"",@progbits
; Kernel info:
; codeLenInByte = 836
; NumSgprs: 24
; NumVgprs: 17
; NumAgprs: 0
; TotalNumVgprs: 17
; ScratchSize: 0
; MemoryBound: 0
; FloatMode: 240
; IeeeMode: 1
; LDSByteSize: 0 bytes/workgroup (compile time only)
; SGPRBlocks: 2
; VGPRBlocks: 2
; NumSGPRsForWavesPerEU: 24
; NumVGPRsForWavesPerEU: 17
; AccumOffset: 20
; Occupancy: 8
; WaveLimiterHint : 0
; COMPUTE_PGM_RSRC2:SCRATCH_EN: 0
; COMPUTE_PGM_RSRC2:USER_SGPR: 6
; COMPUTE_PGM_RSRC2:TRAP_HANDLER: 0
; COMPUTE_PGM_RSRC2:TGID_X_EN: 1
; COMPUTE_PGM_RSRC2:TGID_Y_EN: 1
; COMPUTE_PGM_RSRC2:TGID_Z_EN: 1
; COMPUTE_PGM_RSRC2:TIDIG_COMP_CNT: 0
; COMPUTE_PGM_RSRC3_GFX90A:ACCUM_OFFSET: 4
; COMPUTE_PGM_RSRC3_GFX90A:TG_SPLIT: 0
	.section	.text._ZL33flash_attn_stream_k_fixup_generalILi256ELi4ELi1EEvPfPK15HIP_vector_typeIfLj2EEiiiiS1_IjLj3EES5_S5_S5_,"axG",@progbits,_ZL33flash_attn_stream_k_fixup_generalILi256ELi4ELi1EEvPfPK15HIP_vector_typeIfLj2EEiiiiS1_IjLj3EES5_S5_S5_,comdat
	.globl	_ZL33flash_attn_stream_k_fixup_generalILi256ELi4ELi1EEvPfPK15HIP_vector_typeIfLj2EEiiiiS1_IjLj3EES5_S5_S5_ ; -- Begin function _ZL33flash_attn_stream_k_fixup_generalILi256ELi4ELi1EEvPfPK15HIP_vector_typeIfLj2EEiiiiS1_IjLj3EES5_S5_S5_
	.p2align	8
	.type	_ZL33flash_attn_stream_k_fixup_generalILi256ELi4ELi1EEvPfPK15HIP_vector_typeIfLj2EEiiiiS1_IjLj3EES5_S5_S5_,@function
_ZL33flash_attn_stream_k_fixup_generalILi256ELi4ELi1EEvPfPK15HIP_vector_typeIfLj2EEiiiiS1_IjLj3EES5_S5_S5_: ; @_ZL33flash_attn_stream_k_fixup_generalILi256ELi4ELi1EEvPfPK15HIP_vector_typeIfLj2EEiiiiS1_IjLj3EES5_S5_S5_
; %bb.0:
	s_load_dwordx4 s[12:15], s[4:5], 0x10
	s_load_dword s9, s[4:5], 0x50
	s_mov_b32 s2, 0
	s_waitcnt lgkmcnt(0)
	s_mul_hi_i32 s3, s15, s6
	s_cmp_lg_u64 s[2:3], 0
	s_mul_i32 s2, s15, s6
	s_cbranch_scc0 .LBB54_21
; %bb.1:
	v_cvt_f32_u32_e32 v1, s9
	v_cvt_f32_ubyte0_e32 v2, 0
	s_sub_u32 s10, 0, s9
	s_subb_u32 s11, 0, 0
	v_madmk_f32 v1, v2, 0x4f800000, v1
	v_rcp_f32_e32 v1, v1
	v_mul_f32_e32 v1, 0x5f7ffffc, v1
	v_mul_f32_e32 v2, 0x2f800000, v1
	v_trunc_f32_e32 v2, v2
	v_madmk_f32 v1, v2, 0xcf800000, v1
	v_cvt_u32_f32_e32 v2, v2
	v_cvt_u32_f32_e32 v1, v1
	v_readfirstlane_b32 s16, v2
	v_readfirstlane_b32 s17, v1
	s_mul_i32 s18, s10, s16
	s_mul_hi_u32 s20, s10, s17
	s_mul_i32 s19, s11, s17
	s_add_i32 s18, s20, s18
	s_add_i32 s18, s18, s19
	s_mul_i32 s21, s10, s17
	s_mul_hi_u32 s19, s17, s18
	s_mul_i32 s20, s17, s18
	s_mul_hi_u32 s17, s17, s21
	s_add_u32 s17, s17, s20
	s_addc_u32 s19, 0, s19
	s_mul_hi_u32 s22, s16, s21
	s_mul_i32 s21, s16, s21
	s_add_u32 s17, s17, s21
	s_mul_hi_u32 s20, s16, s18
	s_addc_u32 s17, s19, s22
	s_addc_u32 s19, s20, 0
	s_mul_i32 s18, s16, s18
	s_add_u32 s17, s17, s18
	s_addc_u32 s18, 0, s19
	v_add_co_u32_e32 v1, vcc, s17, v1
	s_cmp_lg_u64 vcc, 0
	s_addc_u32 s16, s16, s18
	v_readfirstlane_b32 s18, v1
	s_mul_i32 s17, s10, s16
	s_mul_hi_u32 s19, s10, s18
	s_add_i32 s17, s19, s17
	s_mul_i32 s11, s11, s18
	s_add_i32 s17, s17, s11
	s_mul_i32 s10, s10, s18
	s_mul_hi_u32 s19, s16, s10
	s_mul_i32 s20, s16, s10
	s_mul_i32 s22, s18, s17
	s_mul_hi_u32 s10, s18, s10
	s_mul_hi_u32 s21, s18, s17
	s_add_u32 s10, s10, s22
	s_addc_u32 s18, 0, s21
	s_add_u32 s10, s10, s20
	s_mul_hi_u32 s11, s16, s17
	s_addc_u32 s10, s18, s19
	s_addc_u32 s11, s11, 0
	s_mul_i32 s17, s16, s17
	s_add_u32 s10, s10, s17
	s_addc_u32 s11, 0, s11
	v_add_co_u32_e32 v1, vcc, s10, v1
	s_cmp_lg_u64 vcc, 0
	s_addc_u32 s18, s16, s11
	s_ashr_i32 s10, s3, 31
	s_add_u32 s16, s2, s10
	s_mov_b32 s11, s10
	s_addc_u32 s17, s3, s10
	s_xor_b64 s[16:17], s[16:17], s[10:11]
	v_readfirstlane_b32 s20, v1
	s_mul_i32 s19, s16, s18
	s_mul_hi_u32 s21, s16, s20
	s_mul_hi_u32 s3, s16, s18
	s_add_u32 s19, s21, s19
	s_addc_u32 s3, 0, s3
	s_mul_hi_u32 s22, s17, s20
	s_mul_i32 s20, s17, s20
	s_add_u32 s19, s19, s20
	s_mul_hi_u32 s21, s17, s18
	s_addc_u32 s3, s3, s22
	s_addc_u32 s19, s21, 0
	s_mul_i32 s18, s17, s18
	s_add_u32 s3, s3, s18
	s_addc_u32 s18, 0, s19
	s_add_u32 s19, s3, 1
	s_addc_u32 s20, s18, 0
	s_add_u32 s21, s3, 2
	s_mul_i32 s23, s9, s18
	s_mul_hi_u32 s24, s9, s3
	s_addc_u32 s22, s18, 0
	s_add_i32 s24, s24, s23
	s_mul_i32 s23, s9, s3
	v_mov_b32_e32 v1, s23
	v_sub_co_u32_e32 v1, vcc, s16, v1
	s_cmp_lg_u64 vcc, 0
	s_subb_u32 s16, s17, s24
	v_subrev_co_u32_e32 v2, vcc, s9, v1
	s_cmp_lg_u64 vcc, 0
	s_subb_u32 s17, s16, 0
	v_readfirstlane_b32 s23, v2
	s_cmp_ge_u32 s23, s9
	s_cselect_b32 s23, -1, 0
	s_cmp_eq_u32 s17, 0
	s_cselect_b32 s17, s23, -1
	s_cmp_lg_u32 s17, 0
	s_cselect_b32 s17, s22, s20
	v_readfirstlane_b32 s20, v1
	s_cselect_b32 s19, s21, s19
	s_cmp_ge_u32 s20, s9
	s_cselect_b32 s20, -1, 0
	s_cmp_eq_u32 s16, 0
	s_cselect_b32 s16, s20, -1
	s_cmp_lg_u32 s16, 0
	s_cselect_b32 s17, s17, s18
	s_cselect_b32 s16, s19, s3
	s_xor_b64 s[16:17], s[16:17], s[10:11]
	s_sub_u32 s20, s16, s10
	s_load_dwordx4 s[16:19], s[4:5], 0x44
	s_cbranch_execnz .LBB54_3
.LBB54_2:
	v_cvt_f32_u32_e32 v1, s9
	s_sub_i32 s0, 0, s9
	v_rcp_iflag_f32_e32 v1, v1
	v_mul_f32_e32 v1, 0x4f7ffffe, v1
	v_cvt_u32_f32_e32 v1, v1
	v_readfirstlane_b32 s1, v1
	s_mul_i32 s0, s0, s1
	s_mul_hi_u32 s0, s1, s0
	s_add_i32 s1, s1, s0
	s_mul_hi_u32 s0, s2, s1
	s_mul_i32 s3, s0, s9
	s_sub_i32 s2, s2, s3
	s_add_i32 s1, s0, 1
	s_sub_i32 s3, s2, s9
	s_cmp_ge_u32 s2, s9
	s_cselect_b32 s0, s1, s0
	s_cselect_b32 s2, s3, s2
	s_add_i32 s1, s0, 1
	s_cmp_ge_u32 s2, s9
	s_cselect_b32 s20, s1, s0
.LBB54_3:
	s_add_i32 s0, s6, 1
	s_mul_hi_i32 s3, s15, s0
	s_mov_b32 s2, 0
	s_cmp_lg_u64 s[2:3], 0
	s_mul_i32 s2, s15, s0
	s_cbranch_scc0 .LBB54_22
; %bb.4:
	v_cvt_f32_u32_e32 v1, s9
	v_cvt_f32_ubyte0_e32 v2, 0
	s_sub_u32 s10, 0, s9
	s_subb_u32 s11, 0, 0
	v_madmk_f32 v1, v2, 0x4f800000, v1
	v_rcp_f32_e32 v1, v1
	v_mul_f32_e32 v1, 0x5f7ffffc, v1
	v_mul_f32_e32 v2, 0x2f800000, v1
	v_trunc_f32_e32 v2, v2
	v_madmk_f32 v1, v2, 0xcf800000, v1
	v_cvt_u32_f32_e32 v2, v2
	v_cvt_u32_f32_e32 v1, v1
	s_waitcnt lgkmcnt(0)
	v_readfirstlane_b32 s19, v2
	v_readfirstlane_b32 s21, v1
	s_mul_i32 s22, s10, s19
	s_mul_hi_u32 s24, s10, s21
	s_mul_i32 s23, s11, s21
	s_add_i32 s22, s24, s22
	s_add_i32 s22, s22, s23
	s_mul_i32 s25, s10, s21
	s_mul_hi_u32 s23, s21, s22
	s_mul_i32 s24, s21, s22
	s_mul_hi_u32 s21, s21, s25
	s_add_u32 s21, s21, s24
	s_addc_u32 s23, 0, s23
	s_mul_hi_u32 s26, s19, s25
	s_mul_i32 s25, s19, s25
	s_add_u32 s21, s21, s25
	s_mul_hi_u32 s24, s19, s22
	s_addc_u32 s21, s23, s26
	s_addc_u32 s23, s24, 0
	s_mul_i32 s22, s19, s22
	s_add_u32 s21, s21, s22
	s_addc_u32 s22, 0, s23
	v_add_co_u32_e32 v1, vcc, s21, v1
	s_cmp_lg_u64 vcc, 0
	s_addc_u32 s19, s19, s22
	v_readfirstlane_b32 s22, v1
	s_mul_i32 s21, s10, s19
	s_mul_hi_u32 s23, s10, s22
	s_add_i32 s21, s23, s21
	s_mul_i32 s11, s11, s22
	s_add_i32 s21, s21, s11
	s_mul_i32 s10, s10, s22
	s_mul_hi_u32 s23, s19, s10
	s_mul_i32 s24, s19, s10
	s_mul_i32 s26, s22, s21
	s_mul_hi_u32 s10, s22, s10
	s_mul_hi_u32 s25, s22, s21
	s_add_u32 s10, s10, s26
	s_addc_u32 s22, 0, s25
	s_add_u32 s10, s10, s24
	s_mul_hi_u32 s11, s19, s21
	s_addc_u32 s10, s22, s23
	s_addc_u32 s11, s11, 0
	s_mul_i32 s21, s19, s21
	s_add_u32 s10, s10, s21
	s_addc_u32 s11, 0, s11
	v_add_co_u32_e32 v1, vcc, s10, v1
	s_cmp_lg_u64 vcc, 0
	s_addc_u32 s19, s19, s11
	s_ashr_i32 s10, s3, 31
	s_add_u32 s22, s2, s10
	s_mov_b32 s11, s10
	s_addc_u32 s23, s3, s10
	s_xor_b64 s[22:23], s[22:23], s[10:11]
	v_readfirstlane_b32 s21, v1
	s_mul_i32 s11, s22, s19
	s_mul_hi_u32 s24, s22, s21
	s_mul_hi_u32 s3, s22, s19
	s_add_u32 s11, s24, s11
	s_addc_u32 s3, 0, s3
	s_mul_hi_u32 s25, s23, s21
	s_mul_i32 s21, s23, s21
	s_add_u32 s11, s11, s21
	s_mul_hi_u32 s24, s23, s19
	s_addc_u32 s3, s3, s25
	s_addc_u32 s11, s24, 0
	s_mul_i32 s19, s23, s19
	s_add_u32 s3, s3, s19
	s_addc_u32 s11, 0, s11
	s_mul_i32 s11, s9, s11
	s_mul_hi_u32 s24, s9, s3
	s_add_i32 s24, s24, s11
	s_mul_i32 s11, s9, s3
	v_mov_b32_e32 v1, s11
	s_add_u32 s19, s3, 1
	s_add_u32 s21, s3, 2
	v_sub_co_u32_e32 v1, vcc, s22, v1
	s_cmp_lg_u64 vcc, 0
	s_subb_u32 s11, s23, s24
	v_subrev_co_u32_e32 v2, vcc, s9, v1
	s_cmp_lg_u64 vcc, 0
	s_subb_u32 s22, s11, 0
	v_cmp_le_u32_e32 vcc, s9, v2
	s_cmp_eq_u32 s22, 0
	v_cndmask_b32_e64 v2, 0, -1, vcc
	s_cselect_b64 vcc, -1, 0
	v_cndmask_b32_e32 v2, -1, v2, vcc
	v_mov_b32_e32 v3, s19
	v_mov_b32_e32 v4, s21
	v_cmp_ne_u32_e32 vcc, 0, v2
	v_cndmask_b32_e32 v2, v3, v4, vcc
	v_cmp_le_u32_e32 vcc, s9, v1
	s_cmp_eq_u32 s11, 0
	v_cndmask_b32_e64 v1, 0, -1, vcc
	s_cselect_b64 vcc, -1, 0
	v_cndmask_b32_e32 v1, -1, v1, vcc
	v_mov_b32_e32 v3, s3
	v_cmp_ne_u32_e32 vcc, 0, v1
	v_cndmask_b32_e32 v1, v3, v2, vcc
	v_xor_b32_e32 v1, s10, v1
	v_subrev_co_u32_e32 v2, vcc, s10, v1
	s_cbranch_execnz .LBB54_6
.LBB54_5:
	v_cvt_f32_u32_e32 v1, s9
	s_sub_i32 s0, 0, s9
	s_mov_b32 s1, 0
	v_rcp_iflag_f32_e32 v1, v1
	v_mul_f32_e32 v1, 0x4f7ffffe, v1
	v_cvt_u32_f32_e32 v1, v1
	v_readfirstlane_b32 s3, v1
	s_mul_i32 s0, s0, s3
	s_mul_hi_u32 s0, s3, s0
	s_add_i32 s3, s3, s0
	s_mul_hi_u32 s0, s2, s3
	s_mul_i32 s10, s0, s9
	s_sub_i32 s2, s2, s10
	s_add_i32 s3, s0, 1
	s_sub_i32 s10, s2, s9
	s_cmp_ge_u32 s2, s9
	s_cselect_b32 s0, s3, s0
	s_cselect_b32 s2, s10, s2
	s_add_i32 s3, s0, 1
	s_cmp_ge_u32 s2, s9
	s_cselect_b32 s0, s3, s0
	v_pk_mov_b32 v[2:3], s[0:1], s[0:1] op_sel:[0,1]
.LBB54_6:
	s_waitcnt lgkmcnt(0)
	s_mul_hi_u32 s0, s20, s16
	s_add_i32 s0, s0, s20
	v_mul_hi_u32 v1, v2, s16
	s_lshr_b32 s19, s0, s17
	v_add_u32_e32 v1, v1, v2
	s_mul_i32 s0, s19, s18
	v_lshrrev_b32_e32 v1, s17, v1
	s_cmp_eq_u32 s0, s20
	v_cmp_eq_u32_e64 s[0:1], s19, v1
	v_mul_lo_u32 v1, v1, s18
	v_cmp_eq_u32_e32 vcc, s20, v2
	s_cselect_b64 s[10:11], -1, 0
	v_cmp_ne_u32_e64 s[2:3], v1, v2
	s_and_b64 s[0:1], s[0:1], s[2:3]
	s_or_b64 s[2:3], vcc, s[10:11]
	s_or_b64 s[0:1], s[2:3], s[0:1]
	s_and_b64 vcc, exec, s[0:1]
	s_cbranch_vccnz .LBB54_24
; %bb.7:
	s_load_dwordx8 s[24:31], s[4:5], 0x20
	s_load_dword s0, s[4:5], 0x40
	s_mov_b32 s10, 0
	s_waitcnt lgkmcnt(0)
	s_mul_hi_u32 s1, s20, s24
	s_add_i32 s1, s1, s20
	s_lshr_b32 s11, s1, s25
	s_mul_i32 s1, s11, s26
	s_sub_i32 s1, s20, s1
	s_mul_hi_u32 s2, s1, s27
	s_add_i32 s2, s1, s2
	s_lshr_b32 s25, s2, s28
	s_mul_i32 s2, s25, s29
	s_sub_i32 s1, s1, s2
	;; [unrolled: 5-line block ×3, first 2 shown]
	s_mul_hi_u32 s1, s0, s16
	s_add_i32 s0, s0, s1
	s_lshr_b32 s26, s0, s17
	s_lshl_b32 s0, s26, 2
	s_add_i32 s0, s0, s7
	s_cmp_lt_i32 s0, s12
	s_cselect_b64 s[0:1], -1, 0
	s_add_i32 s2, s24, s8
	s_cmp_lt_i32 s2, s14
	s_cselect_b64 s[2:3], -1, 0
	s_and_b64 s[0:1], s[0:1], s[2:3]
	s_andn2_b64 vcc, exec, s[0:1]
	s_cbranch_vccnz .LBB54_24
; %bb.8:
	s_load_dwordx4 s[0:3], s[4:5], 0x0
	s_lshl_b32 s4, s9, 4
	s_mov_b32 s5, s10
	s_add_i32 s21, s7, s8
	s_lshl_b64 s[4:5], s[4:5], 2
	s_waitcnt lgkmcnt(0)
	s_add_u32 s22, s2, s4
	s_mul_i32 s4, s11, s12
	s_addc_u32 s23, s3, s5
	s_add_i32 s4, s4, s7
	s_mul_i32 s4, s4, s13
	s_mul_i32 s25, s25, s14
	s_add_i32 s4, s4, s8
	s_add_i32 s4, s4, s25
	s_mul_i32 s5, s13, s26
	s_add_i32 s4, s4, s24
	s_lshl_b32 s5, s5, 10
	s_lshl_b32 s4, s4, 8
	s_add_i32 s5, s5, s4
	v_or_b32_e32 v2, s5, v0
	v_ashrrev_i32_e32 v3, 31, v2
	v_lshlrev_b64 v[2:3], 2, v[2:3]
	v_mov_b32_e32 v1, s1
	v_add_co_u32_e32 v2, vcc, s0, v2
	v_addc_co_u32_e32 v3, vcc, v1, v3, vcc
	global_load_dword v5, v[2:3], off
	v_lshl_or_b32 v4, s21, 8, v0
	v_cvt_f32_u32_e32 v0, s9
	v_cvt_f32_ubyte0_e32 v1, 0
	s_lshl_b32 s0, s6, 2
	s_add_i32 s0, s0, s21
	v_mac_f32_e32 v0, 0x4f800000, v1
	v_rcp_f32_e32 v0, v0
	v_cvt_f32_u32_e32 v1, s9
	s_ashr_i32 s1, s0, 31
	s_lshl_b64 s[0:1], s[0:1], 3
	v_mul_f32_e32 v0, 0x5f7ffffc, v0
	v_rcp_iflag_f32_e32 v1, v1
	s_add_u32 s0, s2, s0
	v_mul_f32_e32 v9, 0x2f800000, v0
	s_addc_u32 s1, s3, s1
	v_trunc_f32_e32 v10, v9
	s_load_dwordx2 s[0:1], s[0:1], 0x0
	v_mac_f32_e32 v0, 0xcf800000, v10
	v_cvt_u32_f32_e32 v9, v0
	v_mul_f32_e32 v0, 0x4f7ffffe, v1
	v_cvt_u32_f32_e32 v10, v10
	v_cvt_u32_f32_e32 v11, v0
	s_add_i32 s8, s6, -1
	s_waitcnt lgkmcnt(0)
	v_mov_b32_e32 v6, s1
	v_mov_b32_e32 v7, s0
	;; [unrolled: 1-line block ×3, first 2 shown]
	s_mov_b32 s6, 0x3fb8aa3b
	s_mov_b32 s7, 0xc2ce8ed0
	;; [unrolled: 1-line block ×4, first 2 shown]
	v_mov_b32_e32 v12, 0x7f800000
	s_mul_hi_i32 s11, s8, s15
	s_cmp_lg_u64 s[10:11], 0
	s_mul_i32 s4, s8, s15
	s_cbranch_scc0 .LBB54_15
.LBB54_9:
	s_sub_u32 s0, 0, s9
	v_readfirstlane_b32 s5, v9
	v_readfirstlane_b32 s24, v10
	s_subb_u32 s1, 0, 0
	s_mul_hi_u32 s20, s0, s5
	s_mul_i32 s25, s0, s24
	s_mul_i32 s14, s1, s5
	s_add_i32 s20, s20, s25
	s_add_i32 s20, s20, s14
	s_mul_i32 s26, s0, s5
	s_mul_hi_u32 s14, s5, s20
	s_mul_i32 s25, s5, s20
	s_mul_hi_u32 s5, s5, s26
	s_add_u32 s5, s5, s25
	s_addc_u32 s14, 0, s14
	s_mul_hi_u32 s27, s24, s26
	s_mul_i32 s26, s24, s26
	s_add_u32 s5, s5, s26
	s_mul_hi_u32 s25, s24, s20
	s_addc_u32 s5, s14, s27
	s_addc_u32 s14, s25, 0
	s_mul_i32 s20, s24, s20
	s_add_u32 s5, s5, s20
	s_addc_u32 s14, 0, s14
	v_add_co_u32_e32 v0, vcc, s5, v9
	s_cmp_lg_u64 vcc, 0
	s_addc_u32 s5, s24, s14
	v_readfirstlane_b32 s20, v0
	s_mul_i32 s14, s0, s5
	s_mul_hi_u32 s24, s0, s20
	s_add_i32 s14, s24, s14
	s_mul_i32 s1, s1, s20
	s_add_i32 s14, s14, s1
	s_mul_i32 s0, s0, s20
	s_mul_hi_u32 s24, s5, s0
	s_mul_i32 s25, s5, s0
	s_mul_i32 s27, s20, s14
	s_mul_hi_u32 s0, s20, s0
	s_mul_hi_u32 s26, s20, s14
	s_add_u32 s0, s0, s27
	s_addc_u32 s20, 0, s26
	s_add_u32 s0, s0, s25
	s_mul_hi_u32 s1, s5, s14
	s_addc_u32 s0, s20, s24
	s_addc_u32 s1, s1, 0
	s_mul_i32 s14, s5, s14
	s_add_u32 s0, s0, s14
	s_addc_u32 s1, 0, s1
	v_add_co_u32_e32 v0, vcc, s0, v0
	s_cmp_lg_u64 vcc, 0
	s_addc_u32 s5, s5, s1
	s_ashr_i32 s0, s11, 31
	s_add_u32 s24, s4, s0
	s_mov_b32 s1, s0
	s_addc_u32 s25, s11, s0
	s_xor_b64 s[24:25], s[24:25], s[0:1]
	v_readfirstlane_b32 s14, v0
	s_mul_i32 s11, s24, s5
	s_mul_hi_u32 s20, s24, s14
	s_mul_hi_u32 s1, s24, s5
	s_add_u32 s11, s20, s11
	s_addc_u32 s1, 0, s1
	s_mul_hi_u32 s26, s25, s14
	s_mul_i32 s14, s25, s14
	s_add_u32 s11, s11, s14
	s_mul_hi_u32 s20, s25, s5
	s_addc_u32 s1, s1, s26
	s_addc_u32 s11, s20, 0
	s_mul_i32 s5, s25, s5
	s_add_u32 s1, s1, s5
	s_addc_u32 s5, 0, s11
	s_mul_i32 s5, s9, s5
	s_mul_hi_u32 s20, s9, s1
	s_add_i32 s20, s20, s5
	s_mul_i32 s5, s9, s1
	v_mov_b32_e32 v0, s5
	s_add_u32 s11, s1, 1
	s_add_u32 s14, s1, 2
	v_sub_co_u32_e32 v0, vcc, s24, v0
	s_cmp_lg_u64 vcc, 0
	s_subb_u32 s5, s25, s20
	v_subrev_co_u32_e32 v1, vcc, s9, v0
	s_cmp_lg_u64 vcc, 0
	s_subb_u32 s20, s5, 0
	v_cmp_le_u32_e32 vcc, s9, v1
	s_cmp_eq_u32 s20, 0
	v_cndmask_b32_e64 v1, 0, -1, vcc
	s_cselect_b64 vcc, -1, 0
	v_cndmask_b32_e32 v1, -1, v1, vcc
	v_mov_b32_e32 v13, s11
	v_mov_b32_e32 v14, s14
	v_cmp_ne_u32_e32 vcc, 0, v1
	v_cndmask_b32_e32 v1, v13, v14, vcc
	v_cmp_le_u32_e32 vcc, s9, v0
	s_cmp_eq_u32 s5, 0
	v_cndmask_b32_e64 v0, 0, -1, vcc
	s_cselect_b64 vcc, -1, 0
	v_cndmask_b32_e32 v0, -1, v0, vcc
	v_mov_b32_e32 v13, s1
	v_cmp_ne_u32_e32 vcc, 0, v0
	v_cndmask_b32_e32 v0, v13, v1, vcc
	v_xor_b32_e32 v0, s0, v0
	v_subrev_co_u32_e32 v0, vcc, s0, v0
	s_cbranch_execnz .LBB54_11
.LBB54_10:
	s_sub_i32 s0, 0, s9
	v_mul_lo_u32 v0, s0, v11
	v_mul_hi_u32 v0, v11, v0
	v_add_u32_e32 v0, v11, v0
	v_mul_hi_u32 v0, s4, v0
	v_mul_lo_u32 v13, v0, s9
	v_sub_u32_e32 v13, s4, v13
	v_add_u32_e32 v1, 1, v0
	v_subrev_u32_e32 v14, s9, v13
	v_cmp_le_u32_e32 vcc, s9, v13
	v_cndmask_b32_e32 v13, v13, v14, vcc
	v_cndmask_b32_e32 v0, v0, v1, vcc
	v_add_u32_e32 v1, 1, v0
	v_cmp_le_u32_e32 vcc, s9, v13
	v_cndmask_b32_e32 v0, v0, v1, vcc
.LBB54_11:
	v_cmp_ne_u32_e32 vcc, v8, v0
	s_cbranch_vccz .LBB54_14
; %bb.12:
	s_add_i32 s0, s8, s9
	s_lshl_b32 s0, s0, 2
	v_mul_hi_u32 v1, v0, s16
	s_add_i32 s0, s0, s21
	s_mov_b32 s1, s10
	v_add_u32_e32 v1, v1, v0
	s_lshl_b64 s[0:1], s[0:1], 3
	v_lshrrev_b32_e32 v1, s17, v1
	s_add_u32 s4, s2, s0
	v_mul_lo_u32 v13, v1, s18
	s_addc_u32 s5, s3, s1
	v_cmp_eq_u32_e32 vcc, v13, v0
	v_cmp_gt_u32_e64 s[0:1], s19, v1
	s_or_b64 s[0:1], s[0:1], vcc
	s_and_b64 vcc, exec, s[0:1]
	s_cbranch_vccnz .LBB54_16
; %bb.13:
	s_add_i32 s11, s8, -1
	s_mov_b64 s[0:1], 0
	s_branch .LBB54_17
.LBB54_14:
                                        ; implicit-def: $sgpr0_sgpr1
                                        ; implicit-def: $vgpr14
                                        ; implicit-def: $vgpr1
                                        ; implicit-def: $vgpr13
                                        ; implicit-def: $sgpr11
                                        ; implicit-def: $vgpr0
	s_branch .LBB54_18
.LBB54_15:
                                        ; implicit-def: $vgpr0_vgpr1
	s_branch .LBB54_10
.LBB54_16:
	s_mov_b64 s[0:1], -1
	s_mov_b32 s11, s8
	v_mov_b32_e32 v0, v8
.LBB54_17:
	v_lshl_add_u32 v14, s8, 10, v4
	v_ashrrev_i32_e32 v15, 31, v14
	v_lshlrev_b64 v[14:15], 2, v[14:15]
	v_mov_b32_e32 v1, s23
	v_add_co_u32_e32 v14, vcc, s22, v14
	v_addc_co_u32_e32 v15, vcc, v1, v15, vcc
	global_load_dword v14, v[14:15], off
	s_load_dwordx2 s[4:5], s[4:5], 0x0
	v_max_f32_e32 v1, v7, v7
	s_waitcnt lgkmcnt(0)
	v_max_f32_e64 v13, s4, s4
	v_max_f32_e32 v1, v1, v13
	v_sub_f32_e32 v13, v7, v1
	v_sub_f32_e32 v15, s4, v1
	v_mul_f32_e32 v16, 0x3fb8aa3b, v13
	v_mul_f32_e32 v17, 0x3fb8aa3b, v15
	v_fma_f32 v18, v13, s6, -v16
	v_rndne_f32_e32 v19, v16
	v_fma_f32 v20, v15, s6, -v17
	v_rndne_f32_e32 v21, v17
	v_fmac_f32_e32 v18, 0x32a5705f, v13
	v_sub_f32_e32 v16, v16, v19
	v_fmac_f32_e32 v20, 0x32a5705f, v15
	v_sub_f32_e32 v17, v17, v21
	v_add_f32_e32 v16, v16, v18
	v_cvt_i32_f32_e32 v19, v19
	v_add_f32_e32 v17, v17, v20
	v_exp_f32_e32 v16, v16
	v_cvt_i32_f32_e32 v21, v21
	v_exp_f32_e32 v17, v17
	v_cmp_ngt_f32_e32 vcc, s7, v13
	v_ldexp_f32 v16, v16, v19
	v_cndmask_b32_e32 v16, 0, v16, vcc
	v_ldexp_f32 v17, v17, v21
	v_cmp_ngt_f32_e32 vcc, s7, v15
	v_cndmask_b32_e32 v17, 0, v17, vcc
	v_cmp_nlt_f32_e32 vcc, s12, v13
	v_cndmask_b32_e32 v16, v12, v16, vcc
	v_cmp_nlt_f32_e32 vcc, s12, v15
	v_cndmask_b32_e32 v17, v12, v17, vcc
	v_cmp_le_f32_e32 vcc, s13, v13
	v_cndmask_b32_e32 v16, 0, v16, vcc
	v_cmp_le_f32_e32 vcc, s13, v15
	v_cndmask_b32_e32 v15, 0, v17, vcc
	v_mul_f32_e32 v13, s5, v15
	v_fmac_f32_e32 v13, v6, v16
	s_waitcnt vmcnt(0)
	v_mul_f32_e32 v14, v14, v15
	v_fmac_f32_e32 v14, v5, v16
	s_cbranch_execnz .LBB54_19
.LBB54_18:
	s_add_i32 s11, s8, -1
	s_mov_b64 s[0:1], 0
	v_mov_b32_e32 v0, v8
	v_mov_b32_e32 v13, v6
	;; [unrolled: 1-line block ×3, first 2 shown]
	s_waitcnt vmcnt(0)
	v_mov_b32_e32 v14, v5
.LBB54_19:
	s_andn2_b64 vcc, exec, s[0:1]
	s_cbranch_vccz .LBB54_23
; %bb.20:
	v_mov_b32_e32 v8, v0
	s_mov_b32 s8, s11
	v_mov_b32_e32 v6, v13
	v_mov_b32_e32 v7, v1
	s_waitcnt vmcnt(0)
	v_mov_b32_e32 v5, v14
	s_mul_hi_i32 s11, s8, s15
	s_cmp_lg_u64 s[10:11], 0
	s_mul_i32 s4, s8, s15
	s_cbranch_scc1 .LBB54_9
	s_branch .LBB54_15
.LBB54_21:
                                        ; implicit-def: $sgpr20_sgpr21
	s_load_dwordx4 s[16:19], s[4:5], 0x44
	s_branch .LBB54_2
.LBB54_22:
                                        ; implicit-def: $vgpr2_vgpr3
	s_branch .LBB54_5
.LBB54_23:
	v_div_scale_f32 v0, s[0:1], v13, v13, v14
	v_rcp_f32_e32 v1, v0
	v_div_scale_f32 v4, vcc, v14, v13, v14
	s_waitcnt vmcnt(0)
	v_fma_f32 v5, -v0, v1, 1.0
	v_fmac_f32_e32 v1, v5, v1
	v_mul_f32_e32 v5, v4, v1
	v_fma_f32 v6, -v0, v5, v4
	v_fmac_f32_e32 v5, v6, v1
	v_fma_f32 v0, -v0, v5, v4
	v_div_fmas_f32 v0, v0, v1, v5
	v_div_fixup_f32 v0, v0, v13, v14
	global_store_dword v[2:3], v0, off
.LBB54_24:
	s_endpgm
	.section	.rodata,"a",@progbits
	.p2align	6, 0x0
	.amdhsa_kernel _ZL33flash_attn_stream_k_fixup_generalILi256ELi4ELi1EEvPfPK15HIP_vector_typeIfLj2EEiiiiS1_IjLj3EES5_S5_S5_
		.amdhsa_group_segment_fixed_size 0
		.amdhsa_private_segment_fixed_size 0
		.amdhsa_kernarg_size 336
		.amdhsa_user_sgpr_count 6
		.amdhsa_user_sgpr_private_segment_buffer 1
		.amdhsa_user_sgpr_dispatch_ptr 0
		.amdhsa_user_sgpr_queue_ptr 0
		.amdhsa_user_sgpr_kernarg_segment_ptr 1
		.amdhsa_user_sgpr_dispatch_id 0
		.amdhsa_user_sgpr_flat_scratch_init 0
		.amdhsa_user_sgpr_kernarg_preload_length 0
		.amdhsa_user_sgpr_kernarg_preload_offset 0
		.amdhsa_user_sgpr_private_segment_size 0
		.amdhsa_uses_dynamic_stack 0
		.amdhsa_system_sgpr_private_segment_wavefront_offset 0
		.amdhsa_system_sgpr_workgroup_id_x 1
		.amdhsa_system_sgpr_workgroup_id_y 1
		.amdhsa_system_sgpr_workgroup_id_z 1
		.amdhsa_system_sgpr_workgroup_info 0
		.amdhsa_system_vgpr_workitem_id 0
		.amdhsa_next_free_vgpr 22
		.amdhsa_next_free_sgpr 32
		.amdhsa_accum_offset 24
		.amdhsa_reserve_vcc 1
		.amdhsa_reserve_flat_scratch 0
		.amdhsa_float_round_mode_32 0
		.amdhsa_float_round_mode_16_64 0
		.amdhsa_float_denorm_mode_32 3
		.amdhsa_float_denorm_mode_16_64 3
		.amdhsa_dx10_clamp 1
		.amdhsa_ieee_mode 1
		.amdhsa_fp16_overflow 0
		.amdhsa_tg_split 0
		.amdhsa_exception_fp_ieee_invalid_op 0
		.amdhsa_exception_fp_denorm_src 0
		.amdhsa_exception_fp_ieee_div_zero 0
		.amdhsa_exception_fp_ieee_overflow 0
		.amdhsa_exception_fp_ieee_underflow 0
		.amdhsa_exception_fp_ieee_inexact 0
		.amdhsa_exception_int_div_zero 0
	.end_amdhsa_kernel
	.section	.text._ZL33flash_attn_stream_k_fixup_generalILi256ELi4ELi1EEvPfPK15HIP_vector_typeIfLj2EEiiiiS1_IjLj3EES5_S5_S5_,"axG",@progbits,_ZL33flash_attn_stream_k_fixup_generalILi256ELi4ELi1EEvPfPK15HIP_vector_typeIfLj2EEiiiiS1_IjLj3EES5_S5_S5_,comdat
.Lfunc_end54:
	.size	_ZL33flash_attn_stream_k_fixup_generalILi256ELi4ELi1EEvPfPK15HIP_vector_typeIfLj2EEiiiiS1_IjLj3EES5_S5_S5_, .Lfunc_end54-_ZL33flash_attn_stream_k_fixup_generalILi256ELi4ELi1EEvPfPK15HIP_vector_typeIfLj2EEiiiiS1_IjLj3EES5_S5_S5_
                                        ; -- End function
	.section	.AMDGPU.csdata,"",@progbits
; Kernel info:
; codeLenInByte = 2816
; NumSgprs: 36
; NumVgprs: 22
; NumAgprs: 0
; TotalNumVgprs: 22
; ScratchSize: 0
; MemoryBound: 0
; FloatMode: 240
; IeeeMode: 1
; LDSByteSize: 0 bytes/workgroup (compile time only)
; SGPRBlocks: 4
; VGPRBlocks: 2
; NumSGPRsForWavesPerEU: 36
; NumVGPRsForWavesPerEU: 22
; AccumOffset: 24
; Occupancy: 8
; WaveLimiterHint : 0
; COMPUTE_PGM_RSRC2:SCRATCH_EN: 0
; COMPUTE_PGM_RSRC2:USER_SGPR: 6
; COMPUTE_PGM_RSRC2:TRAP_HANDLER: 0
; COMPUTE_PGM_RSRC2:TGID_X_EN: 1
; COMPUTE_PGM_RSRC2:TGID_Y_EN: 1
; COMPUTE_PGM_RSRC2:TGID_Z_EN: 1
; COMPUTE_PGM_RSRC2:TIDIG_COMP_CNT: 0
; COMPUTE_PGM_RSRC3_GFX90A:ACCUM_OFFSET: 5
; COMPUTE_PGM_RSRC3_GFX90A:TG_SPLIT: 0
	.section	.text._ZL15flash_attn_tileILi256ELi256ELi2ELi1ELb0EEvPKcS1_S1_S1_S1_PKiPfP15HIP_vector_typeIfLj2EEffffjfiS5_IjLj3EEiiiiiiiiiiiliiliiiiil,"axG",@progbits,_ZL15flash_attn_tileILi256ELi256ELi2ELi1ELb0EEvPKcS1_S1_S1_S1_PKiPfP15HIP_vector_typeIfLj2EEffffjfiS5_IjLj3EEiiiiiiiiiiiliiliiiiil,comdat
	.globl	_ZL15flash_attn_tileILi256ELi256ELi2ELi1ELb0EEvPKcS1_S1_S1_S1_PKiPfP15HIP_vector_typeIfLj2EEffffjfiS5_IjLj3EEiiiiiiiiiiiliiliiiiil ; -- Begin function _ZL15flash_attn_tileILi256ELi256ELi2ELi1ELb0EEvPKcS1_S1_S1_S1_PKiPfP15HIP_vector_typeIfLj2EEffffjfiS5_IjLj3EEiiiiiiiiiiiliiliiiiil
	.p2align	8
	.type	_ZL15flash_attn_tileILi256ELi256ELi2ELi1ELb0EEvPKcS1_S1_S1_S1_PKiPfP15HIP_vector_typeIfLj2EEffffjfiS5_IjLj3EEiiiiiiiiiiiliiliiiiil,@function
_ZL15flash_attn_tileILi256ELi256ELi2ELi1ELb0EEvPKcS1_S1_S1_S1_PKiPfP15HIP_vector_typeIfLj2EEffffjfiS5_IjLj3EEiiiiiiiiiiiliiliiiiil: ; @_ZL15flash_attn_tileILi256ELi256ELi2ELi1ELb0EEvPKcS1_S1_S1_S1_PKiPfP15HIP_vector_typeIfLj2EEffffjfiS5_IjLj3EEiiiiiiiiiiiliiliiiiil
; %bb.0:
	s_load_dwordx4 s[36:39], s[4:5], 0x5c
	s_load_dwordx2 s[14:15], s[4:5], 0x80
	s_add_u32 flat_scratch_lo, s6, s11
	s_addc_u32 flat_scratch_hi, s7, 0
	s_add_u32 s0, s0, s11
	s_waitcnt lgkmcnt(0)
	v_cvt_f32_u32_e32 v1, s39
	s_addc_u32 s1, s1, 0
	s_sub_i32 s6, 0, s39
	s_load_dwordx16 s[16:31], s[4:5], 0x0
	v_rcp_iflag_f32_e32 v1, v1
	s_load_dwordx2 s[46:47], s[4:5], 0xb8
	s_mov_b64 s[44:45], 0
	v_mul_f32_e32 v1, 0x4f7ffffe, v1
	v_cvt_u32_f32_e32 v1, v1
	v_readfirstlane_b32 s7, v1
	s_mul_i32 s6, s6, s7
	s_mul_hi_u32 s6, s7, s6
	s_add_i32 s7, s7, s6
	s_mul_hi_u32 s6, s10, s7
	s_mul_i32 s7, s6, s39
	s_sub_i32 s7, s10, s7
	s_add_i32 s11, s6, 1
	s_sub_i32 s12, s7, s39
	s_cmp_ge_u32 s7, s39
	s_cselect_b32 s6, s11, s6
	s_cselect_b32 s7, s12, s7
	s_add_i32 s11, s6, 1
	s_cmp_ge_u32 s7, s39
	s_cselect_b32 s33, s11, s6
	s_abs_i32 s6, s15
	v_cvt_f32_u32_e32 v1, s6
	s_mul_i32 s12, s33, s39
	s_sub_i32 s13, 0, s6
	s_sub_i32 s34, s10, s12
	v_rcp_iflag_f32_e32 v1, v1
	s_abs_i32 s11, s39
	s_xor_b32 s7, s39, s15
	s_ashr_i32 s7, s7, 31
	v_mul_f32_e32 v1, 0x4f7ffffe, v1
	v_cvt_u32_f32_e32 v1, v1
	v_readfirstlane_b32 s10, v1
	s_mul_i32 s13, s13, s10
	s_mul_hi_u32 s12, s10, s13
	s_add_i32 s10, s10, s12
	s_mul_hi_u32 s10, s11, s10
	s_mul_i32 s12, s10, s6
	s_sub_i32 s11, s11, s12
	s_add_i32 s13, s10, 1
	s_sub_i32 s12, s11, s6
	s_cmp_ge_u32 s11, s6
	s_cselect_b32 s10, s13, s10
	s_cselect_b32 s11, s12, s11
	s_add_i32 s12, s10, 1
	s_cmp_ge_u32 s11, s6
	s_cselect_b32 s6, s12, s10
	s_xor_b32 s6, s6, s7
	s_sub_i32 s15, s6, s7
	s_abs_i32 s48, s15
	v_cvt_f32_u32_e32 v1, s48
	s_sub_i32 s7, 0, s48
	s_waitcnt lgkmcnt(0)
	s_cmp_eq_u64 s[22:23], 0
	v_rcp_iflag_f32_e32 v1, v1
	v_mul_f32_e32 v1, 0x4f7ffffe, v1
	v_cvt_u32_f32_e32 v1, v1
	v_readfirstlane_b32 s6, v1
	s_mul_i32 s7, s7, s6
	s_mul_hi_u32 s7, s6, s7
	s_cbranch_scc1 .LBB55_2
; %bb.1:
	s_abs_i32 s12, s46
	v_cvt_f32_u32_e32 v1, s12
	s_sub_i32 s40, 0, s12
	s_abs_i32 s35, s33
	s_ashr_i32 s13, s33, 31
	v_rcp_iflag_f32_e32 v1, v1
	s_load_dwordx2 s[10:11], s[4:5], 0xc8
	v_mul_f32_e32 v1, 0x4f7ffffe, v1
	v_cvt_u32_f32_e32 v1, v1
	v_readfirstlane_b32 s41, v1
	s_mul_i32 s40, s40, s41
	s_mul_hi_u32 s40, s41, s40
	s_add_i32 s41, s41, s40
	s_mul_hi_u32 s40, s35, s41
	s_mul_i32 s40, s40, s12
	s_sub_i32 s35, s35, s40
	s_sub_i32 s40, s35, s12
	s_cmp_ge_u32 s35, s12
	s_cselect_b32 s35, s40, s35
	s_sub_i32 s40, s35, s12
	s_cmp_ge_u32 s35, s12
	s_cselect_b32 s12, s40, s35
	s_xor_b32 s12, s12, s13
	s_sub_i32 s12, s12, s13
	s_ashr_i32 s13, s12, 31
	s_waitcnt lgkmcnt(0)
	s_mul_i32 s11, s12, s11
	s_mul_hi_u32 s35, s12, s10
	s_add_i32 s11, s35, s11
	s_mul_i32 s13, s13, s10
	s_add_i32 s11, s11, s13
	s_mul_i32 s12, s12, s10
	s_add_u32 s44, s22, s12
	s_addc_u32 s45, s23, s11
.LBB55_2:
	s_load_dwordx4 s[40:43], s[4:5], 0x40
	s_add_i32 s22, s6, s7
	s_load_dword s6, s[4:5], 0x50
	s_abs_i32 s23, s34
	v_mov_b32_e32 v11, 1.0
	s_waitcnt lgkmcnt(0)
	v_cmp_le_f32_e64 s[10:11], s41, 0
	s_and_b64 vcc, exec, s[10:11]
	s_cbranch_vccnz .LBB55_4
; %bb.3:
	s_sub_i32 s7, s34, s6
	s_lshl_b32 s7, s7, 1
	s_add_i32 s10, s34, 1
	s_or_b32 s11, s7, 1
	s_cmp_lt_u32 s34, s6
	s_cselect_b64 vcc, -1, 0
	s_and_b64 s[6:7], vcc, exec
	v_mov_b32_e32 v1, s43
	v_mov_b32_e32 v2, s42
	s_cselect_b32 s6, s10, s11
	v_cndmask_b32_e32 v18, v1, v2, vcc
	v_cvt_f32_i32_e32 v1, s6
	v_cmp_neq_f32_e32 vcc, 1.0, v18
	s_mov_b32 s6, 0x3f2aaaab
	s_movk_i32 s10, 0x204
	v_cndmask_b32_e32 v19, 1.0, v1, vcc
	v_cmp_eq_f32_e32 vcc, 0, v19
	v_cndmask_b32_e64 v20, |v18|, 1.0, vcc
	v_frexp_mant_f32_e32 v1, v20
	v_cmp_gt_f32_e64 s[6:7], s6, v1
	v_cndmask_b32_e64 v2, 1.0, 2.0, s[6:7]
	v_mul_f32_e32 v1, v1, v2
	v_add_f32_e32 v2, 1.0, v1
	v_rcp_f32_e32 v10, v2
	v_add_f32_e32 v3, -1.0, v2
	v_sub_f32_e32 v5, v1, v3
	v_add_f32_e32 v3, -1.0, v1
	v_mul_f32_e32 v1, v3, v10
	v_mul_f32_e32 v4, v2, v1
	v_fma_f32 v6, v1, v2, -v4
	v_fmac_f32_e32 v6, v1, v5
	v_add_f32_e32 v2, v4, v6
	v_sub_f32_e32 v5, v3, v2
	v_pk_add_f32 v[8:9], v[2:3], v[4:5] neg_lo:[0,1] neg_hi:[0,1]
	v_mov_b32_e32 v7, v2
	v_pk_add_f32 v[2:3], v[8:9], v[6:7] neg_lo:[0,1] neg_hi:[0,1]
	v_add_f32_e32 v2, v2, v3
	v_add_f32_e32 v2, v5, v2
	v_mul_f32_e32 v3, v10, v2
	v_add_f32_e32 v2, v1, v3
	v_sub_f32_e32 v1, v2, v1
	v_sub_f32_e32 v1, v3, v1
	v_mul_f32_e32 v3, v2, v2
	v_fma_f32 v5, v2, v2, -v3
	v_add_f32_e32 v4, v1, v1
	v_fmac_f32_e32 v5, v2, v4
	v_add_f32_e32 v4, v3, v5
	v_mov_b32_e32 v6, 0x3e91f4c4
	v_fmac_f32_e32 v6, 0x3e76c4e1, v4
	v_mov_b32_e32 v7, 0x3ecccdef
	v_fmac_f32_e32 v7, v4, v6
	v_sub_f32_e32 v3, v4, v3
	v_sub_f32_e32 v12, v5, v3
	v_mul_f32_e32 v3, v4, v7
	v_fma_f32 v5, v4, v7, -v3
	v_fmac_f32_e32 v5, v12, v7
	v_add_f32_e32 v6, v3, v5
	v_add_f32_e32 v7, 0x3f2aaaaa, v6
	v_sub_f32_e32 v3, v6, v3
	v_sub_f32_e32 v3, v5, v3
	v_add_f32_e32 v5, 0xbf2aaaaa, v7
	v_add_f32_e32 v3, 0x31739010, v3
	v_sub_f32_e32 v5, v6, v5
	v_pk_mul_f32 v[8:9], v[2:3], v[4:5]
	v_fma_f32 v6, v4, v2, -v8
	v_pk_add_f32 v[10:11], v[2:3], v[4:5]
	v_fmac_f32_e32 v6, v4, v1
	v_mov_b32_e32 v9, v11
	v_fmac_f32_e32 v6, v12, v2
	v_pk_add_f32 v[4:5], v[8:9], v[6:7]
	v_sub_f32_e32 v3, v4, v8
	v_sub_f32_e32 v3, v6, v3
	v_sub_f32_e32 v6, v7, v5
	v_add_f32_e32 v9, v11, v6
	v_mov_b32_e32 v6, v5
	v_pk_mul_f32 v[6:7], v[4:5], v[6:7]
	v_cvt_f64_f32_e32 v[10:11], v20
	v_frexp_exp_i32_f64_e32 v7, v[10:11]
	v_subbrev_co_u32_e64 v7, s[6:7], 0, v7, s[6:7]
	v_cvt_f32_i32_e32 v7, v7
	v_fma_f32 v8, v4, v5, -v6
	v_fmac_f32_e32 v8, v4, v9
	s_mov_b32 s6, 0x3f317218
	v_mul_f32_e32 v4, 0x3f317218, v7
	v_fmac_f32_e32 v8, v3, v5
	v_fma_f32 v10, v7, s6, -v4
	v_fmac_f32_e32 v10, 0xb102e308, v7
	v_ldexp_f32 v11, v2, 1
	v_add_f32_e32 v5, v6, v8
	v_pk_add_f32 v[2:3], v[4:5], v[10:11]
	v_mov_b32_e32 v12, v5
	v_mov_b32_e32 v13, v3
	;; [unrolled: 1-line block ×3, first 2 shown]
	v_pk_add_f32 v[6:7], v[12:13], v[6:7] neg_lo:[0,1] neg_hi:[0,1]
	v_mov_b32_e32 v9, v5
	v_ldexp_f32 v1, v1, 1
	v_pk_add_f32 v[6:7], v[8:9], v[6:7] neg_lo:[0,1] neg_hi:[0,1]
	v_add_f32_e32 v1, v1, v6
	v_add_f32_e32 v5, v1, v7
	v_pk_add_f32 v[6:7], v[2:3], v[4:5] neg_lo:[0,1] neg_hi:[0,1]
	v_pk_add_f32 v[8:9], v[2:3], v[4:5]
	v_mov_b32_e32 v12, v6
	v_mov_b32_e32 v13, v9
	v_mov_b32_e32 v11, v2
	v_pk_add_f32 v[12:13], v[10:11], v[12:13]
	v_mov_b32_e32 v4, v13
	v_pk_add_f32 v[14:15], v[4:5], v[2:3] neg_lo:[0,1] neg_hi:[0,1]
	v_mov_b32_e32 v1, v14
	v_mov_b32_e32 v12, v9
	;; [unrolled: 1-line block ×4, first 2 shown]
	v_pk_add_f32 v[6:7], v[10:11], v[6:7] neg_lo:[0,1] neg_hi:[0,1]
	v_pk_add_f32 v[16:17], v[8:9], v[0:1] neg_lo:[0,1] neg_hi:[0,1]
	;; [unrolled: 1-line block ×3, first 2 shown]
	v_mov_b32_e32 v10, v5
	v_pk_add_f32 v[2:3], v[10:11], v[2:3] neg_lo:[0,1] neg_hi:[0,1]
	v_mov_b32_e32 v16, v6
	v_pk_add_f32 v[8:9], v[16:17], v[2:3]
	v_mov_b32_e32 v10, v9
	v_pk_add_f32 v[10:11], v[8:9], v[10:11]
	v_pk_add_f32 v[4:5], v[4:5], v[10:11]
	v_mov_b32_e32 v7, v13
	v_mov_b32_e32 v9, v4
	v_pk_add_f32 v[12:13], v[8:9], v[6:7] neg_lo:[0,1] neg_hi:[0,1]
	v_mov_b32_e32 v3, v10
	v_sub_f32_e32 v1, v8, v12
	v_pk_add_f32 v[2:3], v[2:3], v[12:13] neg_lo:[0,1] neg_hi:[0,1]
	v_sub_f32_e32 v1, v6, v1
	v_add_f32_e32 v1, v2, v1
	v_add_f32_e32 v1, v1, v3
	;; [unrolled: 1-line block ×3, first 2 shown]
	v_sub_f32_e32 v3, v2, v4
	v_sub_f32_e32 v1, v1, v3
	v_mul_f32_e32 v3, v19, v2
	v_fma_f32 v2, v19, v2, -v3
	v_fmac_f32_e32 v2, v19, v1
	v_add_f32_e32 v1, v3, v2
	v_cmp_class_f32_e64 s[6:7], v3, s10
	v_sub_f32_e32 v4, v1, v3
	v_cndmask_b32_e64 v1, v1, v3, s[6:7]
	s_mov_b32 s12, 0x42b17218
	v_mov_b32_e32 v3, 0x37000000
	v_cmp_eq_f32_e64 s[6:7], s12, v1
	v_cndmask_b32_e64 v3, 0, v3, s[6:7]
	v_sub_f32_e32 v2, v2, v4
	v_sub_f32_e32 v4, v1, v3
	s_mov_b32 s6, 0x3fb8aa3b
	v_mul_f32_e32 v5, 0x3fb8aa3b, v4
	v_fma_f32 v6, v4, s6, -v5
	v_rndne_f32_e32 v7, v5
	v_fmac_f32_e32 v6, 0x32a5705f, v4
	v_sub_f32_e32 v5, v5, v7
	v_add_f32_e32 v5, v5, v6
	v_exp_f32_e32 v5, v5
	v_cvt_i32_f32_e32 v6, v7
	s_mov_b32 s11, 0x7f800000
	v_cmp_neq_f32_e64 s[6:7], |v1|, s11
	v_cndmask_b32_e64 v1, 0, v2, s[6:7]
	s_mov_b32 s6, 0xc2ce8ed0
	v_ldexp_f32 v2, v5, v6
	v_cmp_ngt_f32_e64 s[6:7], s6, v4
	v_add_f32_e32 v1, v3, v1
	v_cndmask_b32_e64 v2, 0, v2, s[6:7]
	v_mov_b32_e32 v3, 0x7f800000
	v_cmp_nlt_f32_e64 s[6:7], s12, v4
	v_cndmask_b32_e64 v2, v3, v2, s[6:7]
	v_fma_f32 v1, v2, v1, v2
	v_cmp_class_f32_e64 s[6:7], v2, s10
	v_trunc_f32_e32 v4, v19
	v_cndmask_b32_e64 v1, v1, v2, s[6:7]
	v_cndmask_b32_e64 v2, v18, 1.0, vcc
	v_cmp_eq_f32_e32 vcc, v4, v19
	v_mul_f32_e32 v4, 0.5, v19
	v_trunc_f32_e32 v6, v4
	v_cmp_neq_f32_e64 s[6:7], v6, v4
	s_and_b64 s[6:7], vcc, s[6:7]
	v_cndmask_b32_e64 v4, 1.0, v2, s[6:7]
	s_brev_b32 s35, -2
	v_mov_b32_e32 v5, 0x7fc00000
	v_bfi_b32 v1, s35, v1, v4
	v_cndmask_b32_e32 v4, v5, v1, vcc
	v_cmp_gt_f32_e32 vcc, 0, v2
	v_cndmask_b32_e32 v1, v1, v4, vcc
	v_cmp_eq_f32_e32 vcc, s11, v20
	v_cmp_eq_f32_e64 s[10:11], 0, v2
	v_cmp_gt_f32_e64 s[12:13], 0, v19
	s_xor_b64 s[12:13], s[12:13], s[10:11]
	v_cndmask_b32_e64 v3, v3, 0, s[12:13]
	v_cndmask_b32_e64 v4, 0, v2, s[6:7]
	v_bfi_b32 v3, s35, v3, v4
	s_or_b64 vcc, vcc, s[10:11]
	v_cndmask_b32_e32 v1, v1, v3, vcc
	v_cmp_o_f32_e32 vcc, v2, v2
	v_cndmask_b32_e32 v11, v5, v1, vcc
.LBB55_4:
	v_bfe_u32 v37, v0, 10, 10
	v_lshlrev_b32_e32 v38, 7, v37
	v_and_b32_e32 v5, 0x3ff, v0
	v_and_b32_e32 v2, 0x180, v38
	v_lshlrev_b32_e32 v4, 2, v5
	s_lshl_b32 s6, s8, 1
	v_lshrrev_b32_e32 v1, 2, v37
	v_add_u32_e32 v0, v2, v4
	s_movk_i32 s7, 0x100
	s_mul_hi_u32 s10, s23, s22
	v_cmp_gt_u32_e32 vcc, s7, v0
	v_add_u32_e32 v36, s6, v1
	v_lshlrev_b32_e32 v39, 2, v4
	s_and_saveexec_b64 s[6:7], vcc
	s_cbranch_execz .LBB55_6
; %bb.5:
	s_load_dwordx4 s[52:55], s[4:5], 0x70
	v_mul_hi_u32 v0, s36, v36
	v_add_u32_e32 v0, v36, v0
	v_lshrrev_b32_e32 v0, s37, v0
	v_mul_lo_u32 v0, v0, s38
	s_waitcnt lgkmcnt(0)
	s_mul_i32 s11, s33, s54
	s_ashr_i32 s13, s11, 31
	s_mul_i32 s12, s34, s53
	s_add_u32 s11, s16, s11
	s_addc_u32 s13, s17, s13
	s_ashr_i32 s16, s12, 31
	s_add_u32 s11, s11, s12
	s_addc_u32 s16, s13, s16
	v_sub_u32_e32 v3, v36, v0
	s_ashr_i32 s17, s52, 31
	v_mov_b32_e32 v0, s52
	v_alignbit_b32 v0, s17, v0, 2
	v_mad_u64_u32 v[6:7], s[12:13], v0, v3, 0
	v_mov_b32_e32 v0, v7
	s_lshr_b32 s12, s17, 2
	v_mad_u64_u32 v[8:9], s[12:13], s12, v3, v[0:1]
	v_mov_b32_e32 v7, v8
	v_lshlrev_b64 v[6:7], 2, v[6:7]
	v_mov_b32_e32 v0, s16
	v_add_co_u32_e32 v3, vcc, s11, v6
	v_addc_co_u32_e32 v0, vcc, v0, v7, vcc
	v_lshlrev_b32_e32 v2, 2, v2
	v_add_co_u32_e32 v2, vcc, v3, v2
	v_addc_co_u32_e32 v0, vcc, 0, v0, vcc
	v_add_co_u32_e32 v2, vcc, v2, v39
	v_addc_co_u32_e32 v3, vcc, 0, v0, vcc
	global_load_dwordx4 v[6:9], v[2:3], off
	v_lshlrev_b32_e32 v0, 6, v37
	v_lshlrev_b32_e32 v10, 7, v1
	v_and_b32_e32 v12, 0xc0, v0
	s_waitcnt vmcnt(0)
	v_pk_mul_f32 v[0:1], v[6:7], s[40:41] op_sel_hi:[1,0]
	v_pk_mul_f32 v[2:3], v[8:9], s[40:41] op_sel_hi:[1,0]
	v_cvt_f16_f32_e32 v6, v1
	v_cvt_f16_f32_e32 v1, v3
	;; [unrolled: 1-line block ×4, first 2 shown]
	v_lshl_add_u32 v3, v5, 1, v12
	v_add_lshl_u32 v3, v3, v10, 2
	v_pack_b32_f16 v1, v2, v1
	v_pack_b32_f16 v0, v0, v6
	ds_write_b64 v3, v[0:1] offset:18432
.LBB55_6:
	s_or_b64 exec, exec, s[6:7]
	s_ashr_i32 s35, s34, 31
	s_ashr_i32 s6, s15, 31
	s_cmp_eq_u64 s[26:27], 0
	s_waitcnt lgkmcnt(0)
	s_barrier
	s_cbranch_scc1 .LBB55_8
; %bb.7:
	s_load_dword s7, s[4:5], 0xd0
	s_mov_b32 s13, 0
	s_waitcnt lgkmcnt(0)
	s_mul_i32 s7, s7, s33
	s_add_i32 s12, s7, s8
	s_lshl_b64 s[12:13], s[12:13], 2
	s_add_u32 s12, s26, s12
	s_addc_u32 s13, s27, s13
	s_load_dword s14, s[12:13], 0x0
.LBB55_8:
	s_nop 0
	s_load_dwordx2 s[12:13], s[4:5], 0x8c
	s_load_dwordx4 s[40:43], s[4:5], 0x98
	s_load_dwordx2 s[16:17], s[4:5], 0xa8
	s_ashr_i32 s7, s33, 31
	s_ashr_i32 s22, s47, 1
	s_waitcnt lgkmcnt(0)
	s_ashr_i32 s15, s12, 2
	s_mul_i32 s11, s33, s41
	s_mul_hi_u32 s12, s33, s40
	s_add_i32 s11, s12, s11
	s_mul_i32 s12, s7, s40
	s_ashr_i32 s8, s42, 2
	s_add_i32 s11, s11, s12
	s_mul_i32 s12, s33, s40
	s_add_u32 s12, s18, s12
	s_mul_i32 s18, s10, s48
	s_addc_u32 s11, s19, s11
	s_sub_i32 s18, s23, s18
	s_xor_b32 s6, s35, s6
	s_add_i32 s19, s10, 1
	s_sub_i32 s23, s18, s48
	s_cmp_ge_u32 s18, s48
	s_cselect_b32 s10, s19, s10
	s_cselect_b32 s18, s23, s18
	s_add_i32 s19, s10, 1
	s_cmp_ge_u32 s18, s48
	s_cselect_b32 s10, s19, s10
	s_xor_b32 s10, s10, s6
	s_sub_i32 s6, s10, s6
	s_mul_i32 s10, s6, s13
	s_ashr_i32 s13, s10, 31
	s_add_u32 s23, s12, s10
	s_addc_u32 s26, s11, s13
	s_mul_i32 s10, s33, s17
	s_mul_hi_u32 s11, s33, s16
	s_add_i32 s10, s11, s10
	s_mul_i32 s7, s7, s16
	s_add_i32 s10, s10, s7
	s_mul_i32 s7, s33, s16
	s_add_u32 s7, s20, s7
	s_mul_i32 s6, s6, s43
	s_addc_u32 s10, s21, s10
	s_ashr_i32 s11, s6, 31
	s_add_u32 s18, s7, s6
	s_addc_u32 s19, s10, s11
	s_lshl_b32 s20, s9, 7
	s_add_i32 s21, s14, 0xffffff80
	v_mul_lo_u32 v6, s8, v37
	s_cmp_ge_i32 s20, s21
	v_mov_b32_e32 v3, 0
	v_lshlrev_b32_e32 v40, 2, v37
	v_lshrrev_b32_e32 v45, 3, v5
	v_and_b32_e32 v10, 28, v4
	v_lshlrev_b32_e32 v44, 5, v37
	v_and_b32_e32 v42, 3, v5
	v_ashrrev_i32_e32 v7, 31, v6
	v_and_b32_e32 v41, 3, v37
	v_mbcnt_lo_u32_b32 v43, -1, 0
	s_cbranch_scc1 .LBB55_16
; %bb.9:
	v_and_b32_e32 v15, 0x7f80, v44
	v_mov_b32_e32 v12, 0x4800
	v_lshl_add_u32 v51, v15, 2, v12
	v_mul_hi_u32 v12, s36, v36
	v_add_u32_e32 v0, v45, v40
	v_lshlrev_b32_e32 v2, 2, v10
	s_movk_i32 s6, 0x90
	v_add_u32_e32 v12, v36, v12
	v_mad_u32_u24 v46, v0, s6, v2
	v_mul_lo_u32 v2, s15, v0
	s_lshl_b32 s6, s15, 5
	v_lshrrev_b32_e32 v12, s37, v12
	v_add_u32_e32 v8, s6, v2
	v_and_b32_e32 v14, 0x60, v44
	v_mul_lo_u32 v12, v12, s38
	v_mov_b32_e32 v1, 0
	v_add_u32_e32 v18, s6, v8
	v_add_u32_e32 v0, v14, v5
	v_sub_u32_e32 v12, v36, v12
	v_add_u32_e32 v20, s6, v18
	v_mad_u64_u32 v[12:13], s[6:7], v12, s22, v[0:1]
	s_movk_i32 s10, 0x3fc
	v_mul_u32_u24_e32 v50, 0x90, v0
	v_and_or_b32 v0, v37, s10, v42
	v_mov_b32_e32 v13, 0x4e00
	s_cmp_lg_u64 s[44:45], 0
	v_lshl_add_u32 v53, v0, 2, v13
	v_mov_b32_e32 v0, 0x4c00
	v_lshl_add_u32 v0, v15, 1, v0
	s_cselect_b64 s[10:11], -1, 0
	s_lshl_b32 s12, s8, 3
	v_lshl_or_b32 v13, v14, 1, v0
	v_add_u32_e32 v24, s12, v6
	v_lshl_add_u32 v54, v5, 1, v13
	v_add_u32_e32 v26, s12, v24
	v_and_b32_e32 v13, 3, v37
	v_ashrrev_i32_e32 v3, 31, v2
	v_add_u32_e32 v28, s12, v26
	v_lshlrev_b32_e32 v60, 9, v13
	v_ashrrev_i32_e32 v9, 31, v8
	v_ashrrev_i32_e32 v19, 31, v18
	v_ashrrev_i32_e32 v21, 31, v20
	v_lshl_add_u32 v55, v37, 9, v39
	v_ashrrev_i32_e32 v25, 31, v24
	v_ashrrev_i32_e32 v27, 31, v26
	;; [unrolled: 1-line block ×3, first 2 shown]
	v_lshlrev_b32_e32 v59, 3, v5
	v_lshl_or_b32 v61, v13, 1, v0
	v_or_b32_e32 v0, 0x800, v60
	v_or_b32_e32 v13, 0x1000, v60
	;; [unrolled: 1-line block ×7, first 2 shown]
	s_add_u32 s12, s4, 0xd0
	v_lshlrev_b64 v[14:15], 2, v[2:3]
	v_cndmask_b32_e64 v2, 0, 1, s[10:11]
	v_add_u32_e32 v47, 0x1200, v46
	v_add_u32_e32 v48, 0x2400, v46
	;; [unrolled: 1-line block ×3, first 2 shown]
	v_cmp_eq_u32_e64 s[6:7], 0, v5
	v_add_u32_e32 v52, 0x4e00, v40
	v_add_u32_e32 v56, 0x1000, v55
	;; [unrolled: 1-line block ×4, first 2 shown]
	s_addc_u32 s13, s5, 0
	v_mov_b32_e32 v73, 0xfeffffff
	v_lshlrev_b32_e32 v62, 2, v10
	v_lshlrev_b64 v[16:17], 2, v[8:9]
	v_lshlrev_b64 v[18:19], 2, v[18:19]
	v_lshlrev_b64 v[20:21], 2, v[20:21]
	v_mbcnt_hi_u32_b32 v63, -1, v43
	s_mov_b32 s27, 0x3fb8aa3b
	s_mov_b32 s40, 0xc2ce8ed0
	;; [unrolled: 1-line block ×3, first 2 shown]
	v_lshlrev_b64 v[22:23], 2, v[6:7]
	v_lshlrev_b32_e32 v64, 2, v4
	v_lshlrev_b64 v[24:25], 2, v[24:25]
	v_lshlrev_b64 v[26:27], 2, v[26:27]
	;; [unrolled: 1-line block ×3, first 2 shown]
	v_add_u32_e32 v65, v59, v0
	v_add_u32_e32 v66, v59, v13
	;; [unrolled: 1-line block ×7, first 2 shown]
	v_cmp_ne_u32_e64 s[10:11], 1, v2
	v_mov_b32_e32 v72, 0x7f800000
	v_mov_b32_e32 v0, v1
	;; [unrolled: 1-line block ×5, first 2 shown]
.LBB55_10:                              ; =>This Inner Loop Header: Depth=1
	s_mul_hi_i32 s17, s20, s15
	s_mul_i32 s16, s20, s15
	s_lshl_b64 s[16:17], s[16:17], 2
	s_add_u32 s16, s23, s16
	s_addc_u32 s17, s26, s17
	v_mov_b32_e32 v8, s17
	v_add_co_u32_e32 v9, vcc, s16, v14
	v_addc_co_u32_e32 v30, vcc, v8, v15, vcc
	v_add_co_u32_e32 v8, vcc, v9, v62
	v_addc_co_u32_e32 v9, vcc, 0, v30, vcc
	v_mov_b32_e32 v30, s17
	v_add_co_u32_e32 v31, vcc, s16, v16
	v_addc_co_u32_e32 v32, vcc, v30, v17, vcc
	v_add_co_u32_e32 v30, vcc, v31, v62
	v_addc_co_u32_e32 v31, vcc, 0, v32, vcc
	;; [unrolled: 5-line block ×3, first 2 shown]
	v_mov_b32_e32 v34, s17
	v_add_co_u32_e32 v35, vcc, s16, v20
	v_addc_co_u32_e32 v82, vcc, v34, v21, vcc
	v_add_co_u32_e32 v34, vcc, v35, v62
	global_load_dwordx4 v[74:77], v[8:9], off
	global_load_dwordx4 v[78:81], v[30:31], off
	v_addc_co_u32_e32 v35, vcc, 0, v82, vcc
	global_load_dwordx4 v[82:85], v[32:33], off
	global_load_dwordx4 v[86:89], v[34:35], off
	s_and_b64 vcc, exec, s[10:11]
	s_waitcnt vmcnt(3)
	ds_write_b128 v46, v[74:77]
	s_waitcnt vmcnt(2)
	ds_write_b128 v47, v[78:81]
	;; [unrolled: 2-line block ×4, first 2 shown]
	s_waitcnt lgkmcnt(0)
	s_barrier
	ds_read_b128 v[76:79], v50
	ds_read_b128 v[80:83], v51
	v_mov_b32_e32 v74, 0
	s_waitcnt lgkmcnt(0)
	;;#ASMSTART
	v_dot2_f32_f16 v74, v76, v80, v74
	;;#ASMEND
	;;#ASMSTART
	v_dot2_f32_f16 v74, v77, v81, v74
	;;#ASMEND
	;;#ASMSTART
	v_dot2_f32_f16 v74, v78, v82, v74
	;;#ASMEND
	;;#ASMSTART
	v_dot2_f32_f16 v74, v79, v83, v74
	;;#ASMEND
	ds_read_b128 v[76:79], v50 offset:16
	ds_read_b128 v[80:83], v51 offset:16
	s_waitcnt lgkmcnt(0)
	;;#ASMSTART
	v_dot2_f32_f16 v74, v76, v80, v74
	;;#ASMEND
	;;#ASMSTART
	v_dot2_f32_f16 v74, v77, v81, v74
	;;#ASMEND
	;;#ASMSTART
	v_dot2_f32_f16 v74, v78, v82, v74
	;;#ASMEND
	;;#ASMSTART
	v_dot2_f32_f16 v74, v79, v83, v74
	;;#ASMEND
	ds_read_b128 v[76:79], v50 offset:32
	ds_read_b128 v[80:83], v51 offset:32
	;; [unrolled: 15-line block ×7, first 2 shown]
	s_waitcnt lgkmcnt(0)
	;;#ASMSTART
	v_dot2_f32_f16 v74, v76, v80, v74
	;;#ASMEND
	;;#ASMSTART
	v_dot2_f32_f16 v74, v77, v81, v74
	;;#ASMEND
	;; [unrolled: 3-line block ×4, first 2 shown]
	s_barrier
	global_load_dwordx4 v[76:79], v[8:9], off offset:128
	global_load_dwordx4 v[80:83], v[30:31], off offset:128
	;; [unrolled: 1-line block ×4, first 2 shown]
	s_waitcnt vmcnt(3)
	ds_write_b128 v46, v[76:79]
	s_waitcnt vmcnt(2)
	ds_write_b128 v47, v[80:83]
	;; [unrolled: 2-line block ×4, first 2 shown]
	s_waitcnt lgkmcnt(0)
	s_barrier
	ds_read_b128 v[76:79], v50
	ds_read_b128 v[80:83], v51 offset:128
	s_waitcnt lgkmcnt(0)
	;;#ASMSTART
	v_dot2_f32_f16 v74, v76, v80, v74
	;;#ASMEND
	;;#ASMSTART
	v_dot2_f32_f16 v74, v77, v81, v74
	;;#ASMEND
	;;#ASMSTART
	v_dot2_f32_f16 v74, v78, v82, v74
	;;#ASMEND
	;;#ASMSTART
	v_dot2_f32_f16 v74, v79, v83, v74
	;;#ASMEND
	ds_read_b128 v[76:79], v50 offset:16
	ds_read_b128 v[80:83], v51 offset:144
	s_waitcnt lgkmcnt(0)
	;;#ASMSTART
	v_dot2_f32_f16 v74, v76, v80, v74
	;;#ASMEND
	;;#ASMSTART
	v_dot2_f32_f16 v74, v77, v81, v74
	;;#ASMEND
	;;#ASMSTART
	v_dot2_f32_f16 v74, v78, v82, v74
	;;#ASMEND
	;;#ASMSTART
	v_dot2_f32_f16 v74, v79, v83, v74
	;;#ASMEND
	ds_read_b128 v[76:79], v50 offset:32
	;; [unrolled: 15-line block ×7, first 2 shown]
	ds_read_b128 v[80:83], v51 offset:240
	s_waitcnt lgkmcnt(0)
	;;#ASMSTART
	v_dot2_f32_f16 v74, v76, v80, v74
	;;#ASMEND
	;;#ASMSTART
	v_dot2_f32_f16 v74, v77, v81, v74
	;;#ASMEND
	;; [unrolled: 3-line block ×4, first 2 shown]
	s_barrier
	global_load_dwordx4 v[76:79], v[8:9], off offset:256
	global_load_dwordx4 v[80:83], v[30:31], off offset:256
	;; [unrolled: 1-line block ×4, first 2 shown]
	s_waitcnt vmcnt(3)
	ds_write_b128 v46, v[76:79]
	s_waitcnt vmcnt(2)
	ds_write_b128 v47, v[80:83]
	;; [unrolled: 2-line block ×4, first 2 shown]
	s_waitcnt lgkmcnt(0)
	s_barrier
	ds_read_b128 v[76:79], v50
	ds_read_b128 v[80:83], v51 offset:256
	s_waitcnt lgkmcnt(0)
	;;#ASMSTART
	v_dot2_f32_f16 v74, v76, v80, v74
	;;#ASMEND
	;;#ASMSTART
	v_dot2_f32_f16 v74, v77, v81, v74
	;;#ASMEND
	;;#ASMSTART
	v_dot2_f32_f16 v74, v78, v82, v74
	;;#ASMEND
	;;#ASMSTART
	v_dot2_f32_f16 v74, v79, v83, v74
	;;#ASMEND
	ds_read_b128 v[76:79], v50 offset:16
	ds_read_b128 v[80:83], v51 offset:272
	s_waitcnt lgkmcnt(0)
	;;#ASMSTART
	v_dot2_f32_f16 v74, v76, v80, v74
	;;#ASMEND
	;;#ASMSTART
	v_dot2_f32_f16 v74, v77, v81, v74
	;;#ASMEND
	;;#ASMSTART
	v_dot2_f32_f16 v74, v78, v82, v74
	;;#ASMEND
	;;#ASMSTART
	v_dot2_f32_f16 v74, v79, v83, v74
	;;#ASMEND
	ds_read_b128 v[76:79], v50 offset:32
	;; [unrolled: 15-line block ×7, first 2 shown]
	ds_read_b128 v[80:83], v51 offset:368
	s_waitcnt lgkmcnt(0)
	;;#ASMSTART
	v_dot2_f32_f16 v74, v76, v80, v74
	;;#ASMEND
	;;#ASMSTART
	v_dot2_f32_f16 v74, v77, v81, v74
	;;#ASMEND
	;; [unrolled: 3-line block ×4, first 2 shown]
	s_barrier
	global_load_dwordx4 v[76:79], v[8:9], off offset:384
	global_load_dwordx4 v[80:83], v[30:31], off offset:384
	;; [unrolled: 1-line block ×4, first 2 shown]
	v_mov_b32_e32 v8, 0
	s_waitcnt vmcnt(3)
	ds_write_b128 v46, v[76:79]
	s_waitcnt vmcnt(2)
	ds_write_b128 v47, v[80:83]
	;; [unrolled: 2-line block ×4, first 2 shown]
	s_waitcnt lgkmcnt(0)
	s_barrier
	ds_read_b128 v[30:33], v50
	ds_read_b128 v[76:79], v51 offset:384
	s_waitcnt lgkmcnt(0)
	;;#ASMSTART
	v_dot2_f32_f16 v74, v30, v76, v74
	;;#ASMEND
	;;#ASMSTART
	v_dot2_f32_f16 v74, v31, v77, v74
	;;#ASMEND
	;;#ASMSTART
	v_dot2_f32_f16 v74, v32, v78, v74
	;;#ASMEND
	;;#ASMSTART
	v_dot2_f32_f16 v74, v33, v79, v74
	;;#ASMEND
	ds_read_b128 v[30:33], v50 offset:16
	ds_read_b128 v[76:79], v51 offset:400
	s_waitcnt lgkmcnt(0)
	;;#ASMSTART
	v_dot2_f32_f16 v74, v30, v76, v74
	;;#ASMEND
	;;#ASMSTART
	v_dot2_f32_f16 v74, v31, v77, v74
	;;#ASMEND
	;;#ASMSTART
	v_dot2_f32_f16 v74, v32, v78, v74
	;;#ASMEND
	;;#ASMSTART
	v_dot2_f32_f16 v74, v33, v79, v74
	;;#ASMEND
	ds_read_b128 v[30:33], v50 offset:32
	;; [unrolled: 15-line block ×7, first 2 shown]
	ds_read_b128 v[76:79], v51 offset:496
	s_waitcnt lgkmcnt(0)
	;;#ASMSTART
	v_dot2_f32_f16 v74, v30, v76, v74
	;;#ASMEND
	;;#ASMSTART
	v_dot2_f32_f16 v74, v31, v77, v74
	;;#ASMEND
	;; [unrolled: 3-line block ×4, first 2 shown]
	s_cbranch_vccnz .LBB55_12
; %bb.11:                               ;   in Loop: Header=BB55_10 Depth=1
	v_add_u32_e32 v8, s20, v12
	v_ashrrev_i32_e32 v9, 31, v8
	v_lshlrev_b64 v[8:9], 1, v[8:9]
	v_mov_b32_e32 v30, s45
	v_add_co_u32_e32 v8, vcc, s44, v8
	v_addc_co_u32_e32 v9, vcc, v30, v9, vcc
	flat_load_ushort v8, v[8:9]
	s_waitcnt vmcnt(0) lgkmcnt(0)
	v_cvt_f32_f16_e32 v8, v8
	v_mul_f32_e32 v8, v11, v8
.LBB55_12:                              ;   in Loop: Header=BB55_10 Depth=1
	v_add_f32_e32 v9, v74, v8
	v_add_f32_e32 v8, 0x40051340, v9
	v_max_f32_e32 v30, v73, v73
	v_max_f32_e32 v8, v30, v8
	v_and_b32_e32 v30, 0x60, v63
	v_add_u32_e32 v32, 32, v30
	v_xor_b32_e32 v30, 16, v63
	v_cmp_lt_i32_e32 vcc, v30, v32
	v_cndmask_b32_e32 v30, v63, v30, vcc
	v_lshlrev_b32_e32 v30, 2, v30
	ds_bpermute_b32 v30, v30, v8
	s_waitcnt lgkmcnt(0)
	v_max_f32_e32 v30, v30, v30
	v_max_f32_e32 v8, v8, v30
	v_xor_b32_e32 v30, 8, v63
	v_cmp_lt_i32_e32 vcc, v30, v32
	v_cndmask_b32_e32 v30, v63, v30, vcc
	v_lshlrev_b32_e32 v30, 2, v30
	ds_bpermute_b32 v30, v30, v8
	s_waitcnt lgkmcnt(0)
	v_max_f32_e32 v30, v30, v30
	v_max_f32_e32 v8, v8, v30
	v_xor_b32_e32 v30, 4, v63
	v_cmp_lt_i32_e32 vcc, v30, v32
	v_cndmask_b32_e32 v30, v63, v30, vcc
	v_lshlrev_b32_e32 v30, 2, v30
	ds_bpermute_b32 v30, v30, v8
	s_waitcnt lgkmcnt(0)
	v_max_f32_e32 v30, v30, v30
	v_max_f32_e32 v30, v8, v30
	v_xor_b32_e32 v8, 2, v63
	v_cmp_lt_i32_e32 vcc, v8, v32
	v_cndmask_b32_e32 v31, v63, v8, vcc
	v_lshlrev_b32_e32 v31, 2, v31
	ds_bpermute_b32 v31, v31, v30
	s_waitcnt lgkmcnt(0)
	v_max_f32_e32 v31, v31, v31
	v_max_f32_e32 v31, v30, v31
	v_xor_b32_e32 v30, 1, v63
	v_cmp_lt_i32_e32 vcc, v30, v32
	v_cndmask_b32_e32 v32, v63, v30, vcc
	v_lshlrev_b32_e32 v32, 2, v32
	ds_bpermute_b32 v32, v32, v31
	s_and_saveexec_b64 s[16:17], s[6:7]
	s_cbranch_execz .LBB55_14
; %bb.13:                               ;   in Loop: Header=BB55_10 Depth=1
	s_waitcnt lgkmcnt(0)
	v_max_f32_e32 v32, v32, v32
	v_max_f32_e32 v31, v31, v31
	;; [unrolled: 1-line block ×3, first 2 shown]
	ds_write_b32 v52, v31
.LBB55_14:                              ;   in Loop: Header=BB55_10 Depth=1
	s_or_b64 exec, exec, s[16:17]
	s_waitcnt lgkmcnt(0)
	s_barrier
	ds_read_b32 v31, v53
	v_and_b32_e32 v32, 0x7c, v63
	v_add_u32_e32 v32, 4, v32
	v_cmp_lt_i32_e32 vcc, v8, v32
	v_cndmask_b32_e32 v8, v63, v8, vcc
	v_lshlrev_b32_e32 v8, 2, v8
	s_waitcnt lgkmcnt(0)
	ds_bpermute_b32 v8, v8, v31
	v_cmp_lt_i32_e32 vcc, v30, v32
	v_max_f32_e32 v31, v31, v31
	v_cndmask_b32_e32 v30, v63, v30, vcc
	v_lshlrev_b32_e32 v30, 2, v30
	s_waitcnt lgkmcnt(0)
	v_max_f32_e32 v8, v8, v8
	v_max_f32_e32 v8, v31, v8
	ds_bpermute_b32 v30, v30, v8
	s_mul_hi_i32 s17, s20, s8
	s_mul_i32 s16, s20, s8
	s_lshl_b64 s[16:17], s[16:17], 2
	s_add_u32 s16, s18, s16
	s_waitcnt lgkmcnt(0)
	v_max_f32_e32 v30, v30, v30
	v_max_f32_e32 v8, v8, v30
	v_sub_f32_e32 v30, v73, v8
	v_mul_f32_e32 v31, 0x3fb8aa3b, v30
	v_fma_f32 v32, v30, s27, -v31
	v_rndne_f32_e32 v33, v31
	v_fmac_f32_e32 v32, 0x32a5705f, v30
	v_sub_f32_e32 v31, v31, v33
	v_add_f32_e32 v31, v31, v32
	v_exp_f32_e32 v31, v31
	v_cvt_i32_f32_e32 v32, v33
	v_cmp_ngt_f32_e32 vcc, s40, v30
	v_sub_f32_e32 v9, v9, v8
	s_addc_u32 s17, s19, s17
	v_ldexp_f32 v31, v31, v32
	v_cndmask_b32_e32 v31, 0, v31, vcc
	v_cmp_nlt_f32_e32 vcc, s41, v30
	v_cndmask_b32_e32 v30, v72, v31, vcc
	v_mul_f32_e32 v31, 0x3fb8aa3b, v9
	v_fma_f32 v32, v9, s27, -v31
	v_rndne_f32_e32 v33, v31
	v_fmac_f32_e32 v32, 0x32a5705f, v9
	v_sub_f32_e32 v31, v31, v33
	v_add_f32_e32 v31, v31, v32
	v_exp_f32_e32 v31, v31
	v_cvt_i32_f32_e32 v32, v33
	v_cvt_f16_f32_e32 v34, v30
	v_cmp_ngt_f32_e32 vcc, s40, v9
	v_ldexp_f32 v31, v31, v32
	v_cndmask_b32_e32 v31, 0, v31, vcc
	v_cmp_nlt_f32_e32 vcc, s41, v9
	v_cndmask_b32_e32 v9, v72, v31, vcc
	v_pk_mul_f16 v35, v2, v34 op_sel_hi:[1,0]
	v_cvt_f16_f32_e32 v2, v9
	v_pk_mul_f16 v73, v34, v3 op_sel_hi:[0,1]
	v_mov_b32_e32 v3, s17
	v_fma_f32 v13, v13, v30, v9
	ds_write_b16 v54, v2
	v_add_co_u32_e32 v2, vcc, s16, v22
	v_addc_co_u32_e32 v3, vcc, v3, v23, vcc
	v_add_co_u32_e32 v2, vcc, v2, v64
	v_addc_co_u32_e32 v3, vcc, 0, v3, vcc
	global_load_dwordx4 v[30:33], v[2:3], off
	v_add_co_u32_e32 v2, vcc, s16, v24
	v_mov_b32_e32 v3, s17
	v_addc_co_u32_e32 v3, vcc, v3, v25, vcc
	v_add_co_u32_e32 v2, vcc, v2, v64
	v_addc_co_u32_e32 v3, vcc, 0, v3, vcc
	s_waitcnt vmcnt(0)
	ds_write_b128 v55, v[30:33]
	global_load_dwordx4 v[30:33], v[2:3], off
	v_add_co_u32_e32 v2, vcc, s16, v26
	v_mov_b32_e32 v3, s17
	v_addc_co_u32_e32 v3, vcc, v3, v27, vcc
	v_add_co_u32_e32 v2, vcc, v2, v64
	v_addc_co_u32_e32 v3, vcc, 0, v3, vcc
	s_waitcnt vmcnt(0)
	ds_write_b128 v56, v[30:33]
	global_load_dwordx4 v[30:33], v[2:3], off
	v_add_co_u32_e32 v2, vcc, s16, v28
	v_mov_b32_e32 v3, s17
	v_addc_co_u32_e32 v3, vcc, v3, v29, vcc
	v_add_co_u32_e32 v2, vcc, v2, v64
	v_addc_co_u32_e32 v3, vcc, 0, v3, vcc
	s_or_b32 s16, s20, 32
	s_mul_hi_i32 s17, s16, s8
	s_mul_i32 s16, s16, s8
	s_lshl_b64 s[16:17], s[16:17], 2
	s_add_u32 s16, s18, s16
	s_addc_u32 s17, s19, s17
	s_waitcnt vmcnt(0)
	ds_write_b128 v57, v[30:33]
	global_load_dwordx4 v[30:33], v[2:3], off
	v_add_u32_e32 v2, v59, v60
	s_waitcnt vmcnt(0)
	ds_write_b128 v58, v[30:33]
	s_waitcnt lgkmcnt(0)
	s_barrier
	ds_read2_b64 v[30:33], v2 offset1:32
	ds_read_u16 v3, v61
	ds_read_u16 v9, v61 offset:8
	ds_read_u16 v74, v61 offset:16
	;; [unrolled: 1-line block ×7, first 2 shown]
	s_waitcnt lgkmcnt(7)
	v_pk_mul_f16 v30, v30, v3 op_sel_hi:[1,0]
	v_pk_fma_f16 v0, v0, v34, v30 op_sel_hi:[1,0,1]
	v_pk_mul_f16 v30, v31, v3 op_sel_hi:[1,0]
	v_pk_fma_f16 v1, v1, v34, v30 op_sel_hi:[1,0,1]
	v_pk_fma_f16 v34, v32, v3, v35 op_sel_hi:[1,0,1]
	v_pk_fma_f16 v3, v33, v3, v73 op_sel_hi:[1,0,1]
	ds_read2_b64 v[30:33], v65 offset1:32
	s_waitcnt lgkmcnt(0)
	v_pk_fma_f16 v0, v30, v9, v0 op_sel_hi:[1,0,1]
	v_pk_fma_f16 v1, v31, v9, v1 op_sel_hi:[1,0,1]
	v_pk_fma_f16 v34, v32, v9, v34 op_sel_hi:[1,0,1]
	v_pk_fma_f16 v3, v33, v9, v3 op_sel_hi:[1,0,1]
	ds_read2_b64 v[30:33], v66 offset1:32
	s_waitcnt lgkmcnt(0)
	v_pk_fma_f16 v0, v30, v74, v0 op_sel_hi:[1,0,1]
	;; [unrolled: 6-line block ×6, first 2 shown]
	v_pk_fma_f16 v1, v31, v78, v1 op_sel_hi:[1,0,1]
	v_pk_fma_f16 v9, v32, v78, v9 op_sel_hi:[1,0,1]
	;; [unrolled: 1-line block ×3, first 2 shown]
	ds_read2_b64 v[30:33], v71 offset1:32
	s_waitcnt lgkmcnt(0)
	s_barrier
	v_pk_fma_f16 v34, v30, v79, v0 op_sel_hi:[1,0,1]
	v_pk_fma_f16 v35, v31, v79, v1 op_sel_hi:[1,0,1]
	v_add_co_u32_e32 v0, vcc, s16, v22
	v_mov_b32_e32 v1, s17
	v_addc_co_u32_e32 v1, vcc, v1, v23, vcc
	v_add_co_u32_e32 v0, vcc, v0, v64
	v_addc_co_u32_e32 v1, vcc, 0, v1, vcc
	v_pk_fma_f16 v9, v32, v79, v9 op_sel_hi:[1,0,1]
	v_pk_fma_f16 v3, v33, v79, v3 op_sel_hi:[1,0,1]
	global_load_dwordx4 v[30:33], v[0:1], off
	v_add_co_u32_e32 v0, vcc, s16, v24
	v_mov_b32_e32 v1, s17
	v_addc_co_u32_e32 v1, vcc, v1, v25, vcc
	v_add_co_u32_e32 v0, vcc, v0, v64
	v_addc_co_u32_e32 v1, vcc, 0, v1, vcc
	s_waitcnt vmcnt(0)
	ds_write_b128 v55, v[30:33]
	global_load_dwordx4 v[30:33], v[0:1], off
	v_add_co_u32_e32 v0, vcc, s16, v26
	v_mov_b32_e32 v1, s17
	v_addc_co_u32_e32 v1, vcc, v1, v27, vcc
	v_add_co_u32_e32 v0, vcc, v0, v64
	v_addc_co_u32_e32 v1, vcc, 0, v1, vcc
	s_waitcnt vmcnt(0)
	ds_write_b128 v56, v[30:33]
	global_load_dwordx4 v[30:33], v[0:1], off
	v_add_co_u32_e32 v0, vcc, s16, v28
	v_mov_b32_e32 v1, s17
	v_addc_co_u32_e32 v1, vcc, v1, v29, vcc
	v_add_co_u32_e32 v0, vcc, v0, v64
	v_addc_co_u32_e32 v1, vcc, 0, v1, vcc
	s_or_b32 s16, s20, 64
	s_mul_hi_i32 s17, s16, s8
	s_mul_i32 s16, s16, s8
	s_lshl_b64 s[16:17], s[16:17], 2
	s_add_u32 s16, s18, s16
	s_addc_u32 s17, s19, s17
	s_waitcnt vmcnt(0)
	ds_write_b128 v57, v[30:33]
	global_load_dwordx4 v[30:33], v[0:1], off
	s_waitcnt vmcnt(0)
	ds_write_b128 v58, v[30:33]
	s_waitcnt lgkmcnt(0)
	s_barrier
	ds_read2_b64 v[30:33], v2 offset1:32
	ds_read_u16 v0, v61 offset:64
	ds_read_u16 v1, v61 offset:72
	;; [unrolled: 1-line block ×8, first 2 shown]
	s_waitcnt lgkmcnt(7)
	v_pk_fma_f16 v34, v30, v0, v34 op_sel_hi:[1,0,1]
	v_pk_fma_f16 v35, v31, v0, v35 op_sel_hi:[1,0,1]
	v_pk_fma_f16 v9, v32, v0, v9 op_sel_hi:[1,0,1]
	v_pk_fma_f16 v0, v33, v0, v3 op_sel_hi:[1,0,1]
	ds_read2_b64 v[30:33], v65 offset1:32
	s_waitcnt lgkmcnt(0)
	v_pk_fma_f16 v3, v30, v1, v34 op_sel_hi:[1,0,1]
	v_pk_fma_f16 v34, v31, v1, v35 op_sel_hi:[1,0,1]
	v_pk_fma_f16 v9, v32, v1, v9 op_sel_hi:[1,0,1]
	v_pk_fma_f16 v0, v33, v1, v0 op_sel_hi:[1,0,1]
	ds_read2_b64 v[30:33], v66 offset1:32
	;; [unrolled: 6-line block ×7, first 2 shown]
	s_waitcnt lgkmcnt(0)
	s_barrier
	v_pk_fma_f16 v34, v30, v78, v1 op_sel_hi:[1,0,1]
	v_pk_fma_f16 v35, v33, v78, v0 op_sel_hi:[1,0,1]
	v_add_co_u32_e32 v0, vcc, s16, v22
	v_mov_b32_e32 v1, s17
	v_addc_co_u32_e32 v1, vcc, v1, v23, vcc
	v_add_co_u32_e32 v0, vcc, v0, v64
	v_addc_co_u32_e32 v1, vcc, 0, v1, vcc
	v_pk_fma_f16 v3, v31, v78, v3 op_sel_hi:[1,0,1]
	v_pk_fma_f16 v9, v32, v78, v9 op_sel_hi:[1,0,1]
	global_load_dwordx4 v[30:33], v[0:1], off
	v_add_co_u32_e32 v0, vcc, s16, v24
	v_mov_b32_e32 v1, s17
	v_addc_co_u32_e32 v1, vcc, v1, v25, vcc
	v_add_co_u32_e32 v0, vcc, v0, v64
	v_addc_co_u32_e32 v1, vcc, 0, v1, vcc
	s_waitcnt vmcnt(0)
	ds_write_b128 v55, v[30:33]
	global_load_dwordx4 v[30:33], v[0:1], off
	v_add_co_u32_e32 v0, vcc, s16, v26
	v_mov_b32_e32 v1, s17
	v_addc_co_u32_e32 v1, vcc, v1, v27, vcc
	v_add_co_u32_e32 v0, vcc, v0, v64
	v_addc_co_u32_e32 v1, vcc, 0, v1, vcc
	s_waitcnt vmcnt(0)
	ds_write_b128 v56, v[30:33]
	global_load_dwordx4 v[30:33], v[0:1], off
	v_add_co_u32_e32 v0, vcc, s16, v28
	v_mov_b32_e32 v1, s17
	v_addc_co_u32_e32 v1, vcc, v1, v29, vcc
	v_add_co_u32_e32 v0, vcc, v0, v64
	v_addc_co_u32_e32 v1, vcc, 0, v1, vcc
	s_or_b32 s16, s20, 0x60
	s_mul_hi_i32 s17, s16, s8
	s_mul_i32 s16, s16, s8
	s_lshl_b64 s[16:17], s[16:17], 2
	s_add_u32 s16, s18, s16
	s_addc_u32 s17, s19, s17
	s_waitcnt vmcnt(0)
	ds_write_b128 v57, v[30:33]
	global_load_dwordx4 v[30:33], v[0:1], off
	s_waitcnt vmcnt(0)
	ds_write_b128 v58, v[30:33]
	s_waitcnt lgkmcnt(0)
	s_barrier
	ds_read2_b64 v[30:33], v2 offset1:32
	ds_read_u16 v0, v61 offset:128
	ds_read_u16 v1, v61 offset:136
	;; [unrolled: 1-line block ×8, first 2 shown]
	s_waitcnt lgkmcnt(7)
	v_pk_fma_f16 v34, v30, v0, v34 op_sel_hi:[1,0,1]
	v_pk_fma_f16 v3, v31, v0, v3 op_sel_hi:[1,0,1]
	v_pk_fma_f16 v9, v32, v0, v9 op_sel_hi:[1,0,1]
	v_pk_fma_f16 v0, v33, v0, v35 op_sel_hi:[1,0,1]
	ds_read2_b64 v[30:33], v65 offset1:32
	s_waitcnt lgkmcnt(0)
	v_pk_fma_f16 v34, v30, v1, v34 op_sel_hi:[1,0,1]
	v_pk_fma_f16 v3, v31, v1, v3 op_sel_hi:[1,0,1]
	v_pk_fma_f16 v9, v32, v1, v9 op_sel_hi:[1,0,1]
	v_pk_fma_f16 v0, v33, v1, v0 op_sel_hi:[1,0,1]
	ds_read2_b64 v[30:33], v66 offset1:32
	;; [unrolled: 6-line block ×7, first 2 shown]
	s_waitcnt lgkmcnt(0)
	s_barrier
	v_pk_fma_f16 v34, v30, v78, v1 op_sel_hi:[1,0,1]
	v_pk_fma_f16 v73, v33, v78, v0 op_sel_hi:[1,0,1]
	v_add_co_u32_e32 v0, vcc, s16, v22
	v_mov_b32_e32 v1, s17
	v_addc_co_u32_e32 v1, vcc, v1, v23, vcc
	v_add_co_u32_e32 v0, vcc, v0, v64
	v_addc_co_u32_e32 v1, vcc, 0, v1, vcc
	v_pk_fma_f16 v35, v31, v78, v3 op_sel_hi:[1,0,1]
	v_pk_fma_f16 v9, v32, v78, v9 op_sel_hi:[1,0,1]
	global_load_dwordx4 v[30:33], v[0:1], off
	v_add_co_u32_e32 v0, vcc, s16, v24
	v_mov_b32_e32 v1, s17
	v_addc_co_u32_e32 v1, vcc, v1, v25, vcc
	v_add_co_u32_e32 v0, vcc, v0, v64
	v_addc_co_u32_e32 v1, vcc, 0, v1, vcc
	s_waitcnt vmcnt(0)
	ds_write_b128 v55, v[30:33]
	global_load_dwordx4 v[30:33], v[0:1], off
	v_add_co_u32_e32 v0, vcc, s16, v26
	v_mov_b32_e32 v1, s17
	v_addc_co_u32_e32 v1, vcc, v1, v27, vcc
	v_add_co_u32_e32 v0, vcc, v0, v64
	v_addc_co_u32_e32 v1, vcc, 0, v1, vcc
	s_waitcnt vmcnt(0)
	ds_write_b128 v56, v[30:33]
	global_load_dwordx4 v[30:33], v[0:1], off
	v_add_co_u32_e32 v0, vcc, s16, v28
	v_mov_b32_e32 v1, s17
	v_addc_co_u32_e32 v1, vcc, v1, v29, vcc
	v_add_co_u32_e32 v0, vcc, v0, v64
	v_addc_co_u32_e32 v1, vcc, 0, v1, vcc
	s_waitcnt vmcnt(0)
	ds_write_b128 v57, v[30:33]
	global_load_dwordx4 v[30:33], v[0:1], off
	s_waitcnt vmcnt(0)
	ds_write_b128 v58, v[30:33]
	s_waitcnt lgkmcnt(0)
	s_barrier
	ds_read2_b64 v[0:3], v2 offset1:32
	ds_read_u16 v30, v61 offset:192
	ds_read_u16 v31, v61 offset:200
	;; [unrolled: 1-line block ×8, first 2 shown]
	s_waitcnt lgkmcnt(7)
	v_pk_fma_f16 v34, v0, v30, v34 op_sel_hi:[1,0,1]
	v_pk_fma_f16 v35, v1, v30, v35 op_sel_hi:[1,0,1]
	v_pk_fma_f16 v9, v2, v30, v9 op_sel_hi:[1,0,1]
	v_pk_fma_f16 v30, v3, v30, v73 op_sel_hi:[1,0,1]
	ds_read2_b64 v[0:3], v65 offset1:32
	s_waitcnt lgkmcnt(0)
	v_pk_fma_f16 v34, v0, v31, v34 op_sel_hi:[1,0,1]
	v_pk_fma_f16 v35, v1, v31, v35 op_sel_hi:[1,0,1]
	v_pk_fma_f16 v9, v2, v31, v9 op_sel_hi:[1,0,1]
	v_pk_fma_f16 v30, v3, v31, v30 op_sel_hi:[1,0,1]
	ds_read2_b64 v[0:3], v66 offset1:32
	;; [unrolled: 6-line block ×7, first 2 shown]
	s_waitcnt lgkmcnt(0)
	s_barrier
	s_load_dword s16, s[12:13], 0x4
	v_pk_fma_f16 v0, v0, v77, v31 op_sel_hi:[1,0,1]
	v_pk_fma_f16 v1, v1, v77, v32 op_sel_hi:[1,0,1]
	;; [unrolled: 1-line block ×4, first 2 shown]
	s_waitcnt lgkmcnt(0)
	s_lshl_b32 s16, s16, 7
	s_add_i32 s20, s16, s20
	s_cmp_lt_i32 s20, s21
	s_cbranch_scc0 .LBB55_17
; %bb.15:                               ;   in Loop: Header=BB55_10 Depth=1
	v_mov_b32_e32 v73, v8
	s_branch .LBB55_10
.LBB55_16:
	v_mov_b32_e32 v8, 0xfeffffff
	v_mov_b32_e32 v13, 0
	;; [unrolled: 1-line block ×5, first 2 shown]
.LBB55_17:
	s_cmp_gt_i32 s14, s20
	s_cbranch_scc1 .LBB55_19
; %bb.18:
	v_mbcnt_hi_u32_b32 v12, -1, v43
	v_and_b32_e32 v9, 0x60, v12
	v_add_u32_e32 v14, 32, v9
	v_xor_b32_e32 v15, 16, v12
	v_xor_b32_e32 v16, 8, v12
	;; [unrolled: 1-line block ×5, first 2 shown]
	v_and_b32_e32 v20, 3, v37
	s_cbranch_execz .LBB55_20
	s_branch .LBB55_27
.LBB55_19:
                                        ; implicit-def: $vgpr12
                                        ; implicit-def: $vgpr14
                                        ; implicit-def: $vgpr15
                                        ; implicit-def: $vgpr16
                                        ; implicit-def: $vgpr17
                                        ; implicit-def: $vgpr18
                                        ; implicit-def: $vgpr19
                                        ; implicit-def: $vgpr20
.LBB55_20:
	s_mul_hi_i32 s7, s20, s15
	s_mul_i32 s6, s20, s15
	v_lshl_add_u32 v9, v37, 2, v45
	s_sub_i32 s16, s14, s20
	s_lshl_b64 s[6:7], s[6:7], 2
	v_mul_lo_u32 v14, s15, v9
	s_add_u32 s14, s23, s6
	v_ashrrev_i32_e32 v15, 31, v14
	s_addc_u32 s17, s26, s7
	v_lshlrev_b64 v[16:17], 2, v[14:15]
	v_mov_b32_e32 v15, s17
	v_add_co_u32_e32 v16, vcc, s14, v16
	v_lshlrev_b32_e32 v10, 2, v10
	v_addc_co_u32_e32 v15, vcc, v15, v17, vcc
	v_add_co_u32_e32 v19, vcc, v16, v10
	s_mov_b64 s[6:7], src_private_base
	v_addc_co_u32_e32 v20, vcc, 0, v15, vcc
	v_mov_b32_e32 v12, 0
	v_mov_b32_e32 v17, s7
	v_cmp_gt_i32_e32 vcc, s16, v9
	v_mov_b32_e32 v18, 0
	buffer_store_dword v12, off, s[0:3], 0
	buffer_store_dword v12, off, s[0:3], 0 offset:8
	buffer_store_dword v12, off, s[0:3], 0 offset:4
	buffer_store_dword v12, off, s[0:3], 0 offset:12
	v_cndmask_b32_e32 v23, v17, v20, vcc
	v_cndmask_b32_e32 v22, v18, v19, vcc
	flat_load_dwordx4 v[24:27], v[22:23]
	s_lshl_b32 s15, s15, 5
	v_add_u32_e32 v14, s15, v14
	v_ashrrev_i32_e32 v15, 31, v14
	s_movk_i32 s6, 0x90
	v_lshlrev_b64 v[22:23], 2, v[14:15]
	v_mad_u32_u24 v16, v9, s6, v10
	v_mov_b32_e32 v28, s17
	v_add_co_u32_e64 v15, s[6:7], s14, v22
	v_addc_co_u32_e64 v23, s[6:7], v28, v23, s[6:7]
	v_add_co_u32_e64 v22, s[6:7], v15, v10
	v_add_u32_e32 v21, 32, v9
	v_addc_co_u32_e64 v23, s[6:7], 0, v23, s[6:7]
	v_cmp_gt_i32_e64 s[6:7], s16, v21
	buffer_store_dword v12, off, s[0:3], 0
	buffer_store_dword v12, off, s[0:3], 0 offset:8
	buffer_store_dword v12, off, s[0:3], 0 offset:4
	;; [unrolled: 1-line block ×3, first 2 shown]
	v_cndmask_b32_e64 v29, v17, v23, s[6:7]
	v_cndmask_b32_e64 v28, v18, v22, s[6:7]
	v_add_u32_e32 v14, s15, v14
	v_ashrrev_i32_e32 v15, 31, v14
	v_mov_b32_e32 v30, s17
	v_add_u32_e32 v21, 64, v9
	v_cmp_gt_i32_e64 s[12:13], s16, v21
	v_mov_b32_e32 v21, s17
	v_add_u32_e32 v9, 0x60, v9
	s_movk_i32 s17, 0x80
	s_waitcnt vmcnt(0) lgkmcnt(0)
	ds_write_b128 v16, v[24:27]
	flat_load_dwordx4 v[26:29], v[28:29]
	v_lshlrev_b64 v[24:25], 2, v[14:15]
	v_add_co_u32_e64 v15, s[10:11], s14, v24
	v_addc_co_u32_e64 v25, s[10:11], v30, v25, s[10:11]
	v_add_co_u32_e64 v24, s[10:11], v15, v10
	v_addc_co_u32_e64 v25, s[10:11], 0, v25, s[10:11]
	v_cndmask_b32_e64 v31, v17, v25, s[12:13]
	v_cndmask_b32_e64 v30, v18, v24, s[12:13]
	buffer_store_dword v12, off, s[0:3], 0
	buffer_store_dword v12, off, s[0:3], 0 offset:8
	buffer_store_dword v12, off, s[0:3], 0 offset:4
	;; [unrolled: 1-line block ×3, first 2 shown]
	v_add_u32_e32 v14, s15, v14
	v_ashrrev_i32_e32 v15, 31, v14
	v_lshlrev_b64 v[14:15], 2, v[14:15]
	v_add_co_u32_e64 v14, s[10:11], s14, v14
	v_addc_co_u32_e64 v15, s[10:11], v21, v15, s[10:11]
	v_mov_b32_e32 v21, 0
	s_waitcnt vmcnt(0) lgkmcnt(0)
	ds_write_b128 v16, v[26:29] offset:4608
	flat_load_dwordx4 v[28:31], v[30:31]
	v_add_co_u32_e64 v26, s[10:11], v14, v10
	v_addc_co_u32_e64 v27, s[10:11], 0, v15, s[10:11]
	v_cmp_gt_i32_e64 s[10:11], s16, v9
	v_cndmask_b32_e64 v15, v17, v27, s[10:11]
	v_cndmask_b32_e64 v14, v18, v26, s[10:11]
	buffer_store_dword v12, off, s[0:3], 0
	buffer_store_dword v12, off, s[0:3], 0 offset:8
	buffer_store_dword v12, off, s[0:3], 0 offset:4
	;; [unrolled: 1-line block ×3, first 2 shown]
	v_and_b32_e32 v9, 0x60, v44
	v_add_u32_e32 v9, v9, v5
	v_and_b32_e32 v10, 0x7f80, v44
	v_add_co_u32_e64 v44, s[14:15], s17, v19
	v_addc_co_u32_e64 v45, s[14:15], 0, v20, s[14:15]
	v_cndmask_b32_e32 v44, v18, v44, vcc
	v_cndmask_b32_e32 v45, v17, v45, vcc
	s_waitcnt vmcnt(0) lgkmcnt(0)
	ds_write_b128 v16, v[28:31] offset:9216
	flat_load_dwordx4 v[28:31], v[14:15]
	v_mul_u32_u24_e32 v15, 0x90, v9
	v_lshlrev_b32_e32 v14, 2, v10
	s_waitcnt vmcnt(0) lgkmcnt(0)
	ds_write_b128 v16, v[28:31] offset:13824
	s_waitcnt lgkmcnt(0)
	s_barrier
	ds_read_b128 v[28:31], v15
	ds_read_b128 v[32:35], v14 offset:18432
	s_waitcnt lgkmcnt(0)
	;;#ASMSTART
	v_dot2_f32_f16 v21, v28, v32, v21
	;;#ASMEND
	;;#ASMSTART
	v_dot2_f32_f16 v21, v29, v33, v21
	;;#ASMEND
	;;#ASMSTART
	v_dot2_f32_f16 v21, v30, v34, v21
	;;#ASMEND
	;;#ASMSTART
	v_dot2_f32_f16 v21, v31, v35, v21
	;;#ASMEND
	ds_read_b128 v[28:31], v15 offset:16
	ds_read_b128 v[32:35], v14 offset:18448
	s_waitcnt lgkmcnt(0)
	;;#ASMSTART
	v_dot2_f32_f16 v21, v28, v32, v21
	;;#ASMEND
	;;#ASMSTART
	v_dot2_f32_f16 v21, v29, v33, v21
	;;#ASMEND
	;;#ASMSTART
	v_dot2_f32_f16 v21, v30, v34, v21
	;;#ASMEND
	;;#ASMSTART
	v_dot2_f32_f16 v21, v31, v35, v21
	;;#ASMEND
	ds_read_b128 v[28:31], v15 offset:32
	;; [unrolled: 15-line block ×7, first 2 shown]
	ds_read_b128 v[32:35], v14 offset:18544
	s_waitcnt lgkmcnt(0)
	;;#ASMSTART
	v_dot2_f32_f16 v21, v28, v32, v21
	;;#ASMEND
	;;#ASMSTART
	v_dot2_f32_f16 v21, v29, v33, v21
	;;#ASMEND
	;; [unrolled: 3-line block ×4, first 2 shown]
	s_barrier
	buffer_store_dword v12, off, s[0:3], 0
	buffer_store_dword v12, off, s[0:3], 0 offset:8
	buffer_store_dword v12, off, s[0:3], 0 offset:4
	;; [unrolled: 1-line block ×3, first 2 shown]
	flat_load_dwordx4 v[28:31], v[44:45]
	v_add_co_u32_e64 v32, s[14:15], s17, v22
	v_addc_co_u32_e64 v33, s[14:15], 0, v23, s[14:15]
	v_cndmask_b32_e64 v33, v17, v33, s[6:7]
	v_cndmask_b32_e64 v32, v18, v32, s[6:7]
	buffer_store_dword v12, off, s[0:3], 0
	buffer_store_dword v12, off, s[0:3], 0 offset:8
	buffer_store_dword v12, off, s[0:3], 0 offset:4
	;; [unrolled: 1-line block ×3, first 2 shown]
	s_waitcnt vmcnt(0) lgkmcnt(0)
	ds_write_b128 v16, v[28:31]
	flat_load_dwordx4 v[28:31], v[32:33]
	v_add_co_u32_e64 v32, s[14:15], s17, v24
	v_addc_co_u32_e64 v33, s[14:15], 0, v25, s[14:15]
	v_cndmask_b32_e64 v33, v17, v33, s[12:13]
	v_cndmask_b32_e64 v32, v18, v32, s[12:13]
	buffer_store_dword v12, off, s[0:3], 0
	buffer_store_dword v12, off, s[0:3], 0 offset:8
	buffer_store_dword v12, off, s[0:3], 0 offset:4
	;; [unrolled: 1-line block ×3, first 2 shown]
	s_waitcnt vmcnt(0) lgkmcnt(0)
	ds_write_b128 v16, v[28:31] offset:4608
	flat_load_dwordx4 v[28:31], v[32:33]
	v_add_co_u32_e64 v32, s[14:15], s17, v26
	v_addc_co_u32_e64 v33, s[14:15], 0, v27, s[14:15]
	v_cndmask_b32_e64 v33, v17, v33, s[10:11]
	v_cndmask_b32_e64 v32, v18, v32, s[10:11]
	buffer_store_dword v12, off, s[0:3], 0
	buffer_store_dword v12, off, s[0:3], 0 offset:8
	buffer_store_dword v12, off, s[0:3], 0 offset:4
	;; [unrolled: 1-line block ×3, first 2 shown]
	s_movk_i32 s17, 0x100
	v_add_co_u32_e64 v44, s[14:15], s17, v19
	v_addc_co_u32_e64 v45, s[14:15], 0, v20, s[14:15]
	v_cndmask_b32_e32 v44, v18, v44, vcc
	v_cndmask_b32_e32 v45, v17, v45, vcc
	s_waitcnt vmcnt(0) lgkmcnt(0)
	ds_write_b128 v16, v[28:31] offset:9216
	flat_load_dwordx4 v[28:31], v[32:33]
	s_waitcnt vmcnt(0) lgkmcnt(0)
	ds_write_b128 v16, v[28:31] offset:13824
	s_waitcnt lgkmcnt(0)
	s_barrier
	ds_read_b128 v[28:31], v15
	ds_read_b128 v[32:35], v14 offset:18560
	s_waitcnt lgkmcnt(0)
	;;#ASMSTART
	v_dot2_f32_f16 v21, v28, v32, v21
	;;#ASMEND
	;;#ASMSTART
	v_dot2_f32_f16 v21, v29, v33, v21
	;;#ASMEND
	;;#ASMSTART
	v_dot2_f32_f16 v21, v30, v34, v21
	;;#ASMEND
	;;#ASMSTART
	v_dot2_f32_f16 v21, v31, v35, v21
	;;#ASMEND
	ds_read_b128 v[28:31], v15 offset:16
	ds_read_b128 v[32:35], v14 offset:18576
	s_waitcnt lgkmcnt(0)
	;;#ASMSTART
	v_dot2_f32_f16 v21, v28, v32, v21
	;;#ASMEND
	;;#ASMSTART
	v_dot2_f32_f16 v21, v29, v33, v21
	;;#ASMEND
	;;#ASMSTART
	v_dot2_f32_f16 v21, v30, v34, v21
	;;#ASMEND
	;;#ASMSTART
	v_dot2_f32_f16 v21, v31, v35, v21
	;;#ASMEND
	ds_read_b128 v[28:31], v15 offset:32
	;; [unrolled: 15-line block ×7, first 2 shown]
	ds_read_b128 v[32:35], v14 offset:18672
	s_waitcnt lgkmcnt(0)
	;;#ASMSTART
	v_dot2_f32_f16 v21, v28, v32, v21
	;;#ASMEND
	;;#ASMSTART
	v_dot2_f32_f16 v21, v29, v33, v21
	;;#ASMEND
	;; [unrolled: 3-line block ×4, first 2 shown]
	s_barrier
	buffer_store_dword v12, off, s[0:3], 0
	buffer_store_dword v12, off, s[0:3], 0 offset:8
	buffer_store_dword v12, off, s[0:3], 0 offset:4
	buffer_store_dword v12, off, s[0:3], 0 offset:12
	flat_load_dwordx4 v[28:31], v[44:45]
	v_add_co_u32_e64 v32, s[14:15], s17, v22
	v_addc_co_u32_e64 v33, s[14:15], 0, v23, s[14:15]
	v_cndmask_b32_e64 v33, v17, v33, s[6:7]
	v_cndmask_b32_e64 v32, v18, v32, s[6:7]
	buffer_store_dword v12, off, s[0:3], 0
	buffer_store_dword v12, off, s[0:3], 0 offset:8
	buffer_store_dword v12, off, s[0:3], 0 offset:4
	buffer_store_dword v12, off, s[0:3], 0 offset:12
	s_waitcnt vmcnt(0) lgkmcnt(0)
	ds_write_b128 v16, v[28:31]
	flat_load_dwordx4 v[28:31], v[32:33]
	v_add_co_u32_e64 v32, s[14:15], s17, v24
	v_addc_co_u32_e64 v33, s[14:15], 0, v25, s[14:15]
	v_cndmask_b32_e64 v33, v17, v33, s[12:13]
	v_cndmask_b32_e64 v32, v18, v32, s[12:13]
	buffer_store_dword v12, off, s[0:3], 0
	buffer_store_dword v12, off, s[0:3], 0 offset:8
	buffer_store_dword v12, off, s[0:3], 0 offset:4
	;; [unrolled: 1-line block ×3, first 2 shown]
	s_waitcnt vmcnt(0) lgkmcnt(0)
	ds_write_b128 v16, v[28:31] offset:4608
	flat_load_dwordx4 v[28:31], v[32:33]
	v_add_co_u32_e64 v32, s[14:15], s17, v26
	v_addc_co_u32_e64 v33, s[14:15], 0, v27, s[14:15]
	v_cndmask_b32_e64 v33, v17, v33, s[10:11]
	v_cndmask_b32_e64 v32, v18, v32, s[10:11]
	buffer_store_dword v12, off, s[0:3], 0
	buffer_store_dword v12, off, s[0:3], 0 offset:8
	buffer_store_dword v12, off, s[0:3], 0 offset:4
	;; [unrolled: 1-line block ×3, first 2 shown]
	s_movk_i32 s17, 0x180
	v_add_co_u32_e64 v19, s[14:15], s17, v19
	v_addc_co_u32_e64 v20, s[14:15], 0, v20, s[14:15]
	v_cndmask_b32_e32 v44, v18, v19, vcc
	v_cndmask_b32_e32 v45, v17, v20, vcc
	v_add_co_u32_e32 v19, vcc, s17, v22
	v_addc_co_u32_e32 v20, vcc, 0, v23, vcc
	v_cndmask_b32_e64 v23, v17, v20, s[6:7]
	v_cndmask_b32_e64 v22, v18, v19, s[6:7]
	v_add_co_u32_e32 v19, vcc, s17, v24
	v_addc_co_u32_e32 v20, vcc, 0, v25, vcc
	s_waitcnt vmcnt(0) lgkmcnt(0)
	ds_write_b128 v16, v[28:31] offset:9216
	flat_load_dwordx4 v[28:31], v[32:33]
	s_waitcnt vmcnt(0) lgkmcnt(0)
	ds_write_b128 v16, v[28:31] offset:13824
	s_waitcnt lgkmcnt(0)
	s_barrier
	ds_read_b128 v[28:31], v15
	ds_read_b128 v[32:35], v14 offset:18688
	s_waitcnt lgkmcnt(0)
	;;#ASMSTART
	v_dot2_f32_f16 v21, v28, v32, v21
	;;#ASMEND
	;;#ASMSTART
	v_dot2_f32_f16 v21, v29, v33, v21
	;;#ASMEND
	;;#ASMSTART
	v_dot2_f32_f16 v21, v30, v34, v21
	;;#ASMEND
	;;#ASMSTART
	v_dot2_f32_f16 v21, v31, v35, v21
	;;#ASMEND
	ds_read_b128 v[28:31], v15 offset:16
	ds_read_b128 v[32:35], v14 offset:18704
	s_waitcnt lgkmcnt(0)
	;;#ASMSTART
	v_dot2_f32_f16 v21, v28, v32, v21
	;;#ASMEND
	;;#ASMSTART
	v_dot2_f32_f16 v21, v29, v33, v21
	;;#ASMEND
	;;#ASMSTART
	v_dot2_f32_f16 v21, v30, v34, v21
	;;#ASMEND
	;;#ASMSTART
	v_dot2_f32_f16 v21, v31, v35, v21
	;;#ASMEND
	ds_read_b128 v[28:31], v15 offset:32
	ds_read_b128 v[32:35], v14 offset:18720
	s_waitcnt lgkmcnt(0)
	;;#ASMSTART
	v_dot2_f32_f16 v21, v28, v32, v21
	;;#ASMEND
	;;#ASMSTART
	v_dot2_f32_f16 v21, v29, v33, v21
	;;#ASMEND
	;;#ASMSTART
	v_dot2_f32_f16 v21, v30, v34, v21
	;;#ASMEND
	;;#ASMSTART
	v_dot2_f32_f16 v21, v31, v35, v21
	;;#ASMEND
	ds_read_b128 v[28:31], v15 offset:48
	ds_read_b128 v[32:35], v14 offset:18736
	s_waitcnt lgkmcnt(0)
	;;#ASMSTART
	v_dot2_f32_f16 v21, v28, v32, v21
	;;#ASMEND
	;;#ASMSTART
	v_dot2_f32_f16 v21, v29, v33, v21
	;;#ASMEND
	;;#ASMSTART
	v_dot2_f32_f16 v21, v30, v34, v21
	;;#ASMEND
	;;#ASMSTART
	v_dot2_f32_f16 v21, v31, v35, v21
	;;#ASMEND
	ds_read_b128 v[28:31], v15 offset:64
	ds_read_b128 v[32:35], v14 offset:18752
	s_waitcnt lgkmcnt(0)
	;;#ASMSTART
	v_dot2_f32_f16 v21, v28, v32, v21
	;;#ASMEND
	;;#ASMSTART
	v_dot2_f32_f16 v21, v29, v33, v21
	;;#ASMEND
	;;#ASMSTART
	v_dot2_f32_f16 v21, v30, v34, v21
	;;#ASMEND
	;;#ASMSTART
	v_dot2_f32_f16 v21, v31, v35, v21
	;;#ASMEND
	ds_read_b128 v[28:31], v15 offset:80
	ds_read_b128 v[32:35], v14 offset:18768
	s_waitcnt lgkmcnt(0)
	;;#ASMSTART
	v_dot2_f32_f16 v21, v28, v32, v21
	;;#ASMEND
	;;#ASMSTART
	v_dot2_f32_f16 v21, v29, v33, v21
	;;#ASMEND
	;;#ASMSTART
	v_dot2_f32_f16 v21, v30, v34, v21
	;;#ASMEND
	;;#ASMSTART
	v_dot2_f32_f16 v21, v31, v35, v21
	;;#ASMEND
	ds_read_b128 v[28:31], v15 offset:96
	ds_read_b128 v[32:35], v14 offset:18784
	s_waitcnt lgkmcnt(0)
	;;#ASMSTART
	v_dot2_f32_f16 v21, v28, v32, v21
	;;#ASMEND
	;;#ASMSTART
	v_dot2_f32_f16 v21, v29, v33, v21
	;;#ASMEND
	;;#ASMSTART
	v_dot2_f32_f16 v21, v30, v34, v21
	;;#ASMEND
	;;#ASMSTART
	v_dot2_f32_f16 v21, v31, v35, v21
	;;#ASMEND
	ds_read_b128 v[28:31], v15 offset:112
	ds_read_b128 v[32:35], v14 offset:18800
	s_waitcnt lgkmcnt(0)
	;;#ASMSTART
	v_dot2_f32_f16 v21, v28, v32, v21
	;;#ASMEND
	;;#ASMSTART
	v_dot2_f32_f16 v21, v29, v33, v21
	;;#ASMEND
	;; [unrolled: 3-line block ×4, first 2 shown]
	s_barrier
	buffer_store_dword v12, off, s[0:3], 0
	buffer_store_dword v12, off, s[0:3], 0 offset:8
	buffer_store_dword v12, off, s[0:3], 0 offset:4
	;; [unrolled: 1-line block ×3, first 2 shown]
	flat_load_dwordx4 v[28:31], v[44:45]
	s_nop 0
	buffer_store_dword v12, off, s[0:3], 0
	buffer_store_dword v12, off, s[0:3], 0 offset:8
	buffer_store_dword v12, off, s[0:3], 0 offset:4
	;; [unrolled: 1-line block ×3, first 2 shown]
	s_waitcnt vmcnt(0) lgkmcnt(0)
	ds_write_b128 v16, v[28:31]
	flat_load_dwordx4 v[28:31], v[22:23]
	v_cndmask_b32_e64 v23, v17, v20, s[12:13]
	v_cndmask_b32_e64 v22, v18, v19, s[12:13]
	buffer_store_dword v12, off, s[0:3], 0
	buffer_store_dword v12, off, s[0:3], 0 offset:8
	buffer_store_dword v12, off, s[0:3], 0 offset:4
	buffer_store_dword v12, off, s[0:3], 0 offset:12
	v_add_co_u32_e32 v20, vcc, s17, v26
	v_addc_co_u32_e32 v19, vcc, 0, v27, vcc
	v_cndmask_b32_e64 v19, v17, v19, s[10:11]
	v_cndmask_b32_e64 v18, v18, v20, s[10:11]
	v_cmp_gt_i32_e32 vcc, s16, v9
	s_waitcnt vmcnt(0) lgkmcnt(0)
	ds_write_b128 v16, v[28:31] offset:4608
	flat_load_dwordx4 v[22:25], v[22:23]
	s_nop 0
	buffer_store_dword v12, off, s[0:3], 0
	buffer_store_dword v12, off, s[0:3], 0 offset:8
	buffer_store_dword v12, off, s[0:3], 0 offset:4
	;; [unrolled: 1-line block ×3, first 2 shown]
	s_waitcnt vmcnt(0) lgkmcnt(0)
	ds_write_b128 v16, v[22:25] offset:9216
	flat_load_dwordx4 v[22:25], v[18:19]
	s_waitcnt vmcnt(0) lgkmcnt(0)
	ds_write_b128 v16, v[22:25] offset:13824
	s_waitcnt lgkmcnt(0)
	s_barrier
	ds_read_b128 v[16:19], v15
	ds_read_b128 v[22:25], v14 offset:18816
	s_waitcnt lgkmcnt(0)
	;;#ASMSTART
	v_dot2_f32_f16 v21, v16, v22, v21
	;;#ASMEND
	;;#ASMSTART
	v_dot2_f32_f16 v21, v17, v23, v21
	;;#ASMEND
	;;#ASMSTART
	v_dot2_f32_f16 v21, v18, v24, v21
	;;#ASMEND
	;;#ASMSTART
	v_dot2_f32_f16 v21, v19, v25, v21
	;;#ASMEND
	ds_read_b128 v[16:19], v15 offset:16
	ds_read_b128 v[22:25], v14 offset:18832
	s_waitcnt lgkmcnt(0)
	;;#ASMSTART
	v_dot2_f32_f16 v21, v16, v22, v21
	;;#ASMEND
	;;#ASMSTART
	v_dot2_f32_f16 v21, v17, v23, v21
	;;#ASMEND
	;;#ASMSTART
	v_dot2_f32_f16 v21, v18, v24, v21
	;;#ASMEND
	;;#ASMSTART
	v_dot2_f32_f16 v21, v19, v25, v21
	;;#ASMEND
	ds_read_b128 v[16:19], v15 offset:32
	ds_read_b128 v[22:25], v14 offset:18848
	s_waitcnt lgkmcnt(0)
	;;#ASMSTART
	v_dot2_f32_f16 v21, v16, v22, v21
	;;#ASMEND
	;;#ASMSTART
	v_dot2_f32_f16 v21, v17, v23, v21
	;;#ASMEND
	;;#ASMSTART
	v_dot2_f32_f16 v21, v18, v24, v21
	;;#ASMEND
	;;#ASMSTART
	v_dot2_f32_f16 v21, v19, v25, v21
	;;#ASMEND
	ds_read_b128 v[16:19], v15 offset:48
	ds_read_b128 v[22:25], v14 offset:18864
	s_waitcnt lgkmcnt(0)
	;;#ASMSTART
	v_dot2_f32_f16 v21, v16, v22, v21
	;;#ASMEND
	;;#ASMSTART
	v_dot2_f32_f16 v21, v17, v23, v21
	;;#ASMEND
	;;#ASMSTART
	v_dot2_f32_f16 v21, v18, v24, v21
	;;#ASMEND
	;;#ASMSTART
	v_dot2_f32_f16 v21, v19, v25, v21
	;;#ASMEND
	ds_read_b128 v[16:19], v15 offset:64
	ds_read_b128 v[22:25], v14 offset:18880
	s_waitcnt lgkmcnt(0)
	;;#ASMSTART
	v_dot2_f32_f16 v21, v16, v22, v21
	;;#ASMEND
	;;#ASMSTART
	v_dot2_f32_f16 v21, v17, v23, v21
	;;#ASMEND
	;;#ASMSTART
	v_dot2_f32_f16 v21, v18, v24, v21
	;;#ASMEND
	;;#ASMSTART
	v_dot2_f32_f16 v21, v19, v25, v21
	;;#ASMEND
	ds_read_b128 v[16:19], v15 offset:80
	ds_read_b128 v[22:25], v14 offset:18896
	s_waitcnt lgkmcnt(0)
	;;#ASMSTART
	v_dot2_f32_f16 v21, v16, v22, v21
	;;#ASMEND
	;;#ASMSTART
	v_dot2_f32_f16 v21, v17, v23, v21
	;;#ASMEND
	;;#ASMSTART
	v_dot2_f32_f16 v21, v18, v24, v21
	;;#ASMEND
	;;#ASMSTART
	v_dot2_f32_f16 v21, v19, v25, v21
	;;#ASMEND
	ds_read_b128 v[16:19], v15 offset:96
	ds_read_b128 v[22:25], v14 offset:18912
	s_waitcnt lgkmcnt(0)
	;;#ASMSTART
	v_dot2_f32_f16 v21, v16, v22, v21
	;;#ASMEND
	;;#ASMSTART
	v_dot2_f32_f16 v21, v17, v23, v21
	;;#ASMEND
	;;#ASMSTART
	v_dot2_f32_f16 v21, v18, v24, v21
	;;#ASMEND
	;;#ASMSTART
	v_dot2_f32_f16 v21, v19, v25, v21
	;;#ASMEND
	ds_read_b128 v[16:19], v15 offset:112
	ds_read_b128 v[22:25], v14 offset:18928
	s_waitcnt lgkmcnt(0)
	;;#ASMSTART
	v_dot2_f32_f16 v21, v16, v22, v21
	;;#ASMEND
	;;#ASMSTART
	v_dot2_f32_f16 v21, v17, v23, v21
	;;#ASMEND
	;; [unrolled: 3-line block ×3, first 2 shown]
	v_mov_b32_e32 v16, v8
	;;#ASMSTART
	v_dot2_f32_f16 v21, v19, v25, v21
	;;#ASMEND
	s_and_saveexec_b64 s[6:7], vcc
	s_cbranch_execz .LBB55_24
; %bb.21:
	s_cmp_eq_u64 s[44:45], 0
	s_cbranch_scc1 .LBB55_23
; %bb.22:
	v_mul_hi_u32 v12, s36, v36
	v_add_u32_e32 v12, v36, v12
	v_lshrrev_b32_e32 v12, s37, v12
	v_mul_lo_u32 v12, v12, s38
	v_sub_u32_e32 v12, v36, v12
	v_mul_lo_u32 v12, v12, s22
	v_add3_u32 v14, v12, v9, s20
	v_ashrrev_i32_e32 v15, 31, v14
	v_lshlrev_b64 v[14:15], 1, v[14:15]
	v_mov_b32_e32 v12, s45
	v_add_co_u32_e32 v14, vcc, s44, v14
	v_addc_co_u32_e32 v15, vcc, v12, v15, vcc
	flat_load_ushort v12, v[14:15]
	s_waitcnt vmcnt(0) lgkmcnt(0)
	v_cvt_f32_f16_e32 v12, v12
	v_mul_f32_e32 v12, v11, v12
.LBB55_23:
	v_add_f32_e32 v21, v21, v12
	v_add_f32_e32 v11, 0x40051340, v21
	v_max_f32_e32 v12, v8, v8
	v_max_f32_e32 v16, v12, v11
.LBB55_24:
	s_or_b64 exec, exec, s[6:7]
	v_mbcnt_hi_u32_b32 v12, -1, v43
	v_and_b32_e32 v11, 0x60, v12
	v_add_u32_e32 v14, 32, v11
	v_xor_b32_e32 v15, 16, v12
	v_cmp_lt_i32_e32 vcc, v15, v14
	v_cndmask_b32_e32 v11, v12, v15, vcc
	v_lshlrev_b32_e32 v11, 2, v11
	ds_bpermute_b32 v11, v11, v16
	v_max_f32_e32 v17, v16, v16
	v_xor_b32_e32 v16, 8, v12
	v_cmp_lt_i32_e32 vcc, v16, v14
	s_waitcnt lgkmcnt(0)
	v_max_f32_e32 v11, v11, v11
	v_max_f32_e32 v11, v17, v11
	v_cndmask_b32_e32 v17, v12, v16, vcc
	v_lshlrev_b32_e32 v17, 2, v17
	ds_bpermute_b32 v18, v17, v11
	v_xor_b32_e32 v17, 4, v12
	v_cmp_lt_i32_e32 vcc, v17, v14
	s_waitcnt lgkmcnt(0)
	v_max_f32_e32 v18, v18, v18
	v_max_f32_e32 v11, v11, v18
	v_cndmask_b32_e32 v18, v12, v17, vcc
	v_lshlrev_b32_e32 v18, 2, v18
	ds_bpermute_b32 v19, v18, v11
	;; [unrolled: 8-line block ×4, first 2 shown]
	v_cmp_eq_u32_e32 vcc, 0, v5
	s_and_saveexec_b64 s[6:7], vcc
	s_cbranch_execz .LBB55_26
; %bb.25:
	s_waitcnt lgkmcnt(0)
	v_max_f32_e32 v20, v20, v20
	v_max_f32_e32 v11, v11, v11
	;; [unrolled: 1-line block ×3, first 2 shown]
	ds_write_b32 v40, v11 offset:20000
.LBB55_26:
	s_or_b64 exec, exec, s[6:7]
	s_movk_i32 s6, 0x3fc
	v_and_or_b32 v11, v37, s6, v42
	v_lshlrev_b32_e32 v11, 2, v11
	s_waitcnt lgkmcnt(0)
	s_barrier
	ds_read_b32 v11, v11 offset:20000
	v_and_b32_e32 v20, 0x7c, v12
	v_add_u32_e32 v20, 4, v20
	v_cmp_lt_i32_e32 vcc, v18, v20
	v_cndmask_b32_e32 v22, v12, v18, vcc
	v_lshlrev_b32_e32 v22, 2, v22
	s_waitcnt lgkmcnt(0)
	ds_bpermute_b32 v22, v22, v11
	v_cmp_lt_i32_e32 vcc, v19, v20
	v_max_f32_e32 v11, v11, v11
	v_cndmask_b32_e32 v20, v12, v19, vcc
	v_lshlrev_b32_e32 v20, 2, v20
	s_waitcnt lgkmcnt(0)
	v_max_f32_e32 v22, v22, v22
	v_max_f32_e32 v11, v11, v22
	ds_bpermute_b32 v20, v20, v11
	s_mov_b32 s6, 0x3fb8aa3b
	s_mov_b32 s7, 0xc2ce8ed0
	s_mov_b32 s10, 0x42b17218
	v_mov_b32_e32 v28, 0
	s_waitcnt lgkmcnt(0)
	v_max_f32_e32 v20, v20, v20
	v_max_f32_e32 v20, v11, v20
	v_sub_f32_e32 v8, v8, v20
	v_mul_f32_e32 v11, 0x3fb8aa3b, v8
	v_fma_f32 v22, v8, s6, -v11
	v_rndne_f32_e32 v23, v11
	v_fmac_f32_e32 v22, 0x32a5705f, v8
	v_sub_f32_e32 v11, v11, v23
	v_add_f32_e32 v11, v11, v22
	v_exp_f32_e32 v11, v11
	v_cvt_i32_f32_e32 v22, v23
	v_sub_f32_e32 v21, v21, v20
	v_cmp_ngt_f32_e32 vcc, s7, v8
	v_lshl_add_u32 v30, v37, 9, v39
	v_ldexp_f32 v11, v11, v22
	v_mul_f32_e32 v22, 0x3fb8aa3b, v21
	v_fma_f32 v23, v21, s6, -v22
	v_rndne_f32_e32 v24, v22
	v_fmac_f32_e32 v23, 0x32a5705f, v21
	v_sub_f32_e32 v22, v22, v24
	v_add_f32_e32 v22, v22, v23
	v_exp_f32_e32 v22, v22
	v_cvt_i32_f32_e32 v23, v24
	v_cndmask_b32_e32 v11, 0, v11, vcc
	v_cmp_nlt_f32_e32 vcc, s10, v8
	v_mov_b32_e32 v8, 0x7f800000
	v_cndmask_b32_e32 v11, v8, v11, vcc
	v_ldexp_f32 v22, v22, v23
	v_cmp_ngt_f32_e64 s[6:7], s7, v21
	v_cvt_f16_f32_e32 v46, v11
	v_cndmask_b32_e64 v22, 0, v22, s[6:7]
	v_cmp_nlt_f32_e64 s[6:7], s10, v21
	v_cmp_gt_u32_e32 vcc, s16, v9
	v_cndmask_b32_e64 v8, v8, v22, s[6:7]
	v_cndmask_b32_e32 v8, 0, v8, vcc
	v_pk_mul_f16 v47, v2, v46 op_sel_hi:[1,0]
	v_cvt_f16_f32_e32 v2, v8
	v_pk_mul_f16 v48, v46, v3 op_sel_hi:[0,1]
	v_mov_b32_e32 v3, 0x4c00
	v_lshl_add_u32 v31, v10, 1, v3
	v_lshl_add_u32 v3, v9, 1, v31
	s_lshl_b32 s6, s8, 3
	ds_write_b16 v3, v2
	v_add_u32_e32 v2, s6, v6
	v_add_u32_e32 v32, s6, v2
	;; [unrolled: 1-line block ×3, first 2 shown]
	s_mul_hi_i32 s7, s20, s8
	s_mul_i32 s6, s20, s8
	s_mov_b64 s[10:11], src_private_base
	s_lshl_b64 s[6:7], s[6:7], 2
	s_add_u32 s10, s18, s6
	v_fma_f32 v13, v13, v11, v8
	s_addc_u32 s12, s19, s7
	v_lshlrev_b64 v[10:11], 2, v[6:7]
	v_add_co_u32_e64 v6, s[6:7], s10, v10
	v_mov_b32_e32 v7, s12
	v_addc_co_u32_e64 v7, s[6:7], v7, v11, s[6:7]
	v_add_co_u32_e64 v6, s[6:7], v6, v39
	v_cmp_gt_i32_e32 vcc, s16, v37
	v_addc_co_u32_e64 v7, s[6:7], 0, v7, s[6:7]
	v_mov_b32_e32 v25, s11
	v_mov_b32_e32 v24, 0
	buffer_store_dword v28, off, s[0:3], 0
	buffer_store_dword v28, off, s[0:3], 0 offset:8
	buffer_store_dword v28, off, s[0:3], 0 offset:4
	;; [unrolled: 1-line block ×3, first 2 shown]
	v_cndmask_b32_e32 v7, v25, v7, vcc
	v_cndmask_b32_e32 v6, v24, v6, vcc
	flat_load_dwordx4 v[6:9], v[6:7]
	v_ashrrev_i32_e32 v3, 31, v2
	v_lshlrev_b64 v[2:3], 2, v[2:3]
	v_add_u32_e32 v29, 8, v37
	v_cmp_gt_i32_e32 vcc, s16, v29
	v_lshl_add_u32 v26, v29, 9, v39
	v_ashrrev_i32_e32 v33, 31, v32
	v_add_u32_e32 v27, 16, v37
	v_ashrrev_i32_e32 v43, 31, v42
	v_lshl_add_u32 v23, v27, 9, v39
	v_add_u32_e32 v22, 24, v37
	v_lshl_add_u32 v21, v22, 9, v39
	v_lshl_add_u32 v31, v41, 1, v31
	s_waitcnt vmcnt(0) lgkmcnt(0)
	ds_write_b128 v30, v[6:9]
	v_add_co_u32_e64 v6, s[6:7], s10, v2
	v_mov_b32_e32 v7, s12
	v_addc_co_u32_e64 v7, s[6:7], v7, v3, s[6:7]
	v_add_co_u32_e64 v6, s[6:7], v6, v39
	v_addc_co_u32_e64 v7, s[6:7], 0, v7, s[6:7]
	buffer_store_dword v28, off, s[0:3], 0
	buffer_store_dword v28, off, s[0:3], 0 offset:8
	buffer_store_dword v28, off, s[0:3], 0 offset:4
	;; [unrolled: 1-line block ×3, first 2 shown]
	v_cndmask_b32_e32 v7, v25, v7, vcc
	v_cndmask_b32_e32 v6, v24, v6, vcc
	flat_load_dwordx4 v[6:9], v[6:7]
	v_cmp_gt_i32_e32 vcc, s16, v27
	s_waitcnt vmcnt(0) lgkmcnt(0)
	ds_write_b128 v26, v[6:9]
	v_lshlrev_b64 v[8:9], 2, v[32:33]
	v_add_co_u32_e64 v6, s[6:7], s10, v8
	v_mov_b32_e32 v7, s12
	v_addc_co_u32_e64 v7, s[6:7], v7, v9, s[6:7]
	v_add_co_u32_e64 v6, s[6:7], v6, v39
	v_addc_co_u32_e64 v7, s[6:7], 0, v7, s[6:7]
	buffer_store_dword v28, off, s[0:3], 0
	buffer_store_dword v28, off, s[0:3], 0 offset:8
	buffer_store_dword v28, off, s[0:3], 0 offset:4
	;; [unrolled: 1-line block ×3, first 2 shown]
	v_cndmask_b32_e32 v7, v25, v7, vcc
	v_cndmask_b32_e32 v6, v24, v6, vcc
	flat_load_dwordx4 v[32:35], v[6:7]
	v_lshlrev_b64 v[6:7], 2, v[42:43]
	v_cmp_gt_i32_e32 vcc, s16, v22
	s_waitcnt vmcnt(0) lgkmcnt(0)
	ds_write_b128 v23, v[32:35]
	v_add_co_u32_e64 v32, s[6:7], s10, v6
	v_mov_b32_e32 v33, s12
	v_addc_co_u32_e64 v33, s[6:7], v33, v7, s[6:7]
	v_add_co_u32_e64 v32, s[6:7], v32, v39
	v_addc_co_u32_e64 v33, s[6:7], 0, v33, s[6:7]
	buffer_store_dword v28, off, s[0:3], 0
	buffer_store_dword v28, off, s[0:3], 0 offset:8
	buffer_store_dword v28, off, s[0:3], 0 offset:4
	;; [unrolled: 1-line block ×3, first 2 shown]
	v_cndmask_b32_e32 v33, v25, v33, vcc
	v_cndmask_b32_e32 v32, v24, v32, vcc
	flat_load_dwordx4 v[32:35], v[32:33]
	s_or_b32 s6, s20, 32
	s_mul_hi_i32 s7, s6, s8
	s_mul_i32 s6, s6, s8
	s_lshl_b64 s[6:7], s[6:7], 2
	s_add_u32 s10, s18, s6
	s_addc_u32 s11, s19, s7
	s_sub_i32 s12, s16, 32
	v_cmp_gt_i32_e32 vcc, s12, v37
	s_waitcnt vmcnt(0) lgkmcnt(0)
	ds_write_b128 v21, v[32:35]
	v_lshlrev_b32_e32 v32, 9, v41
	v_lshl_add_u32 v32, v5, 3, v32
	s_waitcnt lgkmcnt(0)
	s_barrier
	ds_read2_b64 v[42:45], v32 offset1:32
	ds_read_u16 v33, v31
	ds_read_u16 v34, v31 offset:8
	ds_read_u16 v35, v31 offset:16
	;; [unrolled: 1-line block ×7, first 2 shown]
	s_waitcnt lgkmcnt(7)
	v_pk_mul_f16 v42, v42, v33 op_sel_hi:[1,0]
	v_pk_fma_f16 v54, v46, v0, v42 op_sel_hi:[0,1,1]
	v_pk_mul_f16 v0, v43, v33 op_sel_hi:[1,0]
	v_pk_fma_f16 v1, v1, v46, v0 op_sel_hi:[1,0,1]
	v_add_u32_e32 v0, 0x800, v32
	v_pk_fma_f16 v46, v44, v33, v47 op_sel_hi:[1,0,1]
	v_pk_fma_f16 v33, v45, v33, v48 op_sel_hi:[1,0,1]
	ds_read2_b64 v[42:45], v0 offset1:32
	s_waitcnt lgkmcnt(0)
	v_pk_fma_f16 v48, v43, v34, v1 op_sel_hi:[1,0,1]
	v_add_u32_e32 v1, 0x1000, v32
	v_pk_fma_f16 v47, v42, v34, v54 op_sel_hi:[1,0,1]
	v_pk_fma_f16 v46, v44, v34, v46 op_sel_hi:[1,0,1]
	;; [unrolled: 1-line block ×3, first 2 shown]
	ds_read2_b64 v[42:45], v1 offset1:32
	s_waitcnt lgkmcnt(0)
	v_pk_fma_f16 v34, v42, v35, v47 op_sel_hi:[1,0,1]
	v_pk_fma_f16 v47, v43, v35, v48 op_sel_hi:[1,0,1]
	;; [unrolled: 1-line block ×4, first 2 shown]
	v_add_u32_e32 v33, 0x1800, v32
	ds_read2_b64 v[42:45], v33 offset1:32
	s_waitcnt lgkmcnt(0)
	v_pk_fma_f16 v48, v42, v49, v34 op_sel_hi:[1,0,1]
	v_add_u32_e32 v34, 0x2000, v32
	v_pk_fma_f16 v47, v43, v49, v47 op_sel_hi:[1,0,1]
	v_pk_fma_f16 v46, v44, v49, v46 op_sel_hi:[1,0,1]
	v_pk_fma_f16 v35, v45, v49, v35 op_sel_hi:[1,0,1]
	ds_read2_b64 v[42:45], v34 offset1:32
	s_waitcnt lgkmcnt(0)
	v_pk_fma_f16 v49, v45, v50, v35 op_sel_hi:[1,0,1]
	v_add_u32_e32 v35, 0x2800, v32
	v_pk_fma_f16 v48, v42, v50, v48 op_sel_hi:[1,0,1]
	v_pk_fma_f16 v47, v43, v50, v47 op_sel_hi:[1,0,1]
	v_pk_fma_f16 v46, v44, v50, v46 op_sel_hi:[1,0,1]
	;; [unrolled: 7-line block ×4, first 2 shown]
	ds_read2_b64 v[44:47], v43 offset1:32
	s_waitcnt lgkmcnt(0)
	s_barrier
	buffer_store_dword v28, off, s[0:3], 0
	buffer_store_dword v28, off, s[0:3], 0 offset:8
	buffer_store_dword v28, off, s[0:3], 0 offset:4
	;; [unrolled: 1-line block ×3, first 2 shown]
	v_pk_fma_f16 v48, v44, v53, v48 op_sel_hi:[1,0,1]
	v_pk_fma_f16 v51, v45, v53, v51 op_sel_hi:[1,0,1]
	v_add_co_u32_e64 v44, s[6:7], s10, v10
	v_mov_b32_e32 v45, s11
	v_addc_co_u32_e64 v45, s[6:7], v45, v11, s[6:7]
	v_add_co_u32_e64 v44, s[6:7], v44, v39
	v_addc_co_u32_e64 v45, s[6:7], 0, v45, s[6:7]
	v_cndmask_b32_e32 v45, v25, v45, vcc
	v_cndmask_b32_e32 v44, v24, v44, vcc
	v_pk_fma_f16 v50, v46, v53, v50 op_sel_hi:[1,0,1]
	v_pk_fma_f16 v49, v47, v53, v49 op_sel_hi:[1,0,1]
	flat_load_dwordx4 v[44:47], v[44:45]
	v_cmp_gt_i32_e32 vcc, s12, v29
	s_waitcnt vmcnt(0) lgkmcnt(0)
	ds_write_b128 v30, v[44:47]
	v_add_co_u32_e64 v44, s[6:7], s10, v2
	v_mov_b32_e32 v45, s11
	v_addc_co_u32_e64 v45, s[6:7], v45, v3, s[6:7]
	v_add_co_u32_e64 v44, s[6:7], v44, v39
	v_addc_co_u32_e64 v45, s[6:7], 0, v45, s[6:7]
	buffer_store_dword v28, off, s[0:3], 0
	buffer_store_dword v28, off, s[0:3], 0 offset:8
	buffer_store_dword v28, off, s[0:3], 0 offset:4
	buffer_store_dword v28, off, s[0:3], 0 offset:12
	v_cndmask_b32_e32 v45, v25, v45, vcc
	v_cndmask_b32_e32 v44, v24, v44, vcc
	flat_load_dwordx4 v[44:47], v[44:45]
	v_cmp_gt_i32_e32 vcc, s12, v27
	s_waitcnt vmcnt(0) lgkmcnt(0)
	ds_write_b128 v26, v[44:47]
	v_add_co_u32_e64 v44, s[6:7], s10, v8
	v_mov_b32_e32 v45, s11
	v_addc_co_u32_e64 v45, s[6:7], v45, v9, s[6:7]
	v_add_co_u32_e64 v44, s[6:7], v44, v39
	v_addc_co_u32_e64 v45, s[6:7], 0, v45, s[6:7]
	buffer_store_dword v28, off, s[0:3], 0
	buffer_store_dword v28, off, s[0:3], 0 offset:8
	buffer_store_dword v28, off, s[0:3], 0 offset:4
	buffer_store_dword v28, off, s[0:3], 0 offset:12
	v_cndmask_b32_e32 v45, v25, v45, vcc
	v_cndmask_b32_e32 v44, v24, v44, vcc
	;; [unrolled: 15-line block ×3, first 2 shown]
	flat_load_dwordx4 v[44:47], v[44:45]
	s_or_b32 s6, s20, 64
	s_mul_hi_i32 s7, s6, s8
	s_mul_i32 s6, s6, s8
	s_lshl_b64 s[6:7], s[6:7], 2
	s_add_u32 s10, s18, s6
	s_addc_u32 s11, s19, s7
	s_sub_i32 s12, s16, 64
	v_cmp_gt_i32_e32 vcc, s12, v37
	s_waitcnt vmcnt(0) lgkmcnt(0)
	ds_write_b128 v21, v[44:47]
	s_waitcnt lgkmcnt(0)
	s_barrier
	ds_read2_b64 v[44:47], v32 offset1:32
	ds_read_u16 v52, v31 offset:64
	ds_read_u16 v53, v31 offset:72
	;; [unrolled: 1-line block ×8, first 2 shown]
	s_waitcnt lgkmcnt(7)
	v_pk_fma_f16 v48, v44, v52, v48 op_sel_hi:[1,0,1]
	v_pk_fma_f16 v51, v45, v52, v51 op_sel_hi:[1,0,1]
	v_pk_fma_f16 v50, v46, v52, v50 op_sel_hi:[1,0,1]
	v_pk_fma_f16 v49, v47, v52, v49 op_sel_hi:[1,0,1]
	ds_read2_b64 v[44:47], v0 offset1:32
	s_waitcnt lgkmcnt(0)
	v_pk_fma_f16 v48, v44, v53, v48 op_sel_hi:[1,0,1]
	v_pk_fma_f16 v51, v45, v53, v51 op_sel_hi:[1,0,1]
	v_pk_fma_f16 v50, v46, v53, v50 op_sel_hi:[1,0,1]
	v_pk_fma_f16 v49, v47, v53, v49 op_sel_hi:[1,0,1]
	ds_read2_b64 v[44:47], v1 offset1:32
	;; [unrolled: 6-line block ×7, first 2 shown]
	s_waitcnt lgkmcnt(0)
	s_barrier
	buffer_store_dword v28, off, s[0:3], 0
	buffer_store_dword v28, off, s[0:3], 0 offset:8
	buffer_store_dword v28, off, s[0:3], 0 offset:4
	;; [unrolled: 1-line block ×3, first 2 shown]
	v_pk_fma_f16 v48, v44, v59, v48 op_sel_hi:[1,0,1]
	v_pk_fma_f16 v51, v45, v59, v51 op_sel_hi:[1,0,1]
	v_add_co_u32_e64 v44, s[6:7], s10, v10
	v_mov_b32_e32 v45, s11
	v_addc_co_u32_e64 v45, s[6:7], v45, v11, s[6:7]
	v_add_co_u32_e64 v44, s[6:7], v44, v39
	v_addc_co_u32_e64 v45, s[6:7], 0, v45, s[6:7]
	v_cndmask_b32_e32 v45, v25, v45, vcc
	v_cndmask_b32_e32 v44, v24, v44, vcc
	v_pk_fma_f16 v50, v46, v59, v50 op_sel_hi:[1,0,1]
	v_pk_fma_f16 v49, v47, v59, v49 op_sel_hi:[1,0,1]
	flat_load_dwordx4 v[44:47], v[44:45]
	v_cmp_gt_i32_e32 vcc, s12, v29
	s_waitcnt vmcnt(0) lgkmcnt(0)
	ds_write_b128 v30, v[44:47]
	v_add_co_u32_e64 v44, s[6:7], s10, v2
	v_mov_b32_e32 v45, s11
	v_addc_co_u32_e64 v45, s[6:7], v45, v3, s[6:7]
	v_add_co_u32_e64 v44, s[6:7], v44, v39
	v_addc_co_u32_e64 v45, s[6:7], 0, v45, s[6:7]
	buffer_store_dword v28, off, s[0:3], 0
	buffer_store_dword v28, off, s[0:3], 0 offset:8
	buffer_store_dword v28, off, s[0:3], 0 offset:4
	buffer_store_dword v28, off, s[0:3], 0 offset:12
	v_cndmask_b32_e32 v45, v25, v45, vcc
	v_cndmask_b32_e32 v44, v24, v44, vcc
	flat_load_dwordx4 v[44:47], v[44:45]
	v_cmp_gt_i32_e32 vcc, s12, v27
	s_waitcnt vmcnt(0) lgkmcnt(0)
	ds_write_b128 v26, v[44:47]
	v_add_co_u32_e64 v44, s[6:7], s10, v8
	v_mov_b32_e32 v45, s11
	v_addc_co_u32_e64 v45, s[6:7], v45, v9, s[6:7]
	v_add_co_u32_e64 v44, s[6:7], v44, v39
	v_addc_co_u32_e64 v45, s[6:7], 0, v45, s[6:7]
	buffer_store_dword v28, off, s[0:3], 0
	buffer_store_dword v28, off, s[0:3], 0 offset:8
	buffer_store_dword v28, off, s[0:3], 0 offset:4
	buffer_store_dword v28, off, s[0:3], 0 offset:12
	v_cndmask_b32_e32 v45, v25, v45, vcc
	v_cndmask_b32_e32 v44, v24, v44, vcc
	;; [unrolled: 15-line block ×3, first 2 shown]
	flat_load_dwordx4 v[44:47], v[44:45]
	s_or_b32 s6, s20, 0x60
	s_mul_hi_i32 s7, s6, s8
	s_mul_i32 s6, s6, s8
	s_lshl_b64 s[6:7], s[6:7], 2
	s_add_u32 s8, s18, s6
	s_addc_u32 s10, s19, s7
	v_add_co_u32_e64 v10, s[6:7], s8, v10
	s_addk_i32 s16, 0xffa0
	v_cmp_gt_i32_e32 vcc, s16, v37
	s_waitcnt vmcnt(0) lgkmcnt(0)
	ds_write_b128 v21, v[44:47]
	s_waitcnt lgkmcnt(0)
	s_barrier
	ds_read2_b64 v[44:47], v32 offset1:32
	ds_read_u16 v52, v31 offset:128
	ds_read_u16 v53, v31 offset:136
	;; [unrolled: 1-line block ×8, first 2 shown]
	s_waitcnt lgkmcnt(7)
	v_pk_fma_f16 v48, v44, v52, v48 op_sel_hi:[1,0,1]
	v_pk_fma_f16 v51, v45, v52, v51 op_sel_hi:[1,0,1]
	v_pk_fma_f16 v50, v46, v52, v50 op_sel_hi:[1,0,1]
	v_pk_fma_f16 v49, v47, v52, v49 op_sel_hi:[1,0,1]
	ds_read2_b64 v[44:47], v0 offset1:32
	s_waitcnt lgkmcnt(0)
	v_pk_fma_f16 v48, v44, v53, v48 op_sel_hi:[1,0,1]
	v_pk_fma_f16 v51, v45, v53, v51 op_sel_hi:[1,0,1]
	v_pk_fma_f16 v50, v46, v53, v50 op_sel_hi:[1,0,1]
	v_pk_fma_f16 v49, v47, v53, v49 op_sel_hi:[1,0,1]
	ds_read2_b64 v[44:47], v1 offset1:32
	;; [unrolled: 6-line block ×7, first 2 shown]
	s_waitcnt lgkmcnt(0)
	s_barrier
	buffer_store_dword v28, off, s[0:3], 0
	buffer_store_dword v28, off, s[0:3], 0 offset:8
	buffer_store_dword v28, off, s[0:3], 0 offset:4
	;; [unrolled: 1-line block ×3, first 2 shown]
	v_pk_fma_f16 v48, v44, v59, v48 op_sel_hi:[1,0,1]
	v_mov_b32_e32 v44, s10
	v_addc_co_u32_e64 v11, s[6:7], v44, v11, s[6:7]
	v_add_co_u32_e64 v10, s[6:7], v10, v39
	v_addc_co_u32_e64 v11, s[6:7], 0, v11, s[6:7]
	v_cndmask_b32_e32 v11, v25, v11, vcc
	v_cndmask_b32_e32 v10, v24, v10, vcc
	v_pk_fma_f16 v51, v45, v59, v51 op_sel_hi:[1,0,1]
	v_pk_fma_f16 v50, v46, v59, v50 op_sel_hi:[1,0,1]
	v_pk_fma_f16 v49, v47, v59, v49 op_sel_hi:[1,0,1]
	flat_load_dwordx4 v[44:47], v[10:11]
	v_add_co_u32_e64 v2, s[6:7], s8, v2
	v_mov_b32_e32 v10, s10
	v_addc_co_u32_e64 v3, s[6:7], v10, v3, s[6:7]
	v_add_co_u32_e64 v2, s[6:7], v2, v39
	v_cmp_gt_i32_e32 vcc, s16, v29
	v_addc_co_u32_e64 v3, s[6:7], 0, v3, s[6:7]
	v_cndmask_b32_e32 v3, v25, v3, vcc
	v_cndmask_b32_e32 v2, v24, v2, vcc
	v_cmp_gt_i32_e32 vcc, s16, v27
	s_waitcnt vmcnt(0) lgkmcnt(0)
	ds_write_b128 v30, v[44:47]
	buffer_store_dword v28, off, s[0:3], 0
	buffer_store_dword v28, off, s[0:3], 0 offset:8
	buffer_store_dword v28, off, s[0:3], 0 offset:4
	;; [unrolled: 1-line block ×3, first 2 shown]
	flat_load_dwordx4 v[44:47], v[2:3]
	v_add_co_u32_e64 v2, s[6:7], s8, v8
	v_mov_b32_e32 v3, s10
	v_addc_co_u32_e64 v3, s[6:7], v3, v9, s[6:7]
	v_add_co_u32_e64 v2, s[6:7], v2, v39
	v_addc_co_u32_e64 v3, s[6:7], 0, v3, s[6:7]
	v_cndmask_b32_e32 v3, v25, v3, vcc
	v_cndmask_b32_e32 v2, v24, v2, vcc
	v_cmp_gt_i32_e32 vcc, s16, v22
	s_waitcnt vmcnt(0) lgkmcnt(0)
	ds_write_b128 v26, v[44:47]
	buffer_store_dword v28, off, s[0:3], 0
	buffer_store_dword v28, off, s[0:3], 0 offset:8
	buffer_store_dword v28, off, s[0:3], 0 offset:4
	;; [unrolled: 1-line block ×3, first 2 shown]
	flat_load_dwordx4 v[8:11], v[2:3]
	v_add_co_u32_e64 v2, s[6:7], s8, v6
	v_mov_b32_e32 v3, s10
	v_addc_co_u32_e64 v3, s[6:7], v3, v7, s[6:7]
	v_add_co_u32_e64 v2, s[6:7], v2, v39
	v_addc_co_u32_e64 v3, s[6:7], 0, v3, s[6:7]
	v_cndmask_b32_e32 v3, v25, v3, vcc
	v_cndmask_b32_e32 v2, v24, v2, vcc
	s_waitcnt vmcnt(0) lgkmcnt(0)
	ds_write_b128 v23, v[8:11]
	buffer_store_dword v28, off, s[0:3], 0
	buffer_store_dword v28, off, s[0:3], 0 offset:8
	buffer_store_dword v28, off, s[0:3], 0 offset:4
	;; [unrolled: 1-line block ×3, first 2 shown]
	flat_load_dwordx4 v[6:9], v[2:3]
	s_waitcnt vmcnt(0) lgkmcnt(0)
	ds_write_b128 v21, v[6:9]
	s_waitcnt lgkmcnt(0)
	s_barrier
	ds_read2_b64 v[6:9], v32 offset1:32
	ds_read_u16 v2, v31 offset:192
	ds_read_u16 v3, v31 offset:200
	;; [unrolled: 1-line block ×8, first 2 shown]
	s_waitcnt lgkmcnt(7)
	v_pk_fma_f16 v25, v6, v2, v48 op_sel_hi:[1,0,1]
	v_pk_fma_f16 v26, v7, v2, v51 op_sel_hi:[1,0,1]
	v_pk_fma_f16 v27, v8, v2, v50 op_sel_hi:[1,0,1]
	v_pk_fma_f16 v2, v9, v2, v49 op_sel_hi:[1,0,1]
	ds_read2_b64 v[6:9], v0 offset1:32
	s_waitcnt lgkmcnt(0)
	v_pk_fma_f16 v6, v6, v3, v25 op_sel_hi:[1,0,1]
	v_pk_fma_f16 v7, v7, v3, v26 op_sel_hi:[1,0,1]
	v_pk_fma_f16 v8, v8, v3, v27 op_sel_hi:[1,0,1]
	v_pk_fma_f16 v9, v9, v3, v2 op_sel_hi:[1,0,1]
	ds_read2_b64 v[0:3], v1 offset1:32
	;; [unrolled: 6-line block ×7, first 2 shown]
	s_waitcnt lgkmcnt(0)
	s_barrier
	v_pk_fma_f16 v0, v0, v24, v6 op_sel_hi:[1,0,1]
	v_pk_fma_f16 v1, v1, v24, v7 op_sel_hi:[1,0,1]
	v_pk_fma_f16 v2, v2, v24, v8 op_sel_hi:[1,0,1]
	v_pk_fma_f16 v3, v3, v24, v9 op_sel_hi:[1,0,1]
	v_mov_b32_e32 v8, v20
	v_mov_b32_e32 v20, v41
.LBB55_27:
	v_cmp_lt_i32_e32 vcc, v15, v14
	v_cndmask_b32_e32 v6, v12, v15, vcc
	v_lshlrev_b32_e32 v6, 2, v6
	ds_bpermute_b32 v6, v6, v13
	v_cmp_lt_i32_e32 vcc, v16, v14
	v_cndmask_b32_e32 v7, v12, v16, vcc
	v_lshlrev_b32_e32 v7, 2, v7
	v_cmp_lt_i32_e32 vcc, v17, v14
	s_waitcnt lgkmcnt(0)
	v_add_f32_e32 v6, v13, v6
	ds_bpermute_b32 v7, v7, v6
	v_cndmask_b32_e32 v9, v12, v17, vcc
	v_lshlrev_b32_e32 v9, 2, v9
	v_cmp_lt_i32_e32 vcc, v18, v14
	v_cmp_ne_u32_e64 s[6:7], 0, v20
	s_waitcnt lgkmcnt(0)
	v_add_f32_e32 v6, v6, v7
	ds_bpermute_b32 v7, v9, v6
	v_cndmask_b32_e32 v9, v12, v18, vcc
	v_lshlrev_b32_e32 v9, 2, v9
	v_cmp_lt_i32_e32 vcc, v19, v14
	s_waitcnt lgkmcnt(0)
	v_add_f32_e32 v6, v6, v7
	ds_bpermute_b32 v7, v9, v6
	v_cndmask_b32_e32 v9, v12, v19, vcc
	v_lshlrev_b32_e32 v9, 2, v9
	v_cmp_eq_u32_e32 vcc, 0, v20
	s_waitcnt lgkmcnt(0)
	v_add_f32_e32 v6, v6, v7
	ds_bpermute_b32 v7, v9, v6
	s_waitcnt lgkmcnt(0)
	v_add_f32_e32 v9, v6, v7
	s_and_saveexec_b64 s[10:11], s[6:7]
	s_xor_b64 s[10:11], exec, s[10:11]
	s_cbranch_execnz .LBB55_31
; %bb.28:
	s_andn2_saveexec_b64 s[6:7], s[10:11]
	s_cbranch_execnz .LBB55_34
.LBB55_29:
	s_or_b64 exec, exec, s[6:7]
	s_and_saveexec_b64 s[6:7], vcc
	s_cbranch_execnz .LBB55_35
.LBB55_30:
	s_endpgm
.LBB55_31:
	v_lshl_add_u32 v6, v38, 2, v39
	v_cmp_eq_u32_e64 s[6:7], 0, v5
	ds_write_b128 v6, v[0:3]
	s_and_saveexec_b64 s[12:13], s[6:7]
	s_cbranch_execz .LBB55_33
; %bb.32:
	ds_write_b32 v40, v9 offset:18432
.LBB55_33:
	s_or_b64 exec, exec, s[12:13]
                                        ; implicit-def: $vgpr37
                                        ; implicit-def: $vgpr40
	s_andn2_saveexec_b64 s[6:7], s[10:11]
	s_cbranch_execz .LBB55_29
.LBB55_34:
	v_lshlrev_b32_e32 v6, 9, v37
	v_lshl_add_u32 v18, v4, 2, v6
	s_waitcnt lgkmcnt(0)
	s_barrier
	ds_read_b128 v[10:13], v18 offset:512
	ds_read_b128 v[14:17], v18 offset:1024
	s_waitcnt lgkmcnt(1)
	v_pk_add_f16 v10, v10, v0
	v_add_u32_e32 v0, 0x4804, v40
	ds_read2_b32 v[6:7], v0 offset1:1
	v_pk_add_f16 v11, v11, v1
	v_pk_add_f16 v12, v12, v2
	;; [unrolled: 1-line block ×3, first 2 shown]
	ds_read_b128 v[0:3], v18 offset:1536
	s_waitcnt lgkmcnt(1)
	v_add_f32_e32 v6, v9, v6
	v_add_f32_e32 v6, v6, v7
	ds_read_b32 v7, v40 offset:18444
	v_pk_add_f16 v9, v14, v10
	v_pk_add_f16 v10, v15, v11
	;; [unrolled: 1-line block ×4, first 2 shown]
	s_waitcnt lgkmcnt(1)
	v_pk_add_f16 v0, v0, v9
	v_pk_add_f16 v1, v1, v10
	;; [unrolled: 1-line block ×4, first 2 shown]
	s_waitcnt lgkmcnt(0)
	v_add_f32_e32 v9, v6, v7
	s_or_b64 exec, exec, s[6:7]
	s_and_saveexec_b64 s[6:7], vcc
	s_cbranch_execz .LBB55_30
.LBB55_35:
	s_cmp_eq_u64 s[24:25], 0
	s_cselect_b64 s[6:7], -1, 0
	s_cmp_lg_u32 s9, 0
	s_cselect_b64 s[10:11], -1, 0
	s_or_b64 s[6:7], s[10:11], s[6:7]
	s_and_b64 vcc, exec, s[6:7]
	s_cbranch_vccnz .LBB55_37
; %bb.36:
	s_lshl_b64 s[6:7], s[34:35], 2
	s_add_u32 s6, s24, s6
	s_addc_u32 s7, s25, s7
	v_mov_b32_e32 v6, 0
	global_load_dword v7, v6, s[6:7]
	v_max_f32_e32 v6, v8, v8
	s_mov_b32 s6, 0x3fb8aa3b
	s_mov_b32 s7, 0xc2ce8ed0
	s_waitcnt vmcnt(0)
	v_max_f32_e32 v10, v7, v7
	v_max_f32_e32 v6, v6, v10
	v_sub_f32_e32 v8, v8, v6
	v_sub_f32_e32 v7, v7, v6
	v_mul_f32_e32 v10, 0x3fb8aa3b, v8
	v_mul_f32_e32 v11, 0x3fb8aa3b, v7
	v_fma_f32 v12, v8, s6, -v10
	v_rndne_f32_e32 v13, v10
	v_fma_f32 v14, v7, s6, -v11
	v_rndne_f32_e32 v15, v11
	v_fmac_f32_e32 v12, 0x32a5705f, v8
	v_sub_f32_e32 v10, v10, v13
	v_fmac_f32_e32 v14, 0x32a5705f, v7
	v_sub_f32_e32 v11, v11, v15
	v_add_f32_e32 v10, v10, v12
	v_cvt_i32_f32_e32 v13, v13
	v_add_f32_e32 v11, v11, v14
	v_exp_f32_e32 v10, v10
	v_cvt_i32_f32_e32 v15, v15
	v_exp_f32_e32 v11, v11
	v_cmp_ngt_f32_e32 vcc, s7, v8
	v_ldexp_f32 v10, v10, v13
	s_mov_b32 s6, 0x42b17218
	v_ldexp_f32 v11, v11, v15
	v_cndmask_b32_e32 v10, 0, v10, vcc
	v_cmp_ngt_f32_e32 vcc, s7, v7
	v_mov_b32_e32 v12, 0x7f800000
	v_cndmask_b32_e32 v11, 0, v11, vcc
	v_cmp_nlt_f32_e32 vcc, s6, v8
	v_cndmask_b32_e32 v8, v12, v10, vcc
	v_cvt_f16_f32_e32 v10, v8
	v_cmp_nlt_f32_e32 vcc, s6, v7
	v_cndmask_b32_e32 v7, v12, v11, vcc
	v_fmac_f32_e32 v7, v9, v8
	v_pk_mul_f16 v0, v10, v0 op_sel_hi:[0,1]
	v_pk_mul_f16 v1, v10, v1 op_sel_hi:[0,1]
	;; [unrolled: 1-line block ×4, first 2 shown]
	v_pk_mov_b32 v[8:9], v[6:7], v[6:7] op_sel:[0,1]
	v_cmp_gt_i32_e32 vcc, s38, v36
	s_and_b64 exec, exec, vcc
	s_cbranch_execz .LBB55_30
	s_branch .LBB55_38
.LBB55_37:
	v_mov_b32_e32 v7, v9
	v_cmp_gt_i32_e32 vcc, s38, v36
	s_and_b64 exec, exec, vcc
	s_cbranch_execz .LBB55_30
.LBB55_38:
	s_load_dword s6, s[4:5], 0xd4
	v_div_scale_f32 v6, s[4:5], v7, v7, 1.0
	v_rcp_f32_e32 v10, v6
	s_mul_i32 s33, s33, s38
	s_waitcnt lgkmcnt(0)
	s_cmp_lg_u32 s6, 1
	s_cselect_b64 s[4:5], -1, 0
	v_fma_f32 v11, -v6, v10, 1.0
	v_fmac_f32_e32 v10, v11, v10
	v_div_scale_f32 v11, vcc, 1.0, v7, 1.0
	v_mul_f32_e32 v12, v11, v10
	v_fma_f32 v13, -v6, v12, v11
	v_fmac_f32_e32 v12, v13, v10
	v_fma_f32 v6, -v6, v12, v11
	v_div_fmas_f32 v6, v6, v10, v12
	v_div_fixup_f32 v6, v6, v7, 1.0
	v_cndmask_b32_e64 v14, v6, 1.0, s[4:5]
	v_add_u32_e32 v6, s33, v36
	v_mul_lo_u32 v6, v6, s39
	v_add_u32_e32 v6, s34, v6
	v_mul_lo_u32 v6, s6, v6
	v_add_u32_e32 v6, s9, v6
	v_cvt_f32_f16_sdwa v13, v0 dst_sel:DWORD dst_unused:UNUSED_PAD src0_sel:WORD_1
	v_cvt_f32_f16_e32 v12, v0
	v_cvt_f32_f16_sdwa v19, v1 dst_sel:DWORD dst_unused:UNUSED_PAD src0_sel:WORD_1
	v_cvt_f32_f16_e32 v18, v1
	v_lshl_add_u32 v16, v6, 8, v4
	v_mov_b32_e32 v17, 0
	v_lshlrev_b64 v[10:11], 2, v[16:17]
	v_mov_b32_e32 v4, s29
	v_add_co_u32_e32 v0, vcc, s28, v10
	v_addc_co_u32_e32 v1, vcc, v4, v11, vcc
	v_pk_mul_f32 v[10:11], v[14:15], v[12:13] op_sel_hi:[0,1]
	v_pk_mul_f32 v[12:13], v[14:15], v[18:19] op_sel_hi:[0,1]
	v_add_u32_e32 v16, 0x80, v16
	global_store_dwordx4 v[0:1], v[10:13], off
	v_lshlrev_b64 v[0:1], 2, v[16:17]
	v_cvt_f32_f16_sdwa v11, v2 dst_sel:DWORD dst_unused:UNUSED_PAD src0_sel:WORD_1
	v_cvt_f32_f16_e32 v10, v2
	v_cvt_f32_f16_sdwa v13, v3 dst_sel:DWORD dst_unused:UNUSED_PAD src0_sel:WORD_1
	v_cvt_f32_f16_e32 v12, v3
	v_add_co_u32_e32 v16, vcc, s28, v0
	v_addc_co_u32_e32 v17, vcc, v4, v1, vcc
	v_cmp_eq_u32_e32 vcc, 0, v5
	v_pk_mul_f32 v[0:1], v[14:15], v[10:11] op_sel_hi:[0,1]
	v_pk_mul_f32 v[2:3], v[14:15], v[12:13] op_sel_hi:[0,1]
	s_and_b64 s[4:5], vcc, s[4:5]
	global_store_dwordx4 v[16:17], v[0:3], off
	s_and_b64 exec, exec, s[4:5]
	s_cbranch_execz .LBB55_30
; %bb.39:
	v_ashrrev_i32_e32 v7, 31, v6
	v_lshlrev_b64 v[0:1], 3, v[6:7]
	v_mov_b32_e32 v2, s31
	v_add_co_u32_e32 v0, vcc, s30, v0
	v_addc_co_u32_e32 v1, vcc, v2, v1, vcc
	global_store_dwordx2 v[0:1], v[8:9], off
	s_endpgm
	.section	.rodata,"a",@progbits
	.p2align	6, 0x0
	.amdhsa_kernel _ZL15flash_attn_tileILi256ELi256ELi2ELi1ELb0EEvPKcS1_S1_S1_S1_PKiPfP15HIP_vector_typeIfLj2EEffffjfiS5_IjLj3EEiiiiiiiiiiiliiliiiiil
		.amdhsa_group_segment_fixed_size 20032
		.amdhsa_private_segment_fixed_size 32
		.amdhsa_kernarg_size 464
		.amdhsa_user_sgpr_count 8
		.amdhsa_user_sgpr_private_segment_buffer 1
		.amdhsa_user_sgpr_dispatch_ptr 0
		.amdhsa_user_sgpr_queue_ptr 0
		.amdhsa_user_sgpr_kernarg_segment_ptr 1
		.amdhsa_user_sgpr_dispatch_id 0
		.amdhsa_user_sgpr_flat_scratch_init 1
		.amdhsa_user_sgpr_kernarg_preload_length 0
		.amdhsa_user_sgpr_kernarg_preload_offset 0
		.amdhsa_user_sgpr_private_segment_size 0
		.amdhsa_uses_dynamic_stack 0
		.amdhsa_system_sgpr_private_segment_wavefront_offset 1
		.amdhsa_system_sgpr_workgroup_id_x 1
		.amdhsa_system_sgpr_workgroup_id_y 1
		.amdhsa_system_sgpr_workgroup_id_z 1
		.amdhsa_system_sgpr_workgroup_info 0
		.amdhsa_system_vgpr_workitem_id 1
		.amdhsa_next_free_vgpr 92
		.amdhsa_next_free_sgpr 56
		.amdhsa_accum_offset 92
		.amdhsa_reserve_vcc 1
		.amdhsa_reserve_flat_scratch 1
		.amdhsa_float_round_mode_32 0
		.amdhsa_float_round_mode_16_64 0
		.amdhsa_float_denorm_mode_32 3
		.amdhsa_float_denorm_mode_16_64 3
		.amdhsa_dx10_clamp 1
		.amdhsa_ieee_mode 1
		.amdhsa_fp16_overflow 0
		.amdhsa_tg_split 0
		.amdhsa_exception_fp_ieee_invalid_op 0
		.amdhsa_exception_fp_denorm_src 0
		.amdhsa_exception_fp_ieee_div_zero 0
		.amdhsa_exception_fp_ieee_overflow 0
		.amdhsa_exception_fp_ieee_underflow 0
		.amdhsa_exception_fp_ieee_inexact 0
		.amdhsa_exception_int_div_zero 0
	.end_amdhsa_kernel
	.section	.text._ZL15flash_attn_tileILi256ELi256ELi2ELi1ELb0EEvPKcS1_S1_S1_S1_PKiPfP15HIP_vector_typeIfLj2EEffffjfiS5_IjLj3EEiiiiiiiiiiiliiliiiiil,"axG",@progbits,_ZL15flash_attn_tileILi256ELi256ELi2ELi1ELb0EEvPKcS1_S1_S1_S1_PKiPfP15HIP_vector_typeIfLj2EEffffjfiS5_IjLj3EEiiiiiiiiiiiliiliiiiil,comdat
.Lfunc_end55:
	.size	_ZL15flash_attn_tileILi256ELi256ELi2ELi1ELb0EEvPKcS1_S1_S1_S1_PKiPfP15HIP_vector_typeIfLj2EEffffjfiS5_IjLj3EEiiiiiiiiiiiliiliiiiil, .Lfunc_end55-_ZL15flash_attn_tileILi256ELi256ELi2ELi1ELb0EEvPKcS1_S1_S1_S1_PKiPfP15HIP_vector_typeIfLj2EEffffjfiS5_IjLj3EEiiiiiiiiiiiliiliiiiil
                                        ; -- End function
	.section	.AMDGPU.csdata,"",@progbits
; Kernel info:
; codeLenInByte = 16920
; NumSgprs: 62
; NumVgprs: 92
; NumAgprs: 0
; TotalNumVgprs: 92
; ScratchSize: 32
; MemoryBound: 0
; FloatMode: 240
; IeeeMode: 1
; LDSByteSize: 20032 bytes/workgroup (compile time only)
; SGPRBlocks: 7
; VGPRBlocks: 11
; NumSGPRsForWavesPerEU: 62
; NumVGPRsForWavesPerEU: 92
; AccumOffset: 92
; Occupancy: 3
; WaveLimiterHint : 1
; COMPUTE_PGM_RSRC2:SCRATCH_EN: 1
; COMPUTE_PGM_RSRC2:USER_SGPR: 8
; COMPUTE_PGM_RSRC2:TRAP_HANDLER: 0
; COMPUTE_PGM_RSRC2:TGID_X_EN: 1
; COMPUTE_PGM_RSRC2:TGID_Y_EN: 1
; COMPUTE_PGM_RSRC2:TGID_Z_EN: 1
; COMPUTE_PGM_RSRC2:TIDIG_COMP_CNT: 1
; COMPUTE_PGM_RSRC3_GFX90A:ACCUM_OFFSET: 22
; COMPUTE_PGM_RSRC3_GFX90A:TG_SPLIT: 0
	.section	.text._ZL33flash_attn_stream_k_fixup_uniformILi256ELi2ELi1EEvPfPK15HIP_vector_typeIfLj2EEiiiiiiS1_IjLj3EES5_S5_,"axG",@progbits,_ZL33flash_attn_stream_k_fixup_uniformILi256ELi2ELi1EEvPfPK15HIP_vector_typeIfLj2EEiiiiiiS1_IjLj3EES5_S5_,comdat
	.globl	_ZL33flash_attn_stream_k_fixup_uniformILi256ELi2ELi1EEvPfPK15HIP_vector_typeIfLj2EEiiiiiiS1_IjLj3EES5_S5_ ; -- Begin function _ZL33flash_attn_stream_k_fixup_uniformILi256ELi2ELi1EEvPfPK15HIP_vector_typeIfLj2EEiiiiiiS1_IjLj3EES5_S5_
	.p2align	8
	.type	_ZL33flash_attn_stream_k_fixup_uniformILi256ELi2ELi1EEvPfPK15HIP_vector_typeIfLj2EEiiiiiiS1_IjLj3EES5_S5_,@function
_ZL33flash_attn_stream_k_fixup_uniformILi256ELi2ELi1EEvPfPK15HIP_vector_typeIfLj2EEiiiiiiS1_IjLj3EES5_S5_: ; @_ZL33flash_attn_stream_k_fixup_uniformILi256ELi2ELi1EEvPfPK15HIP_vector_typeIfLj2EEiiiiiiS1_IjLj3EES5_S5_
; %bb.0:
	s_load_dwordx8 s[12:19], s[4:5], 0x1c
	s_load_dwordx2 s[10:11], s[4:5], 0x10
	s_load_dwordx4 s[0:3], s[4:5], 0x3c
	s_waitcnt lgkmcnt(0)
	s_mul_hi_u32 s9, s15, s6
	s_add_i32 s9, s6, s9
	s_lshr_b32 s9, s9, s16
	s_mul_i32 s15, s9, s17
	s_sub_i32 s15, s6, s15
	s_mul_hi_u32 s16, s15, s18
	s_add_i32 s16, s15, s16
	s_lshr_b32 s16, s16, s19
	s_mul_i32 s0, s16, s0
	s_sub_i32 s0, s15, s0
	;; [unrolled: 5-line block ×3, first 2 shown]
	s_lshl_b32 s0, s17, 1
	s_add_i32 s0, s0, s7
	s_cmp_lt_i32 s0, s10
	s_cselect_b64 s[0:1], -1, 0
	s_add_i32 s2, s15, s8
	s_cmp_lt_i32 s2, s13
	s_cselect_b64 s[2:3], -1, 0
	s_and_b64 s[0:1], s[0:1], s[2:3]
	s_andn2_b64 vcc, exec, s[0:1]
	s_cbranch_vccnz .LBB56_6
; %bb.1:
	s_load_dwordx4 s[0:3], s[4:5], 0x0
	s_mul_i32 s4, s9, s10
	s_add_i32 s4, s4, s7
	s_mul_i32 s4, s4, s11
	s_mul_i32 s16, s16, s13
	s_add_i32 s4, s4, s8
	s_add_i32 s4, s4, s16
	s_mul_i32 s5, s11, s17
	s_add_i32 s4, s4, s15
	s_lshl_b32 s5, s5, 9
	s_lshl_b32 s4, s4, 8
	s_add_i32 s5, s5, s4
	v_or_b32_e32 v2, s5, v0
	v_ashrrev_i32_e32 v3, 31, v2
	v_lshlrev_b64 v[2:3], 2, v[2:3]
	s_waitcnt lgkmcnt(0)
	v_mov_b32_e32 v1, s1
	v_add_co_u32_e32 v2, vcc, s0, v2
	v_addc_co_u32_e32 v3, vcc, v1, v3, vcc
	global_load_dword v8, v[2:3], off
	s_add_i32 s4, s7, s8
	s_mul_i32 s7, s6, s14
	s_add_i32 s5, s7, s14
	s_lshl_b32 s0, s5, 1
	s_add_i32 s0, s4, s0
	s_add_i32 s0, s0, -2
	s_ashr_i32 s1, s0, 31
	s_lshl_b64 s[0:1], s[0:1], 3
	s_add_u32 s0, s2, s0
	s_addc_u32 s1, s3, s1
	s_load_dword s10, s[0:1], 0x4
	s_add_i32 s8, s5, -2
	s_cmp_lt_i32 s8, s7
	s_cbranch_scc1 .LBB56_4
; %bb.2:
	s_lshl_b32 s8, s12, 3
	s_ashr_i32 s9, s8, 31
	s_lshl_b64 s[8:9], s[8:9], 2
	s_add_u32 s8, s2, s8
	s_addc_u32 s11, s3, s9
	s_add_i32 s6, s6, 1
	s_add_i32 s9, s5, -1
	s_mul_i32 s5, s14, s6
	s_load_dword s0, s[0:1], 0x0
	s_lshl_b32 s1, s4, 8
	s_lshl_b32 s6, s5, 9
	s_add_i32 s1, s1, s6
	v_or_b32_e32 v0, s1, v0
	s_lshl_b32 s1, s5, 1
	s_add_i32 s1, s4, s1
	s_lshl_b32 s4, s12, 1
	s_add_i32 s1, s1, s4
	v_add_u32_e32 v0, 0xfffffc00, v0
	s_add_i32 s4, s1, -4
	s_waitcnt lgkmcnt(0)
	v_mov_b32_e32 v7, s10
	v_mov_b32_e32 v6, s0
	;; [unrolled: 1-line block ×3, first 2 shown]
	s_mov_b32 s6, 0x3fb8aa3b
	s_mov_b32 s10, 0xc2ce8ed0
	s_mov_b32 s11, 0x42b17218
	v_mov_b32_e32 v5, 0x7f800000
	s_mov_b32 s12, 0xc1a00000
.LBB56_3:                               ; =>This Inner Loop Header: Depth=1
	v_ashrrev_i32_e32 v1, 31, v0
	v_lshlrev_b64 v[10:11], 2, v[0:1]
	v_add_co_u32_e32 v10, vcc, s8, v10
	v_addc_co_u32_e32 v11, vcc, v4, v11, vcc
	global_load_dword v1, v[10:11], off
	s_ashr_i32 s5, s4, 31
	s_lshl_b64 s[0:1], s[4:5], 3
	s_add_u32 s0, s2, s0
	s_addc_u32 s1, s3, s1
	s_load_dwordx2 s[14:15], s[0:1], 0x0
	s_waitcnt vmcnt(1)
	v_mov_b32_e32 v9, v8
	v_max_f32_e32 v8, v6, v6
	v_mov_b32_e32 v10, v7
	s_add_i32 s9, s9, -1
	s_waitcnt lgkmcnt(0)
	v_max_f32_e64 v7, s14, s14
	v_max_f32_e32 v7, v8, v7
	v_sub_f32_e32 v11, s14, v7
	v_sub_f32_e32 v8, v6, v7
	v_mul_f32_e32 v12, 0x3fb8aa3b, v11
	v_mov_b32_e32 v6, v7
	v_mul_f32_e32 v7, 0x3fb8aa3b, v8
	v_fma_f32 v15, v11, s6, -v12
	v_rndne_f32_e32 v16, v12
	v_fma_f32 v13, v8, s6, -v7
	v_rndne_f32_e32 v14, v7
	v_fmac_f32_e32 v15, 0x32a5705f, v11
	v_sub_f32_e32 v12, v12, v16
	v_fmac_f32_e32 v13, 0x32a5705f, v8
	v_sub_f32_e32 v7, v7, v14
	v_add_f32_e32 v12, v12, v15
	v_cvt_i32_f32_e32 v16, v16
	v_add_f32_e32 v7, v7, v13
	v_exp_f32_e32 v12, v12
	v_cvt_i32_f32_e32 v14, v14
	v_exp_f32_e32 v7, v7
	v_cmp_ngt_f32_e32 vcc, s10, v11
	v_ldexp_f32 v12, v12, v16
	v_cmp_ngt_f32_e64 s[0:1], s10, v8
	v_ldexp_f32 v7, v7, v14
	v_cndmask_b32_e32 v12, 0, v12, vcc
	v_cmp_nlt_f32_e32 vcc, s11, v11
	v_cndmask_b32_e64 v7, 0, v7, s[0:1]
	v_cmp_nlt_f32_e64 s[0:1], s11, v8
	v_cndmask_b32_e32 v12, v5, v12, vcc
	v_cmp_le_f32_e32 vcc, s12, v11
	v_cndmask_b32_e64 v7, v5, v7, s[0:1]
	v_cmp_le_f32_e64 s[0:1], s12, v8
	v_cndmask_b32_e32 v8, 0, v12, vcc
	s_add_i32 s4, s4, -2
	v_cndmask_b32_e64 v11, 0, v7, s[0:1]
	v_mul_f32_e32 v7, s15, v8
	v_add_u32_e32 v0, 0xfffffe00, v0
	s_cmp_le_i32 s9, s7
	v_fmac_f32_e32 v7, v10, v11
	s_waitcnt vmcnt(0)
	v_mul_f32_e32 v8, v1, v8
	v_fmac_f32_e32 v8, v9, v11
	s_cbranch_scc0 .LBB56_3
	s_branch .LBB56_5
.LBB56_4:
	s_waitcnt lgkmcnt(0)
	v_mov_b32_e32 v7, s10
.LBB56_5:
	s_waitcnt vmcnt(0)
	v_div_scale_f32 v0, s[0:1], v7, v7, v8
	v_rcp_f32_e32 v1, v0
	v_div_scale_f32 v4, vcc, v8, v7, v8
	v_fma_f32 v5, -v0, v1, 1.0
	v_fmac_f32_e32 v1, v5, v1
	v_mul_f32_e32 v5, v4, v1
	v_fma_f32 v6, -v0, v5, v4
	v_fmac_f32_e32 v5, v6, v1
	v_fma_f32 v0, -v0, v5, v4
	v_div_fmas_f32 v0, v0, v1, v5
	v_div_fixup_f32 v0, v0, v7, v8
	global_store_dword v[2:3], v0, off
.LBB56_6:
	s_endpgm
	.section	.rodata,"a",@progbits
	.p2align	6, 0x0
	.amdhsa_kernel _ZL33flash_attn_stream_k_fixup_uniformILi256ELi2ELi1EEvPfPK15HIP_vector_typeIfLj2EEiiiiiiS1_IjLj3EES5_S5_
		.amdhsa_group_segment_fixed_size 0
		.amdhsa_private_segment_fixed_size 0
		.amdhsa_kernarg_size 76
		.amdhsa_user_sgpr_count 6
		.amdhsa_user_sgpr_private_segment_buffer 1
		.amdhsa_user_sgpr_dispatch_ptr 0
		.amdhsa_user_sgpr_queue_ptr 0
		.amdhsa_user_sgpr_kernarg_segment_ptr 1
		.amdhsa_user_sgpr_dispatch_id 0
		.amdhsa_user_sgpr_flat_scratch_init 0
		.amdhsa_user_sgpr_kernarg_preload_length 0
		.amdhsa_user_sgpr_kernarg_preload_offset 0
		.amdhsa_user_sgpr_private_segment_size 0
		.amdhsa_uses_dynamic_stack 0
		.amdhsa_system_sgpr_private_segment_wavefront_offset 0
		.amdhsa_system_sgpr_workgroup_id_x 1
		.amdhsa_system_sgpr_workgroup_id_y 1
		.amdhsa_system_sgpr_workgroup_id_z 1
		.amdhsa_system_sgpr_workgroup_info 0
		.amdhsa_system_vgpr_workitem_id 0
		.amdhsa_next_free_vgpr 17
		.amdhsa_next_free_sgpr 20
		.amdhsa_accum_offset 20
		.amdhsa_reserve_vcc 1
		.amdhsa_reserve_flat_scratch 0
		.amdhsa_float_round_mode_32 0
		.amdhsa_float_round_mode_16_64 0
		.amdhsa_float_denorm_mode_32 3
		.amdhsa_float_denorm_mode_16_64 3
		.amdhsa_dx10_clamp 1
		.amdhsa_ieee_mode 1
		.amdhsa_fp16_overflow 0
		.amdhsa_tg_split 0
		.amdhsa_exception_fp_ieee_invalid_op 0
		.amdhsa_exception_fp_denorm_src 0
		.amdhsa_exception_fp_ieee_div_zero 0
		.amdhsa_exception_fp_ieee_overflow 0
		.amdhsa_exception_fp_ieee_underflow 0
		.amdhsa_exception_fp_ieee_inexact 0
		.amdhsa_exception_int_div_zero 0
	.end_amdhsa_kernel
	.section	.text._ZL33flash_attn_stream_k_fixup_uniformILi256ELi2ELi1EEvPfPK15HIP_vector_typeIfLj2EEiiiiiiS1_IjLj3EES5_S5_,"axG",@progbits,_ZL33flash_attn_stream_k_fixup_uniformILi256ELi2ELi1EEvPfPK15HIP_vector_typeIfLj2EEiiiiiiS1_IjLj3EES5_S5_,comdat
.Lfunc_end56:
	.size	_ZL33flash_attn_stream_k_fixup_uniformILi256ELi2ELi1EEvPfPK15HIP_vector_typeIfLj2EEiiiiiiS1_IjLj3EES5_S5_, .Lfunc_end56-_ZL33flash_attn_stream_k_fixup_uniformILi256ELi2ELi1EEvPfPK15HIP_vector_typeIfLj2EEiiiiiiS1_IjLj3EES5_S5_
                                        ; -- End function
	.section	.AMDGPU.csdata,"",@progbits
; Kernel info:
; codeLenInByte = 836
; NumSgprs: 24
; NumVgprs: 17
; NumAgprs: 0
; TotalNumVgprs: 17
; ScratchSize: 0
; MemoryBound: 0
; FloatMode: 240
; IeeeMode: 1
; LDSByteSize: 0 bytes/workgroup (compile time only)
; SGPRBlocks: 2
; VGPRBlocks: 2
; NumSGPRsForWavesPerEU: 24
; NumVGPRsForWavesPerEU: 17
; AccumOffset: 20
; Occupancy: 8
; WaveLimiterHint : 0
; COMPUTE_PGM_RSRC2:SCRATCH_EN: 0
; COMPUTE_PGM_RSRC2:USER_SGPR: 6
; COMPUTE_PGM_RSRC2:TRAP_HANDLER: 0
; COMPUTE_PGM_RSRC2:TGID_X_EN: 1
; COMPUTE_PGM_RSRC2:TGID_Y_EN: 1
; COMPUTE_PGM_RSRC2:TGID_Z_EN: 1
; COMPUTE_PGM_RSRC2:TIDIG_COMP_CNT: 0
; COMPUTE_PGM_RSRC3_GFX90A:ACCUM_OFFSET: 4
; COMPUTE_PGM_RSRC3_GFX90A:TG_SPLIT: 0
	.section	.text._ZL33flash_attn_stream_k_fixup_generalILi256ELi2ELi1EEvPfPK15HIP_vector_typeIfLj2EEiiiiS1_IjLj3EES5_S5_S5_,"axG",@progbits,_ZL33flash_attn_stream_k_fixup_generalILi256ELi2ELi1EEvPfPK15HIP_vector_typeIfLj2EEiiiiS1_IjLj3EES5_S5_S5_,comdat
	.globl	_ZL33flash_attn_stream_k_fixup_generalILi256ELi2ELi1EEvPfPK15HIP_vector_typeIfLj2EEiiiiS1_IjLj3EES5_S5_S5_ ; -- Begin function _ZL33flash_attn_stream_k_fixup_generalILi256ELi2ELi1EEvPfPK15HIP_vector_typeIfLj2EEiiiiS1_IjLj3EES5_S5_S5_
	.p2align	8
	.type	_ZL33flash_attn_stream_k_fixup_generalILi256ELi2ELi1EEvPfPK15HIP_vector_typeIfLj2EEiiiiS1_IjLj3EES5_S5_S5_,@function
_ZL33flash_attn_stream_k_fixup_generalILi256ELi2ELi1EEvPfPK15HIP_vector_typeIfLj2EEiiiiS1_IjLj3EES5_S5_S5_: ; @_ZL33flash_attn_stream_k_fixup_generalILi256ELi2ELi1EEvPfPK15HIP_vector_typeIfLj2EEiiiiS1_IjLj3EES5_S5_S5_
; %bb.0:
	s_load_dwordx4 s[12:15], s[4:5], 0x10
	s_load_dword s9, s[4:5], 0x50
	s_mov_b32 s2, 0
	s_waitcnt lgkmcnt(0)
	s_mul_hi_i32 s3, s15, s6
	s_cmp_lg_u64 s[2:3], 0
	s_mul_i32 s2, s15, s6
	s_cbranch_scc0 .LBB57_21
; %bb.1:
	v_cvt_f32_u32_e32 v1, s9
	v_cvt_f32_ubyte0_e32 v2, 0
	s_sub_u32 s10, 0, s9
	s_subb_u32 s11, 0, 0
	v_madmk_f32 v1, v2, 0x4f800000, v1
	v_rcp_f32_e32 v1, v1
	v_mul_f32_e32 v1, 0x5f7ffffc, v1
	v_mul_f32_e32 v2, 0x2f800000, v1
	v_trunc_f32_e32 v2, v2
	v_madmk_f32 v1, v2, 0xcf800000, v1
	v_cvt_u32_f32_e32 v2, v2
	v_cvt_u32_f32_e32 v1, v1
	v_readfirstlane_b32 s16, v2
	v_readfirstlane_b32 s17, v1
	s_mul_i32 s18, s10, s16
	s_mul_hi_u32 s20, s10, s17
	s_mul_i32 s19, s11, s17
	s_add_i32 s18, s20, s18
	s_add_i32 s18, s18, s19
	s_mul_i32 s21, s10, s17
	s_mul_hi_u32 s19, s17, s18
	s_mul_i32 s20, s17, s18
	s_mul_hi_u32 s17, s17, s21
	s_add_u32 s17, s17, s20
	s_addc_u32 s19, 0, s19
	s_mul_hi_u32 s22, s16, s21
	s_mul_i32 s21, s16, s21
	s_add_u32 s17, s17, s21
	s_mul_hi_u32 s20, s16, s18
	s_addc_u32 s17, s19, s22
	s_addc_u32 s19, s20, 0
	s_mul_i32 s18, s16, s18
	s_add_u32 s17, s17, s18
	s_addc_u32 s18, 0, s19
	v_add_co_u32_e32 v1, vcc, s17, v1
	s_cmp_lg_u64 vcc, 0
	s_addc_u32 s16, s16, s18
	v_readfirstlane_b32 s18, v1
	s_mul_i32 s17, s10, s16
	s_mul_hi_u32 s19, s10, s18
	s_add_i32 s17, s19, s17
	s_mul_i32 s11, s11, s18
	s_add_i32 s17, s17, s11
	s_mul_i32 s10, s10, s18
	s_mul_hi_u32 s19, s16, s10
	s_mul_i32 s20, s16, s10
	s_mul_i32 s22, s18, s17
	s_mul_hi_u32 s10, s18, s10
	s_mul_hi_u32 s21, s18, s17
	s_add_u32 s10, s10, s22
	s_addc_u32 s18, 0, s21
	s_add_u32 s10, s10, s20
	s_mul_hi_u32 s11, s16, s17
	s_addc_u32 s10, s18, s19
	s_addc_u32 s11, s11, 0
	s_mul_i32 s17, s16, s17
	s_add_u32 s10, s10, s17
	s_addc_u32 s11, 0, s11
	v_add_co_u32_e32 v1, vcc, s10, v1
	s_cmp_lg_u64 vcc, 0
	s_addc_u32 s18, s16, s11
	s_ashr_i32 s10, s3, 31
	s_add_u32 s16, s2, s10
	s_mov_b32 s11, s10
	s_addc_u32 s17, s3, s10
	s_xor_b64 s[16:17], s[16:17], s[10:11]
	v_readfirstlane_b32 s20, v1
	s_mul_i32 s19, s16, s18
	s_mul_hi_u32 s21, s16, s20
	s_mul_hi_u32 s3, s16, s18
	s_add_u32 s19, s21, s19
	s_addc_u32 s3, 0, s3
	s_mul_hi_u32 s22, s17, s20
	s_mul_i32 s20, s17, s20
	s_add_u32 s19, s19, s20
	s_mul_hi_u32 s21, s17, s18
	s_addc_u32 s3, s3, s22
	s_addc_u32 s19, s21, 0
	s_mul_i32 s18, s17, s18
	s_add_u32 s3, s3, s18
	s_addc_u32 s18, 0, s19
	s_add_u32 s19, s3, 1
	s_addc_u32 s20, s18, 0
	s_add_u32 s21, s3, 2
	s_mul_i32 s23, s9, s18
	s_mul_hi_u32 s24, s9, s3
	s_addc_u32 s22, s18, 0
	s_add_i32 s24, s24, s23
	s_mul_i32 s23, s9, s3
	v_mov_b32_e32 v1, s23
	v_sub_co_u32_e32 v1, vcc, s16, v1
	s_cmp_lg_u64 vcc, 0
	s_subb_u32 s16, s17, s24
	v_subrev_co_u32_e32 v2, vcc, s9, v1
	s_cmp_lg_u64 vcc, 0
	s_subb_u32 s17, s16, 0
	v_readfirstlane_b32 s23, v2
	s_cmp_ge_u32 s23, s9
	s_cselect_b32 s23, -1, 0
	s_cmp_eq_u32 s17, 0
	s_cselect_b32 s17, s23, -1
	s_cmp_lg_u32 s17, 0
	s_cselect_b32 s17, s22, s20
	v_readfirstlane_b32 s20, v1
	s_cselect_b32 s19, s21, s19
	s_cmp_ge_u32 s20, s9
	s_cselect_b32 s20, -1, 0
	s_cmp_eq_u32 s16, 0
	s_cselect_b32 s16, s20, -1
	s_cmp_lg_u32 s16, 0
	s_cselect_b32 s17, s17, s18
	s_cselect_b32 s16, s19, s3
	s_xor_b64 s[16:17], s[16:17], s[10:11]
	s_sub_u32 s20, s16, s10
	s_load_dwordx4 s[16:19], s[4:5], 0x44
	s_cbranch_execnz .LBB57_3
.LBB57_2:
	v_cvt_f32_u32_e32 v1, s9
	s_sub_i32 s0, 0, s9
	v_rcp_iflag_f32_e32 v1, v1
	v_mul_f32_e32 v1, 0x4f7ffffe, v1
	v_cvt_u32_f32_e32 v1, v1
	v_readfirstlane_b32 s1, v1
	s_mul_i32 s0, s0, s1
	s_mul_hi_u32 s0, s1, s0
	s_add_i32 s1, s1, s0
	s_mul_hi_u32 s0, s2, s1
	s_mul_i32 s3, s0, s9
	s_sub_i32 s2, s2, s3
	s_add_i32 s1, s0, 1
	s_sub_i32 s3, s2, s9
	s_cmp_ge_u32 s2, s9
	s_cselect_b32 s0, s1, s0
	s_cselect_b32 s2, s3, s2
	s_add_i32 s1, s0, 1
	s_cmp_ge_u32 s2, s9
	s_cselect_b32 s20, s1, s0
.LBB57_3:
	s_add_i32 s0, s6, 1
	s_mul_hi_i32 s3, s15, s0
	s_mov_b32 s2, 0
	s_cmp_lg_u64 s[2:3], 0
	s_mul_i32 s2, s15, s0
	s_cbranch_scc0 .LBB57_22
; %bb.4:
	v_cvt_f32_u32_e32 v1, s9
	v_cvt_f32_ubyte0_e32 v2, 0
	s_sub_u32 s10, 0, s9
	s_subb_u32 s11, 0, 0
	v_madmk_f32 v1, v2, 0x4f800000, v1
	v_rcp_f32_e32 v1, v1
	v_mul_f32_e32 v1, 0x5f7ffffc, v1
	v_mul_f32_e32 v2, 0x2f800000, v1
	v_trunc_f32_e32 v2, v2
	v_madmk_f32 v1, v2, 0xcf800000, v1
	v_cvt_u32_f32_e32 v2, v2
	v_cvt_u32_f32_e32 v1, v1
	s_waitcnt lgkmcnt(0)
	v_readfirstlane_b32 s19, v2
	v_readfirstlane_b32 s21, v1
	s_mul_i32 s22, s10, s19
	s_mul_hi_u32 s24, s10, s21
	s_mul_i32 s23, s11, s21
	s_add_i32 s22, s24, s22
	s_add_i32 s22, s22, s23
	s_mul_i32 s25, s10, s21
	s_mul_hi_u32 s23, s21, s22
	s_mul_i32 s24, s21, s22
	s_mul_hi_u32 s21, s21, s25
	s_add_u32 s21, s21, s24
	s_addc_u32 s23, 0, s23
	s_mul_hi_u32 s26, s19, s25
	s_mul_i32 s25, s19, s25
	s_add_u32 s21, s21, s25
	s_mul_hi_u32 s24, s19, s22
	s_addc_u32 s21, s23, s26
	s_addc_u32 s23, s24, 0
	s_mul_i32 s22, s19, s22
	s_add_u32 s21, s21, s22
	s_addc_u32 s22, 0, s23
	v_add_co_u32_e32 v1, vcc, s21, v1
	s_cmp_lg_u64 vcc, 0
	s_addc_u32 s19, s19, s22
	v_readfirstlane_b32 s22, v1
	s_mul_i32 s21, s10, s19
	s_mul_hi_u32 s23, s10, s22
	s_add_i32 s21, s23, s21
	s_mul_i32 s11, s11, s22
	s_add_i32 s21, s21, s11
	s_mul_i32 s10, s10, s22
	s_mul_hi_u32 s23, s19, s10
	s_mul_i32 s24, s19, s10
	s_mul_i32 s26, s22, s21
	s_mul_hi_u32 s10, s22, s10
	s_mul_hi_u32 s25, s22, s21
	s_add_u32 s10, s10, s26
	s_addc_u32 s22, 0, s25
	s_add_u32 s10, s10, s24
	s_mul_hi_u32 s11, s19, s21
	s_addc_u32 s10, s22, s23
	s_addc_u32 s11, s11, 0
	s_mul_i32 s21, s19, s21
	s_add_u32 s10, s10, s21
	s_addc_u32 s11, 0, s11
	v_add_co_u32_e32 v1, vcc, s10, v1
	s_cmp_lg_u64 vcc, 0
	s_addc_u32 s19, s19, s11
	s_ashr_i32 s10, s3, 31
	s_add_u32 s22, s2, s10
	s_mov_b32 s11, s10
	s_addc_u32 s23, s3, s10
	s_xor_b64 s[22:23], s[22:23], s[10:11]
	v_readfirstlane_b32 s21, v1
	s_mul_i32 s11, s22, s19
	s_mul_hi_u32 s24, s22, s21
	s_mul_hi_u32 s3, s22, s19
	s_add_u32 s11, s24, s11
	s_addc_u32 s3, 0, s3
	s_mul_hi_u32 s25, s23, s21
	s_mul_i32 s21, s23, s21
	s_add_u32 s11, s11, s21
	s_mul_hi_u32 s24, s23, s19
	s_addc_u32 s3, s3, s25
	s_addc_u32 s11, s24, 0
	s_mul_i32 s19, s23, s19
	s_add_u32 s3, s3, s19
	s_addc_u32 s11, 0, s11
	s_mul_i32 s11, s9, s11
	s_mul_hi_u32 s24, s9, s3
	s_add_i32 s24, s24, s11
	s_mul_i32 s11, s9, s3
	v_mov_b32_e32 v1, s11
	s_add_u32 s19, s3, 1
	s_add_u32 s21, s3, 2
	v_sub_co_u32_e32 v1, vcc, s22, v1
	s_cmp_lg_u64 vcc, 0
	s_subb_u32 s11, s23, s24
	v_subrev_co_u32_e32 v2, vcc, s9, v1
	s_cmp_lg_u64 vcc, 0
	s_subb_u32 s22, s11, 0
	v_cmp_le_u32_e32 vcc, s9, v2
	s_cmp_eq_u32 s22, 0
	v_cndmask_b32_e64 v2, 0, -1, vcc
	s_cselect_b64 vcc, -1, 0
	v_cndmask_b32_e32 v2, -1, v2, vcc
	v_mov_b32_e32 v3, s19
	v_mov_b32_e32 v4, s21
	v_cmp_ne_u32_e32 vcc, 0, v2
	v_cndmask_b32_e32 v2, v3, v4, vcc
	v_cmp_le_u32_e32 vcc, s9, v1
	s_cmp_eq_u32 s11, 0
	v_cndmask_b32_e64 v1, 0, -1, vcc
	s_cselect_b64 vcc, -1, 0
	v_cndmask_b32_e32 v1, -1, v1, vcc
	v_mov_b32_e32 v3, s3
	v_cmp_ne_u32_e32 vcc, 0, v1
	v_cndmask_b32_e32 v1, v3, v2, vcc
	v_xor_b32_e32 v1, s10, v1
	v_subrev_co_u32_e32 v2, vcc, s10, v1
	s_cbranch_execnz .LBB57_6
.LBB57_5:
	v_cvt_f32_u32_e32 v1, s9
	s_sub_i32 s0, 0, s9
	s_mov_b32 s1, 0
	v_rcp_iflag_f32_e32 v1, v1
	v_mul_f32_e32 v1, 0x4f7ffffe, v1
	v_cvt_u32_f32_e32 v1, v1
	v_readfirstlane_b32 s3, v1
	s_mul_i32 s0, s0, s3
	s_mul_hi_u32 s0, s3, s0
	s_add_i32 s3, s3, s0
	s_mul_hi_u32 s0, s2, s3
	s_mul_i32 s10, s0, s9
	s_sub_i32 s2, s2, s10
	s_add_i32 s3, s0, 1
	s_sub_i32 s10, s2, s9
	s_cmp_ge_u32 s2, s9
	s_cselect_b32 s0, s3, s0
	s_cselect_b32 s2, s10, s2
	s_add_i32 s3, s0, 1
	s_cmp_ge_u32 s2, s9
	s_cselect_b32 s0, s3, s0
	v_pk_mov_b32 v[2:3], s[0:1], s[0:1] op_sel:[0,1]
.LBB57_6:
	s_waitcnt lgkmcnt(0)
	s_mul_hi_u32 s0, s20, s16
	s_add_i32 s0, s0, s20
	v_mul_hi_u32 v1, v2, s16
	s_lshr_b32 s19, s0, s17
	v_add_u32_e32 v1, v1, v2
	s_mul_i32 s0, s19, s18
	v_lshrrev_b32_e32 v1, s17, v1
	s_cmp_eq_u32 s0, s20
	v_cmp_eq_u32_e64 s[0:1], s19, v1
	v_mul_lo_u32 v1, v1, s18
	v_cmp_eq_u32_e32 vcc, s20, v2
	s_cselect_b64 s[10:11], -1, 0
	v_cmp_ne_u32_e64 s[2:3], v1, v2
	s_and_b64 s[0:1], s[0:1], s[2:3]
	s_or_b64 s[2:3], vcc, s[10:11]
	s_or_b64 s[0:1], s[2:3], s[0:1]
	s_and_b64 vcc, exec, s[0:1]
	s_cbranch_vccnz .LBB57_24
; %bb.7:
	s_load_dwordx8 s[24:31], s[4:5], 0x20
	s_load_dword s0, s[4:5], 0x40
	s_mov_b32 s10, 0
	s_waitcnt lgkmcnt(0)
	s_mul_hi_u32 s1, s20, s24
	s_add_i32 s1, s1, s20
	s_lshr_b32 s11, s1, s25
	s_mul_i32 s1, s11, s26
	s_sub_i32 s1, s20, s1
	s_mul_hi_u32 s2, s1, s27
	s_add_i32 s2, s1, s2
	s_lshr_b32 s25, s2, s28
	s_mul_i32 s2, s25, s29
	s_sub_i32 s1, s1, s2
	;; [unrolled: 5-line block ×3, first 2 shown]
	s_mul_hi_u32 s1, s0, s16
	s_add_i32 s0, s0, s1
	s_lshr_b32 s26, s0, s17
	s_lshl_b32 s0, s26, 1
	s_add_i32 s0, s0, s7
	s_cmp_lt_i32 s0, s12
	s_cselect_b64 s[0:1], -1, 0
	s_add_i32 s2, s24, s8
	s_cmp_lt_i32 s2, s14
	s_cselect_b64 s[2:3], -1, 0
	s_and_b64 s[0:1], s[0:1], s[2:3]
	s_andn2_b64 vcc, exec, s[0:1]
	s_cbranch_vccnz .LBB57_24
; %bb.8:
	s_load_dwordx4 s[0:3], s[4:5], 0x0
	s_lshl_b32 s4, s9, 3
	s_mov_b32 s5, s10
	s_add_i32 s21, s7, s8
	s_lshl_b64 s[4:5], s[4:5], 2
	s_waitcnt lgkmcnt(0)
	s_add_u32 s22, s2, s4
	s_mul_i32 s4, s11, s12
	s_addc_u32 s23, s3, s5
	s_add_i32 s4, s4, s7
	s_mul_i32 s4, s4, s13
	s_mul_i32 s25, s25, s14
	s_add_i32 s4, s4, s8
	s_add_i32 s4, s4, s25
	s_mul_i32 s5, s13, s26
	s_add_i32 s4, s4, s24
	s_lshl_b32 s5, s5, 9
	s_lshl_b32 s4, s4, 8
	s_add_i32 s5, s5, s4
	v_or_b32_e32 v2, s5, v0
	v_ashrrev_i32_e32 v3, 31, v2
	v_lshlrev_b64 v[2:3], 2, v[2:3]
	v_mov_b32_e32 v1, s1
	v_add_co_u32_e32 v2, vcc, s0, v2
	v_addc_co_u32_e32 v3, vcc, v1, v3, vcc
	global_load_dword v5, v[2:3], off
	v_lshl_or_b32 v4, s21, 8, v0
	v_cvt_f32_u32_e32 v0, s9
	v_cvt_f32_ubyte0_e32 v1, 0
	s_lshl_b32 s0, s6, 1
	s_add_i32 s0, s0, s21
	v_mac_f32_e32 v0, 0x4f800000, v1
	v_rcp_f32_e32 v0, v0
	v_cvt_f32_u32_e32 v1, s9
	s_ashr_i32 s1, s0, 31
	s_lshl_b64 s[0:1], s[0:1], 3
	v_mul_f32_e32 v0, 0x5f7ffffc, v0
	v_rcp_iflag_f32_e32 v1, v1
	s_add_u32 s0, s2, s0
	v_mul_f32_e32 v9, 0x2f800000, v0
	s_addc_u32 s1, s3, s1
	v_trunc_f32_e32 v10, v9
	s_load_dwordx2 s[0:1], s[0:1], 0x0
	v_mac_f32_e32 v0, 0xcf800000, v10
	v_cvt_u32_f32_e32 v9, v0
	v_mul_f32_e32 v0, 0x4f7ffffe, v1
	v_cvt_u32_f32_e32 v10, v10
	v_cvt_u32_f32_e32 v11, v0
	s_add_i32 s8, s6, -1
	s_waitcnt lgkmcnt(0)
	v_mov_b32_e32 v6, s1
	v_mov_b32_e32 v7, s0
	;; [unrolled: 1-line block ×3, first 2 shown]
	s_mov_b32 s6, 0x3fb8aa3b
	s_mov_b32 s7, 0xc2ce8ed0
	;; [unrolled: 1-line block ×4, first 2 shown]
	v_mov_b32_e32 v12, 0x7f800000
	s_mul_hi_i32 s11, s8, s15
	s_cmp_lg_u64 s[10:11], 0
	s_mul_i32 s4, s8, s15
	s_cbranch_scc0 .LBB57_15
.LBB57_9:
	s_sub_u32 s0, 0, s9
	v_readfirstlane_b32 s5, v9
	v_readfirstlane_b32 s24, v10
	s_subb_u32 s1, 0, 0
	s_mul_hi_u32 s20, s0, s5
	s_mul_i32 s25, s0, s24
	s_mul_i32 s14, s1, s5
	s_add_i32 s20, s20, s25
	s_add_i32 s20, s20, s14
	s_mul_i32 s26, s0, s5
	s_mul_hi_u32 s14, s5, s20
	s_mul_i32 s25, s5, s20
	s_mul_hi_u32 s5, s5, s26
	s_add_u32 s5, s5, s25
	s_addc_u32 s14, 0, s14
	s_mul_hi_u32 s27, s24, s26
	s_mul_i32 s26, s24, s26
	s_add_u32 s5, s5, s26
	s_mul_hi_u32 s25, s24, s20
	s_addc_u32 s5, s14, s27
	s_addc_u32 s14, s25, 0
	s_mul_i32 s20, s24, s20
	s_add_u32 s5, s5, s20
	s_addc_u32 s14, 0, s14
	v_add_co_u32_e32 v0, vcc, s5, v9
	s_cmp_lg_u64 vcc, 0
	s_addc_u32 s5, s24, s14
	v_readfirstlane_b32 s20, v0
	s_mul_i32 s14, s0, s5
	s_mul_hi_u32 s24, s0, s20
	s_add_i32 s14, s24, s14
	s_mul_i32 s1, s1, s20
	s_add_i32 s14, s14, s1
	s_mul_i32 s0, s0, s20
	s_mul_hi_u32 s24, s5, s0
	s_mul_i32 s25, s5, s0
	s_mul_i32 s27, s20, s14
	s_mul_hi_u32 s0, s20, s0
	s_mul_hi_u32 s26, s20, s14
	s_add_u32 s0, s0, s27
	s_addc_u32 s20, 0, s26
	s_add_u32 s0, s0, s25
	s_mul_hi_u32 s1, s5, s14
	s_addc_u32 s0, s20, s24
	s_addc_u32 s1, s1, 0
	s_mul_i32 s14, s5, s14
	s_add_u32 s0, s0, s14
	s_addc_u32 s1, 0, s1
	v_add_co_u32_e32 v0, vcc, s0, v0
	s_cmp_lg_u64 vcc, 0
	s_addc_u32 s5, s5, s1
	s_ashr_i32 s0, s11, 31
	s_add_u32 s24, s4, s0
	s_mov_b32 s1, s0
	s_addc_u32 s25, s11, s0
	s_xor_b64 s[24:25], s[24:25], s[0:1]
	v_readfirstlane_b32 s14, v0
	s_mul_i32 s11, s24, s5
	s_mul_hi_u32 s20, s24, s14
	s_mul_hi_u32 s1, s24, s5
	s_add_u32 s11, s20, s11
	s_addc_u32 s1, 0, s1
	s_mul_hi_u32 s26, s25, s14
	s_mul_i32 s14, s25, s14
	s_add_u32 s11, s11, s14
	s_mul_hi_u32 s20, s25, s5
	s_addc_u32 s1, s1, s26
	s_addc_u32 s11, s20, 0
	s_mul_i32 s5, s25, s5
	s_add_u32 s1, s1, s5
	s_addc_u32 s5, 0, s11
	s_mul_i32 s5, s9, s5
	s_mul_hi_u32 s20, s9, s1
	s_add_i32 s20, s20, s5
	s_mul_i32 s5, s9, s1
	v_mov_b32_e32 v0, s5
	s_add_u32 s11, s1, 1
	s_add_u32 s14, s1, 2
	v_sub_co_u32_e32 v0, vcc, s24, v0
	s_cmp_lg_u64 vcc, 0
	s_subb_u32 s5, s25, s20
	v_subrev_co_u32_e32 v1, vcc, s9, v0
	s_cmp_lg_u64 vcc, 0
	s_subb_u32 s20, s5, 0
	v_cmp_le_u32_e32 vcc, s9, v1
	s_cmp_eq_u32 s20, 0
	v_cndmask_b32_e64 v1, 0, -1, vcc
	s_cselect_b64 vcc, -1, 0
	v_cndmask_b32_e32 v1, -1, v1, vcc
	v_mov_b32_e32 v13, s11
	v_mov_b32_e32 v14, s14
	v_cmp_ne_u32_e32 vcc, 0, v1
	v_cndmask_b32_e32 v1, v13, v14, vcc
	v_cmp_le_u32_e32 vcc, s9, v0
	s_cmp_eq_u32 s5, 0
	v_cndmask_b32_e64 v0, 0, -1, vcc
	s_cselect_b64 vcc, -1, 0
	v_cndmask_b32_e32 v0, -1, v0, vcc
	v_mov_b32_e32 v13, s1
	v_cmp_ne_u32_e32 vcc, 0, v0
	v_cndmask_b32_e32 v0, v13, v1, vcc
	v_xor_b32_e32 v0, s0, v0
	v_subrev_co_u32_e32 v0, vcc, s0, v0
	s_cbranch_execnz .LBB57_11
.LBB57_10:
	s_sub_i32 s0, 0, s9
	v_mul_lo_u32 v0, s0, v11
	v_mul_hi_u32 v0, v11, v0
	v_add_u32_e32 v0, v11, v0
	v_mul_hi_u32 v0, s4, v0
	v_mul_lo_u32 v13, v0, s9
	v_sub_u32_e32 v13, s4, v13
	v_add_u32_e32 v1, 1, v0
	v_subrev_u32_e32 v14, s9, v13
	v_cmp_le_u32_e32 vcc, s9, v13
	v_cndmask_b32_e32 v13, v13, v14, vcc
	v_cndmask_b32_e32 v0, v0, v1, vcc
	v_add_u32_e32 v1, 1, v0
	v_cmp_le_u32_e32 vcc, s9, v13
	v_cndmask_b32_e32 v0, v0, v1, vcc
.LBB57_11:
	v_cmp_ne_u32_e32 vcc, v8, v0
	s_cbranch_vccz .LBB57_14
; %bb.12:
	s_add_i32 s0, s8, s9
	s_lshl_b32 s0, s0, 1
	v_mul_hi_u32 v1, v0, s16
	s_add_i32 s0, s0, s21
	s_mov_b32 s1, s10
	v_add_u32_e32 v1, v1, v0
	s_lshl_b64 s[0:1], s[0:1], 3
	v_lshrrev_b32_e32 v1, s17, v1
	s_add_u32 s4, s2, s0
	v_mul_lo_u32 v13, v1, s18
	s_addc_u32 s5, s3, s1
	v_cmp_eq_u32_e32 vcc, v13, v0
	v_cmp_gt_u32_e64 s[0:1], s19, v1
	s_or_b64 s[0:1], s[0:1], vcc
	s_and_b64 vcc, exec, s[0:1]
	s_cbranch_vccnz .LBB57_16
; %bb.13:
	s_add_i32 s11, s8, -1
	s_mov_b64 s[0:1], 0
	s_branch .LBB57_17
.LBB57_14:
                                        ; implicit-def: $sgpr0_sgpr1
                                        ; implicit-def: $vgpr14
                                        ; implicit-def: $vgpr1
                                        ; implicit-def: $vgpr13
                                        ; implicit-def: $sgpr11
                                        ; implicit-def: $vgpr0
	s_branch .LBB57_18
.LBB57_15:
                                        ; implicit-def: $vgpr0_vgpr1
	s_branch .LBB57_10
.LBB57_16:
	s_mov_b64 s[0:1], -1
	s_mov_b32 s11, s8
	v_mov_b32_e32 v0, v8
.LBB57_17:
	v_lshl_add_u32 v14, s8, 9, v4
	v_ashrrev_i32_e32 v15, 31, v14
	v_lshlrev_b64 v[14:15], 2, v[14:15]
	v_mov_b32_e32 v1, s23
	v_add_co_u32_e32 v14, vcc, s22, v14
	v_addc_co_u32_e32 v15, vcc, v1, v15, vcc
	global_load_dword v14, v[14:15], off
	s_load_dwordx2 s[4:5], s[4:5], 0x0
	v_max_f32_e32 v1, v7, v7
	s_waitcnt lgkmcnt(0)
	v_max_f32_e64 v13, s4, s4
	v_max_f32_e32 v1, v1, v13
	v_sub_f32_e32 v13, v7, v1
	v_sub_f32_e32 v15, s4, v1
	v_mul_f32_e32 v16, 0x3fb8aa3b, v13
	v_mul_f32_e32 v17, 0x3fb8aa3b, v15
	v_fma_f32 v18, v13, s6, -v16
	v_rndne_f32_e32 v19, v16
	v_fma_f32 v20, v15, s6, -v17
	v_rndne_f32_e32 v21, v17
	v_fmac_f32_e32 v18, 0x32a5705f, v13
	v_sub_f32_e32 v16, v16, v19
	v_fmac_f32_e32 v20, 0x32a5705f, v15
	v_sub_f32_e32 v17, v17, v21
	v_add_f32_e32 v16, v16, v18
	v_cvt_i32_f32_e32 v19, v19
	v_add_f32_e32 v17, v17, v20
	v_exp_f32_e32 v16, v16
	v_cvt_i32_f32_e32 v21, v21
	v_exp_f32_e32 v17, v17
	v_cmp_ngt_f32_e32 vcc, s7, v13
	v_ldexp_f32 v16, v16, v19
	v_cndmask_b32_e32 v16, 0, v16, vcc
	v_ldexp_f32 v17, v17, v21
	v_cmp_ngt_f32_e32 vcc, s7, v15
	v_cndmask_b32_e32 v17, 0, v17, vcc
	v_cmp_nlt_f32_e32 vcc, s12, v13
	v_cndmask_b32_e32 v16, v12, v16, vcc
	v_cmp_nlt_f32_e32 vcc, s12, v15
	v_cndmask_b32_e32 v17, v12, v17, vcc
	v_cmp_le_f32_e32 vcc, s13, v13
	v_cndmask_b32_e32 v16, 0, v16, vcc
	v_cmp_le_f32_e32 vcc, s13, v15
	v_cndmask_b32_e32 v15, 0, v17, vcc
	v_mul_f32_e32 v13, s5, v15
	v_fmac_f32_e32 v13, v6, v16
	s_waitcnt vmcnt(0)
	v_mul_f32_e32 v14, v14, v15
	v_fmac_f32_e32 v14, v5, v16
	s_cbranch_execnz .LBB57_19
.LBB57_18:
	s_add_i32 s11, s8, -1
	s_mov_b64 s[0:1], 0
	v_mov_b32_e32 v0, v8
	v_mov_b32_e32 v13, v6
	v_mov_b32_e32 v1, v7
	s_waitcnt vmcnt(0)
	v_mov_b32_e32 v14, v5
.LBB57_19:
	s_andn2_b64 vcc, exec, s[0:1]
	s_cbranch_vccz .LBB57_23
; %bb.20:
	v_mov_b32_e32 v8, v0
	s_mov_b32 s8, s11
	v_mov_b32_e32 v6, v13
	v_mov_b32_e32 v7, v1
	s_waitcnt vmcnt(0)
	v_mov_b32_e32 v5, v14
	s_mul_hi_i32 s11, s8, s15
	s_cmp_lg_u64 s[10:11], 0
	s_mul_i32 s4, s8, s15
	s_cbranch_scc1 .LBB57_9
	s_branch .LBB57_15
.LBB57_21:
                                        ; implicit-def: $sgpr20_sgpr21
	s_load_dwordx4 s[16:19], s[4:5], 0x44
	s_branch .LBB57_2
.LBB57_22:
                                        ; implicit-def: $vgpr2_vgpr3
	s_branch .LBB57_5
.LBB57_23:
	v_div_scale_f32 v0, s[0:1], v13, v13, v14
	v_rcp_f32_e32 v1, v0
	v_div_scale_f32 v4, vcc, v14, v13, v14
	s_waitcnt vmcnt(0)
	v_fma_f32 v5, -v0, v1, 1.0
	v_fmac_f32_e32 v1, v5, v1
	v_mul_f32_e32 v5, v4, v1
	v_fma_f32 v6, -v0, v5, v4
	v_fmac_f32_e32 v5, v6, v1
	v_fma_f32 v0, -v0, v5, v4
	v_div_fmas_f32 v0, v0, v1, v5
	v_div_fixup_f32 v0, v0, v13, v14
	global_store_dword v[2:3], v0, off
.LBB57_24:
	s_endpgm
	.section	.rodata,"a",@progbits
	.p2align	6, 0x0
	.amdhsa_kernel _ZL33flash_attn_stream_k_fixup_generalILi256ELi2ELi1EEvPfPK15HIP_vector_typeIfLj2EEiiiiS1_IjLj3EES5_S5_S5_
		.amdhsa_group_segment_fixed_size 0
		.amdhsa_private_segment_fixed_size 0
		.amdhsa_kernarg_size 336
		.amdhsa_user_sgpr_count 6
		.amdhsa_user_sgpr_private_segment_buffer 1
		.amdhsa_user_sgpr_dispatch_ptr 0
		.amdhsa_user_sgpr_queue_ptr 0
		.amdhsa_user_sgpr_kernarg_segment_ptr 1
		.amdhsa_user_sgpr_dispatch_id 0
		.amdhsa_user_sgpr_flat_scratch_init 0
		.amdhsa_user_sgpr_kernarg_preload_length 0
		.amdhsa_user_sgpr_kernarg_preload_offset 0
		.amdhsa_user_sgpr_private_segment_size 0
		.amdhsa_uses_dynamic_stack 0
		.amdhsa_system_sgpr_private_segment_wavefront_offset 0
		.amdhsa_system_sgpr_workgroup_id_x 1
		.amdhsa_system_sgpr_workgroup_id_y 1
		.amdhsa_system_sgpr_workgroup_id_z 1
		.amdhsa_system_sgpr_workgroup_info 0
		.amdhsa_system_vgpr_workitem_id 0
		.amdhsa_next_free_vgpr 22
		.amdhsa_next_free_sgpr 32
		.amdhsa_accum_offset 24
		.amdhsa_reserve_vcc 1
		.amdhsa_reserve_flat_scratch 0
		.amdhsa_float_round_mode_32 0
		.amdhsa_float_round_mode_16_64 0
		.amdhsa_float_denorm_mode_32 3
		.amdhsa_float_denorm_mode_16_64 3
		.amdhsa_dx10_clamp 1
		.amdhsa_ieee_mode 1
		.amdhsa_fp16_overflow 0
		.amdhsa_tg_split 0
		.amdhsa_exception_fp_ieee_invalid_op 0
		.amdhsa_exception_fp_denorm_src 0
		.amdhsa_exception_fp_ieee_div_zero 0
		.amdhsa_exception_fp_ieee_overflow 0
		.amdhsa_exception_fp_ieee_underflow 0
		.amdhsa_exception_fp_ieee_inexact 0
		.amdhsa_exception_int_div_zero 0
	.end_amdhsa_kernel
	.section	.text._ZL33flash_attn_stream_k_fixup_generalILi256ELi2ELi1EEvPfPK15HIP_vector_typeIfLj2EEiiiiS1_IjLj3EES5_S5_S5_,"axG",@progbits,_ZL33flash_attn_stream_k_fixup_generalILi256ELi2ELi1EEvPfPK15HIP_vector_typeIfLj2EEiiiiS1_IjLj3EES5_S5_S5_,comdat
.Lfunc_end57:
	.size	_ZL33flash_attn_stream_k_fixup_generalILi256ELi2ELi1EEvPfPK15HIP_vector_typeIfLj2EEiiiiS1_IjLj3EES5_S5_S5_, .Lfunc_end57-_ZL33flash_attn_stream_k_fixup_generalILi256ELi2ELi1EEvPfPK15HIP_vector_typeIfLj2EEiiiiS1_IjLj3EES5_S5_S5_
                                        ; -- End function
	.section	.AMDGPU.csdata,"",@progbits
; Kernel info:
; codeLenInByte = 2816
; NumSgprs: 36
; NumVgprs: 22
; NumAgprs: 0
; TotalNumVgprs: 22
; ScratchSize: 0
; MemoryBound: 0
; FloatMode: 240
; IeeeMode: 1
; LDSByteSize: 0 bytes/workgroup (compile time only)
; SGPRBlocks: 4
; VGPRBlocks: 2
; NumSGPRsForWavesPerEU: 36
; NumVGPRsForWavesPerEU: 22
; AccumOffset: 24
; Occupancy: 8
; WaveLimiterHint : 0
; COMPUTE_PGM_RSRC2:SCRATCH_EN: 0
; COMPUTE_PGM_RSRC2:USER_SGPR: 6
; COMPUTE_PGM_RSRC2:TRAP_HANDLER: 0
; COMPUTE_PGM_RSRC2:TGID_X_EN: 1
; COMPUTE_PGM_RSRC2:TGID_Y_EN: 1
; COMPUTE_PGM_RSRC2:TGID_Z_EN: 1
; COMPUTE_PGM_RSRC2:TIDIG_COMP_CNT: 0
; COMPUTE_PGM_RSRC3_GFX90A:ACCUM_OFFSET: 5
; COMPUTE_PGM_RSRC3_GFX90A:TG_SPLIT: 0
	.section	.text._ZL15flash_attn_tileILi256ELi256ELi4ELi8ELb1EEvPKcS1_S1_S1_S1_PKiPfP15HIP_vector_typeIfLj2EEffffjfiS5_IjLj3EEiiiiiiiiiiiliiliiiiil,"axG",@progbits,_ZL15flash_attn_tileILi256ELi256ELi4ELi8ELb1EEvPKcS1_S1_S1_S1_PKiPfP15HIP_vector_typeIfLj2EEffffjfiS5_IjLj3EEiiiiiiiiiiiliiliiiiil,comdat
	.globl	_ZL15flash_attn_tileILi256ELi256ELi4ELi8ELb1EEvPKcS1_S1_S1_S1_PKiPfP15HIP_vector_typeIfLj2EEffffjfiS5_IjLj3EEiiiiiiiiiiiliiliiiiil ; -- Begin function _ZL15flash_attn_tileILi256ELi256ELi4ELi8ELb1EEvPKcS1_S1_S1_S1_PKiPfP15HIP_vector_typeIfLj2EEffffjfiS5_IjLj3EEiiiiiiiiiiiliiliiiiil
	.p2align	8
	.type	_ZL15flash_attn_tileILi256ELi256ELi4ELi8ELb1EEvPKcS1_S1_S1_S1_PKiPfP15HIP_vector_typeIfLj2EEffffjfiS5_IjLj3EEiiiiiiiiiiiliiliiiiil,@function
_ZL15flash_attn_tileILi256ELi256ELi4ELi8ELb1EEvPKcS1_S1_S1_S1_PKiPfP15HIP_vector_typeIfLj2EEffffjfiS5_IjLj3EEiiiiiiiiiiiliiliiiiil: ; @_ZL15flash_attn_tileILi256ELi256ELi4ELi8ELb1EEvPKcS1_S1_S1_S1_PKiPfP15HIP_vector_typeIfLj2EEffffjfiS5_IjLj3EEiiiiiiiiiiiliiliiiiil
; %bb.0:
	s_load_dwordx4 s[0:3], s[4:5], 0x5c
	s_load_dwordx2 s[28:29], s[4:5], 0x80
	s_load_dwordx2 s[34:35], s[4:5], 0xb8
	s_mov_b64 s[30:31], 0
	s_waitcnt lgkmcnt(0)
	s_ashr_i32 s9, s3, 31
	s_lshr_b32 s9, s9, 29
	s_add_i32 s9, s3, s9
	s_ashr_i32 s9, s9, 3
	v_cvt_f32_u32_e32 v1, s9
	s_sub_i32 s10, 0, s9
	v_rcp_iflag_f32_e32 v1, v1
	v_mul_f32_e32 v1, 0x4f7ffffe, v1
	v_cvt_u32_f32_e32 v1, v1
	v_readfirstlane_b32 s11, v1
	s_mul_i32 s10, s10, s11
	s_mul_hi_u32 s10, s11, s10
	s_add_i32 s11, s11, s10
	s_mul_hi_u32 s10, s8, s11
	s_mul_i32 s11, s10, s9
	s_sub_i32 s11, s8, s11
	s_add_i32 s12, s10, 1
	s_sub_i32 s13, s11, s9
	s_cmp_ge_u32 s11, s9
	s_cselect_b32 s10, s12, s10
	s_cselect_b32 s11, s13, s11
	s_add_i32 s12, s10, 1
	s_cmp_ge_u32 s11, s9
	s_cselect_b32 s33, s12, s10
	s_abs_i32 s9, s29
	v_cvt_f32_u32_e32 v1, s9
	s_lshl_b32 s8, s8, 3
	s_mul_i32 s12, s33, s3
	s_xor_b32 s10, s3, s29
	v_rcp_iflag_f32_e32 v1, v1
	s_sub_i32 s13, 0, s9
	s_sub_i32 s29, s8, s12
	s_abs_i32 s11, s3
	v_mul_f32_e32 v1, 0x4f7ffffe, v1
	v_cvt_u32_f32_e32 v1, v1
	s_ashr_i32 s10, s10, 31
	v_readfirstlane_b32 s8, v1
	s_mul_i32 s13, s13, s8
	s_mul_hi_u32 s12, s8, s13
	s_add_i32 s8, s8, s12
	s_mul_hi_u32 s8, s11, s8
	s_mul_i32 s12, s8, s9
	s_sub_i32 s11, s11, s12
	s_add_i32 s13, s8, 1
	s_sub_i32 s12, s11, s9
	s_cmp_ge_u32 s11, s9
	s_cselect_b32 s8, s13, s8
	s_cselect_b32 s11, s12, s11
	s_add_i32 s12, s8, 1
	s_cmp_ge_u32 s11, s9
	s_cselect_b32 s8, s12, s8
	s_xor_b32 s8, s8, s10
	s_sub_i32 s37, s8, s10
	s_abs_i32 s36, s37
	v_cvt_f32_u32_e32 v1, s36
	s_load_dwordx16 s[8:23], s[4:5], 0x0
	v_rcp_iflag_f32_e32 v1, v1
	s_waitcnt lgkmcnt(0)
	s_cmp_eq_u64 s[14:15], 0
	v_mul_f32_e32 v1, 0x4f7ffffe, v1
	v_cvt_u32_f32_e32 v1, v1
	v_readfirstlane_b32 s38, v1
	s_cbranch_scc1 .LBB58_2
; %bb.1:
	s_abs_i32 s26, s34
	v_cvt_f32_u32_e32 v1, s26
	s_sub_i32 s31, 0, s26
	s_abs_i32 s30, s33
	s_ashr_i32 s27, s33, 31
	v_rcp_iflag_f32_e32 v1, v1
	s_load_dwordx2 s[24:25], s[4:5], 0xc8
	v_mul_f32_e32 v1, 0x4f7ffffe, v1
	v_cvt_u32_f32_e32 v1, v1
	v_readfirstlane_b32 s34, v1
	s_mul_i32 s31, s31, s34
	s_mul_hi_u32 s31, s34, s31
	s_add_i32 s34, s34, s31
	s_mul_hi_u32 s31, s30, s34
	s_mul_i32 s31, s31, s26
	s_sub_i32 s30, s30, s31
	s_sub_i32 s31, s30, s26
	s_cmp_ge_u32 s30, s26
	s_cselect_b32 s30, s31, s30
	s_sub_i32 s31, s30, s26
	s_cmp_ge_u32 s30, s26
	s_cselect_b32 s26, s31, s30
	s_xor_b32 s26, s26, s27
	s_sub_i32 s26, s26, s27
	s_ashr_i32 s27, s26, 31
	s_waitcnt lgkmcnt(0)
	s_mul_i32 s25, s26, s25
	s_mul_hi_u32 s30, s26, s24
	s_add_i32 s25, s30, s25
	s_mul_i32 s27, s27, s24
	s_add_i32 s25, s25, s27
	s_mul_i32 s26, s26, s24
	s_add_u32 s30, s14, s26
	s_addc_u32 s31, s15, s25
.LBB58_2:
	s_load_dwordx4 s[24:27], s[4:5], 0x70
	v_bfe_u32 v14, v0, 10, 10
	v_lshrrev_b32_e32 v1, 1, v14
	v_lshl_add_u32 v5, s6, 2, v1
	v_mul_hi_u32 v1, s0, v5
	s_waitcnt lgkmcnt(0)
	s_mul_i32 s14, s33, s26
	s_ashr_i32 s26, s14, 31
	s_mul_i32 s15, s29, s25
	s_add_u32 s8, s8, s14
	v_add_u32_e32 v1, v5, v1
	s_addc_u32 s9, s9, s26
	s_ashr_i32 s14, s15, 31
	v_lshrrev_b32_e32 v1, s1, v1
	s_add_u32 s8, s8, s15
	v_mul_lo_u32 v1, v1, s2
	s_addc_u32 s9, s9, s14
	v_sub_u32_e32 v12, v5, v1
	s_ashr_i32 s15, s24, 31
	v_mov_b32_e32 v1, s24
	v_alignbit_b32 v1, s15, v1, 2
	v_mad_u64_u32 v[2:3], s[0:1], v1, v12, 0
	v_mov_b32_e32 v4, v3
	s_lshr_b32 s0, s15, 2
	v_mad_u64_u32 v[6:7], s[0:1], s0, v12, v[4:5]
	v_mov_b32_e32 v3, v6
	v_and_b32_e32 v4, 0x3ff, v0
	v_lshlrev_b64 v[0:1], 2, v[2:3]
	v_mov_b32_e32 v2, s9
	v_add_co_u32_e32 v0, vcc, s8, v0
	v_addc_co_u32_e32 v1, vcc, v2, v1, vcc
	v_lshlrev_b32_e32 v2, 4, v4
	v_lshlrev_b32_e32 v13, 2, v14
	s_ashr_i32 s14, s25, 31
	v_add_co_u32_e32 v15, vcc, v0, v2
	v_mov_b32_e32 v0, s25
	v_and_b32_e32 v23, 4, v13
	s_lshr_b32 s8, s14, 2
	v_alignbit_b32 v24, s14, v0, 2
	v_addc_co_u32_e32 v22, vcc, 0, v1, vcc
	v_mul_lo_u32 v2, s8, v23
	v_mad_u64_u32 v[0:1], s[0:1], v24, v23, 0
	v_or_b32_e32 v1, v1, v2
	v_lshlrev_b64 v[0:1], 2, v[0:1]
	v_add_co_u32_e32 v10, vcc, v15, v0
	v_addc_co_u32_e32 v11, vcc, v22, v1, vcc
	v_or_b32_e32 v46, 1, v13
	global_load_dwordx4 v[0:3], v[10:11], off
	global_load_dwordx4 v[6:9], v[10:11], off offset:512
	v_and_b32_e32 v17, 5, v46
	v_mad_u64_u32 v[10:11], s[0:1], v24, v17, 0
	v_mov_b32_e32 v16, v11
	v_mad_u64_u32 v[16:17], s[0:1], s8, v17, v[16:17]
	v_mov_b32_e32 v11, v16
	v_lshlrev_b64 v[10:11], 2, v[10:11]
	v_add_co_u32_e32 v10, vcc, v15, v10
	v_addc_co_u32_e32 v11, vcc, v22, v11, vcc
	v_or_b32_e32 v47, 2, v13
	global_load_dwordx4 v[16:19], v[10:11], off
	global_load_dwordx4 v[26:29], v[10:11], off offset:512
	v_and_b32_e32 v21, 6, v47
	v_mad_u64_u32 v[10:11], s[0:1], v24, v21, 0
	v_mov_b32_e32 v20, v11
	v_mad_u64_u32 v[20:21], s[0:1], s8, v21, v[20:21]
	v_mov_b32_e32 v11, v20
	;; [unrolled: 11-line block ×3, first 2 shown]
	v_lshlrev_b64 v[10:11], 2, v[10:11]
	v_add_co_u32_e32 v10, vcc, v15, v10
	v_addc_co_u32_e32 v11, vcc, v22, v11, vcc
	global_load_dwordx4 v[38:41], v[10:11], off
	global_load_dwordx4 v[42:45], v[10:11], off offset:512
	s_load_dword s0, s[4:5], 0x40
	s_mov_b32 s1, 0
	v_lshlrev_b32_e32 v25, 3, v4
	v_lshl_or_b32 v22, v14, 11, v25
	v_lshlrev_b32_e32 v10, 1, v4
	s_cmp_eq_u64 s[18:19], 0
	s_waitcnt vmcnt(7) lgkmcnt(0)
	v_pk_mul_f32 v[0:1], v[0:1], s[0:1] op_sel_hi:[1,0]
	v_cvt_f16_f32_e32 v11, v1
	v_cvt_f16_f32_e32 v15, v0
	v_pk_mul_f32 v[0:1], v[2:3], s[0:1] op_sel_hi:[1,0]
	v_cvt_f16_f32_e32 v20, v1
	v_cvt_f16_f32_e32 v21, v0
	s_waitcnt vmcnt(6)
	v_pk_mul_f32 v[0:1], v[6:7], s[0:1] op_sel_hi:[1,0]
	v_pk_mul_f32 v[2:3], v[8:9], s[0:1] op_sel_hi:[1,0]
	v_cvt_f16_f32_e32 v6, v1
	v_cvt_f16_f32_e32 v3, v3
	v_cvt_f16_f32_e32 v2, v2
	v_cvt_f16_f32_e32 v7, v0
	v_pack_b32_f16 v1, v21, v20
	v_pack_b32_f16 v0, v15, v11
	v_pack_b32_f16 v3, v2, v3
	v_pack_b32_f16 v2, v7, v6
	ds_write2_b64 v22, v[0:1], v[2:3] offset1:32
	s_waitcnt vmcnt(5)
	v_pk_mul_f32 v[0:1], v[16:17], s[0:1] op_sel_hi:[1,0]
	v_lshlrev_b32_e32 v2, 7, v46
	v_cvt_f16_f32_e32 v6, v1
	v_cvt_f16_f32_e32 v7, v0
	v_pk_mul_f32 v[0:1], v[18:19], s[0:1] op_sel_hi:[1,0]
	v_cvt_f16_f32_e32 v8, v1
	v_cvt_f16_f32_e32 v9, v0
	v_add_lshl_u32 v11, v2, v10, 2
	s_waitcnt vmcnt(4)
	v_pk_mul_f32 v[0:1], v[26:27], s[0:1] op_sel_hi:[1,0]
	v_pk_mul_f32 v[2:3], v[28:29], s[0:1] op_sel_hi:[1,0]
	v_cvt_f16_f32_e32 v15, v1
	v_cvt_f16_f32_e32 v3, v3
	v_cvt_f16_f32_e32 v2, v2
	v_cvt_f16_f32_e32 v16, v0
	v_pack_b32_f16 v1, v9, v8
	v_pack_b32_f16 v0, v7, v6
	v_pack_b32_f16 v3, v2, v3
	v_pack_b32_f16 v2, v16, v15
	ds_write2_b64 v11, v[0:1], v[2:3] offset1:32
	s_waitcnt vmcnt(3)
	v_pk_mul_f32 v[0:1], v[30:31], s[0:1] op_sel_hi:[1,0]
	v_lshlrev_b32_e32 v2, 7, v47
	v_cvt_f16_f32_e32 v6, v1
	v_cvt_f16_f32_e32 v7, v0
	v_pk_mul_f32 v[0:1], v[32:33], s[0:1] op_sel_hi:[1,0]
	v_cvt_f16_f32_e32 v8, v1
	v_cvt_f16_f32_e32 v9, v0
	v_add_lshl_u32 v11, v2, v10, 2
	;; [unrolled: 21-line block ×3, first 2 shown]
	s_waitcnt vmcnt(0)
	v_pk_mul_f32 v[0:1], v[42:43], s[0:1] op_sel_hi:[1,0]
	v_pk_mul_f32 v[2:3], v[44:45], s[0:1] op_sel_hi:[1,0]
	v_cvt_f16_f32_e32 v11, v1
	v_cvt_f16_f32_e32 v3, v3
	v_cvt_f16_f32_e32 v2, v2
	v_cvt_f16_f32_e32 v13, v0
	v_pack_b32_f16 v1, v9, v8
	v_pack_b32_f16 v0, v7, v6
	;; [unrolled: 1-line block ×4, first 2 shown]
	ds_write2_b64 v10, v[0:1], v[2:3] offset1:32
	s_waitcnt lgkmcnt(0)
	s_barrier
	s_cbranch_scc1 .LBB58_4
; %bb.3:
	s_load_dword s0, s[4:5], 0xd0
	s_waitcnt lgkmcnt(0)
	s_mul_i32 s0, s0, s33
	s_add_i32 s0, s0, s6
	s_lshl_b64 s[0:1], s[0:1], 2
	s_add_u32 s0, s18, s0
	s_addc_u32 s1, s19, s1
	s_load_dword s28, s[0:1], 0x0
.LBB58_4:
	s_lshl_b32 s6, s7, 5
	v_lshlrev_b32_e32 v11, 2, v4
	s_waitcnt lgkmcnt(0)
	s_cmp_lt_i32 s6, s28
	v_mbcnt_lo_u32_b32 v18, -1, 0
	s_cbranch_scc1 .LBB58_6
; %bb.5:
	v_mbcnt_hi_u32_b32 v13, -1, v18
	v_and_b32_e32 v0, 0x60, v13
	s_mov_b32 s8, 0
	v_add_u32_e32 v61, 32, v0
	v_xor_b32_e32 v62, 16, v13
	v_xor_b32_e32 v64, 8, v13
	;; [unrolled: 1-line block ×5, first 2 shown]
	s_mov_b64 s[0:1], 0
	s_mov_b32 s9, 0xfeffffff
	s_branch .LBB58_7
.LBB58_6:
	s_mov_b64 s[0:1], -1
                                        ; implicit-def: $sgpr9
                                        ; implicit-def: $sgpr8
                                        ; implicit-def: $vgpr13
                                        ; implicit-def: $vgpr61
                                        ; implicit-def: $vgpr62
                                        ; implicit-def: $vgpr64
                                        ; implicit-def: $vgpr65
                                        ; implicit-def: $vgpr63
                                        ; implicit-def: $vgpr60
.LBB58_7:
	s_andn2_b64 vcc, exec, s[0:1]
	v_mov_b32_e32 v3, s9
	v_mov_b32_e32 v7, s8
	v_mov_b32_e32 v52, s8
	v_mov_b32_e32 v51, s8
	v_mov_b32_e32 v2, s9
	v_mov_b32_e32 v1, s9
	v_mov_b32_e32 v0, s9
	v_mov_b32_e32 v6, s8
	v_mov_b32_e32 v9, s8
	v_mov_b32_e32 v8, s8
	v_mov_b32_e32 v32, s8
	v_mov_b32_e32 v49, s8
	v_mov_b32_e32 v30, s8
	v_mov_b32_e32 v50, s8
	v_mov_b32_e32 v28, s8
	v_mov_b32_e32 v47, s8
	v_mov_b32_e32 v26, s8
	v_mov_b32_e32 v48, s8
	v_mov_b32_e32 v24, s8
	v_mov_b32_e32 v31, s8
	v_mov_b32_e32 v22, s8
	v_mov_b32_e32 v29, s8
	v_mov_b32_e32 v10, s8
	v_mov_b32_e32 v27, s8
	s_cbranch_vccnz .LBB58_27
; %bb.8:
	s_sub_i32 s0, 0, s36
	s_mul_i32 s0, s0, s38
	s_mul_hi_u32 s0, s38, s0
	s_add_i32 s38, s38, s0
	s_load_dwordx4 s[24:27], s[4:5], 0x98
	s_load_dword s14, s[4:5], 0x54
	s_load_dwordx2 s[0:1], s[4:5], 0x8c
	s_abs_i32 s19, s29
	s_mul_hi_u32 s34, s19, s38
	s_waitcnt lgkmcnt(0)
	s_ashr_i32 s15, s26, 2
	s_ashr_i32 s26, s35, 1
	;; [unrolled: 1-line block ×4, first 2 shown]
	s_mul_i32 s25, s33, s25
	s_mul_hi_u32 s35, s33, s24
	s_add_i32 s25, s35, s25
	s_mul_i32 s35, s0, s24
	s_ashr_i32 s38, s29, 31
	s_ashr_i32 s37, s37, 31
	s_add_i32 s25, s25, s35
	s_mul_i32 s24, s33, s24
	s_add_u32 s10, s10, s24
	s_addc_u32 s11, s11, s25
	s_mul_i32 s25, s34, s36
	s_sub_i32 s19, s19, s25
	s_xor_b32 s24, s38, s37
	s_add_i32 s25, s34, 1
	s_sub_i32 s35, s19, s36
	s_cmp_ge_u32 s19, s36
	s_cselect_b32 s25, s25, s34
	s_cselect_b32 s19, s35, s19
	s_add_i32 s34, s25, 1
	s_cmp_ge_u32 s19, s36
	s_load_dwordx2 s[8:9], s[4:5], 0xa8
	s_cselect_b32 s19, s34, s25
	s_xor_b32 s19, s19, s24
	s_sub_i32 s19, s19, s24
	s_mul_i32 s1, s19, s1
	s_ashr_i32 s24, s1, 31
	s_add_u32 s10, s10, s1
	s_waitcnt lgkmcnt(0)
	s_mul_i32 s1, s33, s9
	s_mul_hi_u32 s9, s33, s8
	s_addc_u32 s11, s11, s24
	s_add_i32 s1, s9, s1
	s_mul_i32 s0, s0, s8
	s_add_i32 s1, s1, s0
	s_mul_i32 s0, s33, s8
	s_add_u32 s0, s12, s0
	s_mul_i32 s19, s19, s27
	v_lshrrev_b32_e32 v0, 4, v4
	s_addc_u32 s1, s13, s1
	s_ashr_i32 s8, s19, 31
	v_lshl_add_u32 v1, v14, 1, v0
	v_and_b32_e32 v0, 60, v11
	s_add_u32 s12, s0, s19
	v_lshlrev_b32_e32 v2, 2, v0
	s_movk_i32 s0, 0x110
	v_mad_u32_u24 v6, v1, s0, v2
	v_mul_lo_u32 v2, s18, v1
	v_mov_b32_e32 v1, 0x4000
	v_mul_lo_u32 v8, s15, v14
	s_addc_u32 s13, s1, s8
	v_add_u32_e32 v33, 0x4000, v6
	v_add_u32_e32 v34, 0x5100, v6
	v_lshl_add_u32 v6, s18, 4, v2
	v_mad_u32_u24 v35, v4, s0, v1
	v_mad_u64_u32 v[12:13], s[0:1], v12, s26, v[4:5]
	v_mov_b32_e32 v1, 0x6200
	v_lshlrev_b32_e32 v38, 2, v11
	v_lshl_add_u32 v20, s15, 3, v8
	v_mov_b32_e32 v27, 0
	v_ashrrev_i32_e32 v3, 31, v2
	v_ashrrev_i32_e32 v7, 31, v6
	v_lshl_add_u32 v37, v14, 8, v1
	v_lshl_add_u32 v1, v14, 9, v38
	v_ashrrev_i32_e32 v9, 31, v8
	v_ashrrev_i32_e32 v21, 31, v20
	s_add_u32 s0, s4, 0xd0
	v_lshlrev_b32_e32 v36, 11, v14
	v_add_u32_e32 v39, 0x4000, v1
	v_add_u32_e32 v40, 0x5000, v1
	s_addc_u32 s1, s5, 0
	v_mov_b32_e32 v53, 0xfeffffff
	v_lshlrev_b64 v[14:15], 2, v[2:3]
	v_lshlrev_b32_e32 v41, 2, v0
	v_lshlrev_b64 v[16:17], 2, v[6:7]
	v_mov_b32_e32 v42, s31
	s_mov_b32 s19, 0x3f200000
	s_mov_b32 s24, 0x3fb8aa3b
	;; [unrolled: 1-line block ×4, first 2 shown]
	v_mov_b32_e32 v43, 0xbd5c1c4e
	v_mov_b32_e32 v44, 0x3e088382
	;; [unrolled: 1-line block ×3, first 2 shown]
	v_mbcnt_hi_u32_b32 v13, -1, v18
	s_brev_b32 s27, -2
	v_lshlrev_b64 v[18:19], 2, v[8:9]
	v_lshlrev_b64 v[20:21], 2, v[20:21]
	v_mov_b32_e32 v46, 0x7f800000
	v_mov_b32_e32 v51, 0
	;; [unrolled: 1-line block ×23, first 2 shown]
.LBB58_9:                               ; =>This Inner Loop Header: Depth=1
	s_mul_hi_i32 s9, s6, s18
	s_mul_i32 s8, s6, s18
	s_lshl_b64 s[8:9], s[8:9], 2
	s_add_u32 s8, s10, s8
	s_addc_u32 s9, s11, s9
	v_mov_b32_e32 v0, s9
	v_add_co_u32_e32 v1, vcc, s8, v14
	v_addc_co_u32_e32 v2, vcc, v0, v15, vcc
	v_add_co_u32_e32 v0, vcc, v1, v41
	v_addc_co_u32_e32 v1, vcc, 0, v2, vcc
	v_mov_b32_e32 v2, s9
	v_add_co_u32_e32 v3, vcc, s8, v16
	v_addc_co_u32_e32 v57, vcc, v2, v17, vcc
	v_add_co_u32_e32 v2, vcc, v3, v41
	v_addc_co_u32_e32 v3, vcc, 0, v57, vcc
	global_load_dwordx4 v[62:65], v[0:1], off
	global_load_dwordx4 v[66:69], v[2:3], off
	v_mov_b32_e32 v60, 0
	v_mov_b32_e32 v59, 0
	;; [unrolled: 1-line block ×4, first 2 shown]
	s_waitcnt vmcnt(1)
	ds_write_b128 v33, v[62:65]
	s_waitcnt vmcnt(0)
	ds_write_b128 v34, v[66:69]
	s_waitcnt lgkmcnt(0)
	s_barrier
	ds_read_b128 v[62:65], v35
	ds_read_b128 v[66:69], v36
	ds_read_b128 v[70:73], v36 offset:512
	ds_read_b128 v[74:77], v36 offset:1024
	ds_read_b128 v[78:81], v36 offset:1536
	s_waitcnt lgkmcnt(3)
	;;#ASMSTART
	v_dot2_f32_f16 v60, v62, v66, v60
	;;#ASMEND
	;;#ASMSTART
	v_dot2_f32_f16 v60, v63, v67, v60
	;;#ASMEND
	;;#ASMSTART
	v_dot2_f32_f16 v60, v64, v68, v60
	;;#ASMEND
	;;#ASMSTART
	v_dot2_f32_f16 v60, v65, v69, v60
	;;#ASMEND
	s_waitcnt lgkmcnt(2)
	;;#ASMSTART
	v_dot2_f32_f16 v59, v62, v70, v59
	;;#ASMEND
	;;#ASMSTART
	v_dot2_f32_f16 v59, v63, v71, v59
	;;#ASMEND
	;;#ASMSTART
	v_dot2_f32_f16 v59, v64, v72, v59
	;;#ASMEND
	;;#ASMSTART
	v_dot2_f32_f16 v59, v65, v73, v59
	;;#ASMEND
	s_waitcnt lgkmcnt(1)
	;;#ASMSTART
	v_dot2_f32_f16 v58, v62, v74, v58
	;;#ASMEND
	;;#ASMSTART
	v_dot2_f32_f16 v58, v63, v75, v58
	;;#ASMEND
	;;#ASMSTART
	v_dot2_f32_f16 v58, v64, v76, v58
	;;#ASMEND
	;;#ASMSTART
	v_dot2_f32_f16 v58, v65, v77, v58
	;;#ASMEND
	s_waitcnt lgkmcnt(0)
	;;#ASMSTART
	v_dot2_f32_f16 v57, v62, v78, v57
	;;#ASMEND
	;;#ASMSTART
	v_dot2_f32_f16 v57, v63, v79, v57
	;;#ASMEND
	;;#ASMSTART
	v_dot2_f32_f16 v57, v64, v80, v57
	;;#ASMEND
	;;#ASMSTART
	v_dot2_f32_f16 v57, v65, v81, v57
	;;#ASMEND
	ds_read_b128 v[62:65], v35 offset:16
	ds_read_b128 v[66:69], v36 offset:16
	ds_read_b128 v[70:73], v36 offset:528
	ds_read_b128 v[74:77], v36 offset:1040
	ds_read_b128 v[78:81], v36 offset:1552
	s_waitcnt lgkmcnt(3)
	;;#ASMSTART
	v_dot2_f32_f16 v60, v62, v66, v60
	;;#ASMEND
	;;#ASMSTART
	v_dot2_f32_f16 v60, v63, v67, v60
	;;#ASMEND
	;;#ASMSTART
	v_dot2_f32_f16 v60, v64, v68, v60
	;;#ASMEND
	;;#ASMSTART
	v_dot2_f32_f16 v60, v65, v69, v60
	;;#ASMEND
	s_waitcnt lgkmcnt(2)
	;;#ASMSTART
	v_dot2_f32_f16 v59, v62, v70, v59
	;;#ASMEND
	;;#ASMSTART
	v_dot2_f32_f16 v59, v63, v71, v59
	;;#ASMEND
	;;#ASMSTART
	v_dot2_f32_f16 v59, v64, v72, v59
	;;#ASMEND
	;;#ASMSTART
	v_dot2_f32_f16 v59, v65, v73, v59
	;;#ASMEND
	s_waitcnt lgkmcnt(1)
	;;#ASMSTART
	v_dot2_f32_f16 v58, v62, v74, v58
	;;#ASMEND
	;;#ASMSTART
	v_dot2_f32_f16 v58, v63, v75, v58
	;;#ASMEND
	;;#ASMSTART
	v_dot2_f32_f16 v58, v64, v76, v58
	;;#ASMEND
	;;#ASMSTART
	v_dot2_f32_f16 v58, v65, v77, v58
	;;#ASMEND
	s_waitcnt lgkmcnt(0)
	;;#ASMSTART
	v_dot2_f32_f16 v57, v62, v78, v57
	;;#ASMEND
	;;#ASMSTART
	v_dot2_f32_f16 v57, v63, v79, v57
	;;#ASMEND
	;;#ASMSTART
	v_dot2_f32_f16 v57, v64, v80, v57
	;;#ASMEND
	;;#ASMSTART
	v_dot2_f32_f16 v57, v65, v81, v57
	;;#ASMEND
	ds_read_b128 v[62:65], v35 offset:32
	ds_read_b128 v[66:69], v36 offset:32
	;; [unrolled: 57-line block ×15, first 2 shown]
	ds_read_b128 v[70:73], v36 offset:752
	ds_read_b128 v[74:77], v36 offset:1264
	;; [unrolled: 1-line block ×3, first 2 shown]
	s_waitcnt lgkmcnt(3)
	;;#ASMSTART
	v_dot2_f32_f16 v60, v62, v66, v60
	;;#ASMEND
	;;#ASMSTART
	v_dot2_f32_f16 v60, v63, v67, v60
	;;#ASMEND
	;;#ASMSTART
	v_dot2_f32_f16 v60, v64, v68, v60
	;;#ASMEND
	;;#ASMSTART
	v_dot2_f32_f16 v60, v65, v69, v60
	;;#ASMEND
	s_waitcnt lgkmcnt(2)
	;;#ASMSTART
	v_dot2_f32_f16 v59, v62, v70, v59
	;;#ASMEND
	;;#ASMSTART
	v_dot2_f32_f16 v59, v63, v71, v59
	;;#ASMEND
	;;#ASMSTART
	v_dot2_f32_f16 v59, v64, v72, v59
	;;#ASMEND
	;;#ASMSTART
	v_dot2_f32_f16 v59, v65, v73, v59
	;;#ASMEND
	;; [unrolled: 13-line block ×4, first 2 shown]
	s_barrier
	global_load_dwordx4 v[62:65], v[0:1], off offset:256
	global_load_dwordx4 v[66:69], v[2:3], off offset:256
	s_waitcnt vmcnt(1)
	ds_write_b128 v33, v[62:65]
	s_waitcnt vmcnt(0)
	ds_write_b128 v34, v[66:69]
	s_waitcnt lgkmcnt(0)
	s_barrier
	ds_read_b128 v[0:3], v35
	ds_read_b128 v[62:65], v36 offset:256
	ds_read_b128 v[66:69], v36 offset:768
	ds_read_b128 v[70:73], v36 offset:1280
	ds_read_b128 v[74:77], v36 offset:1792
	s_waitcnt lgkmcnt(3)
	;;#ASMSTART
	v_dot2_f32_f16 v60, v0, v62, v60
	;;#ASMEND
	;;#ASMSTART
	v_dot2_f32_f16 v60, v1, v63, v60
	;;#ASMEND
	;;#ASMSTART
	v_dot2_f32_f16 v60, v2, v64, v60
	;;#ASMEND
	;;#ASMSTART
	v_dot2_f32_f16 v60, v3, v65, v60
	;;#ASMEND
	s_waitcnt lgkmcnt(2)
	;;#ASMSTART
	v_dot2_f32_f16 v59, v0, v66, v59
	;;#ASMEND
	;;#ASMSTART
	v_dot2_f32_f16 v59, v1, v67, v59
	;;#ASMEND
	;;#ASMSTART
	v_dot2_f32_f16 v59, v2, v68, v59
	;;#ASMEND
	;;#ASMSTART
	v_dot2_f32_f16 v59, v3, v69, v59
	;;#ASMEND
	s_waitcnt lgkmcnt(1)
	;;#ASMSTART
	v_dot2_f32_f16 v58, v0, v70, v58
	;;#ASMEND
	;;#ASMSTART
	v_dot2_f32_f16 v58, v1, v71, v58
	;;#ASMEND
	;;#ASMSTART
	v_dot2_f32_f16 v58, v2, v72, v58
	;;#ASMEND
	;;#ASMSTART
	v_dot2_f32_f16 v58, v3, v73, v58
	;;#ASMEND
	s_waitcnt lgkmcnt(0)
	;;#ASMSTART
	v_dot2_f32_f16 v57, v0, v74, v57
	;;#ASMEND
	;;#ASMSTART
	v_dot2_f32_f16 v57, v1, v75, v57
	;;#ASMEND
	;;#ASMSTART
	v_dot2_f32_f16 v57, v2, v76, v57
	;;#ASMEND
	;;#ASMSTART
	v_dot2_f32_f16 v57, v3, v77, v57
	;;#ASMEND
	ds_read_b128 v[0:3], v35 offset:16
	ds_read_b128 v[62:65], v36 offset:272
	ds_read_b128 v[66:69], v36 offset:784
	ds_read_b128 v[70:73], v36 offset:1296
	ds_read_b128 v[74:77], v36 offset:1808
	s_waitcnt lgkmcnt(3)
	;;#ASMSTART
	v_dot2_f32_f16 v60, v0, v62, v60
	;;#ASMEND
	;;#ASMSTART
	v_dot2_f32_f16 v60, v1, v63, v60
	;;#ASMEND
	;;#ASMSTART
	v_dot2_f32_f16 v60, v2, v64, v60
	;;#ASMEND
	;;#ASMSTART
	v_dot2_f32_f16 v60, v3, v65, v60
	;;#ASMEND
	s_waitcnt lgkmcnt(2)
	;;#ASMSTART
	v_dot2_f32_f16 v59, v0, v66, v59
	;;#ASMEND
	;;#ASMSTART
	v_dot2_f32_f16 v59, v1, v67, v59
	;;#ASMEND
	;;#ASMSTART
	v_dot2_f32_f16 v59, v2, v68, v59
	;;#ASMEND
	;;#ASMSTART
	v_dot2_f32_f16 v59, v3, v69, v59
	;;#ASMEND
	s_waitcnt lgkmcnt(1)
	;;#ASMSTART
	v_dot2_f32_f16 v58, v0, v70, v58
	;;#ASMEND
	;;#ASMSTART
	v_dot2_f32_f16 v58, v1, v71, v58
	;;#ASMEND
	;;#ASMSTART
	v_dot2_f32_f16 v58, v2, v72, v58
	;;#ASMEND
	;;#ASMSTART
	v_dot2_f32_f16 v58, v3, v73, v58
	;;#ASMEND
	s_waitcnt lgkmcnt(0)
	;;#ASMSTART
	v_dot2_f32_f16 v57, v0, v74, v57
	;;#ASMEND
	;;#ASMSTART
	v_dot2_f32_f16 v57, v1, v75, v57
	;;#ASMEND
	;;#ASMSTART
	v_dot2_f32_f16 v57, v2, v76, v57
	;;#ASMEND
	;;#ASMSTART
	v_dot2_f32_f16 v57, v3, v77, v57
	;;#ASMEND
	ds_read_b128 v[0:3], v35 offset:32
	;; [unrolled: 57-line block ×15, first 2 shown]
	ds_read_b128 v[62:65], v36 offset:496
	ds_read_b128 v[66:69], v36 offset:1008
	;; [unrolled: 1-line block ×4, first 2 shown]
	s_waitcnt lgkmcnt(3)
	;;#ASMSTART
	v_dot2_f32_f16 v60, v0, v62, v60
	;;#ASMEND
	;;#ASMSTART
	v_dot2_f32_f16 v60, v1, v63, v60
	;;#ASMEND
	;;#ASMSTART
	v_dot2_f32_f16 v60, v2, v64, v60
	;;#ASMEND
	;;#ASMSTART
	v_dot2_f32_f16 v60, v3, v65, v60
	;;#ASMEND
	s_waitcnt lgkmcnt(2)
	;;#ASMSTART
	v_dot2_f32_f16 v59, v0, v66, v59
	;;#ASMEND
	;;#ASMSTART
	v_dot2_f32_f16 v59, v1, v67, v59
	;;#ASMEND
	;;#ASMSTART
	v_dot2_f32_f16 v59, v2, v68, v59
	;;#ASMEND
	;;#ASMSTART
	v_dot2_f32_f16 v59, v3, v69, v59
	;;#ASMEND
	;; [unrolled: 13-line block ×3, first 2 shown]
	s_waitcnt lgkmcnt(0)
	;;#ASMSTART
	v_dot2_f32_f16 v57, v0, v74, v57
	;;#ASMEND
	v_add_u32_e32 v0, s6, v12
	;;#ASMSTART
	v_dot2_f32_f16 v57, v1, v75, v57
	;;#ASMEND
	v_ashrrev_i32_e32 v1, 31, v0
	v_lshlrev_b64 v[0:1], 1, v[0:1]
	v_add_co_u32_e32 v0, vcc, s30, v0
	;;#ASMSTART
	v_dot2_f32_f16 v57, v2, v76, v57
	;;#ASMEND
	v_addc_co_u32_e32 v1, vcc, v42, v1, vcc
	;;#ASMSTART
	v_dot2_f32_f16 v57, v3, v77, v57
	;;#ASMEND
	flat_load_ushort v70, v[0:1]
	v_cmp_nlt_f32_e64 s[8:9], |v60|, s19
                                        ; implicit-def: $vgpr1
	s_and_saveexec_b64 s[34:35], s[8:9]
	s_xor_b64 s[8:9], exec, s[34:35]
	s_cbranch_execz .LBB58_11
; %bb.10:                               ;   in Loop: Header=BB58_9 Depth=1
	v_add_f32_e64 v0, |v60|, |v60|
	v_mul_f32_e32 v1, 0x3fb8aa3b, v0
	v_rndne_f32_e32 v2, v1
	v_sub_f32_e32 v3, v1, v2
	v_fma_f32 v1, v0, s24, -v1
	v_fmac_f32_e32 v1, 0x32a5705f, v0
	v_add_f32_e32 v1, v3, v1
	v_cvt_i32_f32_e32 v2, v2
	v_exp_f32_e32 v1, v1
	v_cmp_ngt_f32_e32 vcc, s25, v0
	v_ldexp_f32 v1, v1, v2
	v_cndmask_b32_e32 v1, 0, v1, vcc
	v_cmp_nlt_f32_e32 vcc, s26, v0
	v_cndmask_b32_e32 v0, v46, v1, vcc
	v_add_f32_e32 v0, 1.0, v0
	v_rcp_f32_e32 v0, v0
	v_fma_f32 v1, v0, -2.0, 1.0
.LBB58_11:                              ;   in Loop: Header=BB58_9 Depth=1
	s_andn2_saveexec_b64 s[8:9], s[8:9]
; %bb.12:                               ;   in Loop: Header=BB58_9 Depth=1
	v_mul_f32_e32 v0, v60, v60
	v_mov_b32_e32 v1, 0x3ca908c9
	v_fmac_f32_e32 v1, 0xbbbac73d, v0
	v_fma_f32 v1, v0, v1, v43
	v_fma_f32 v1, v0, v1, v44
	;; [unrolled: 1-line block ×3, first 2 shown]
	v_mul_f32_e64 v1, |v60|, v1
	v_fma_f32 v1, v0, v1, |v60|
; %bb.13:                               ;   in Loop: Header=BB58_9 Depth=1
	s_or_b64 exec, exec, s[8:9]
	v_and_b32_e32 v0, 0x60, v13
	v_add_u32_e32 v61, 32, v0
	v_xor_b32_e32 v62, 16, v13
	v_bfi_b32 v1, s27, v1, v60
	v_cmp_lt_i32_e32 vcc, v62, v61
	s_waitcnt vmcnt(0) lgkmcnt(0)
	v_fma_mix_f32 v3, v1, s14, v70 op_sel_hi:[0,0,1]
	v_cndmask_b32_e32 v0, v13, v62, vcc
	v_add_f32_e32 v1, 0x40051340, v3
	v_max_f32_e32 v2, v53, v53
	v_lshlrev_b32_e32 v0, 2, v0
	v_max_f32_e32 v1, v2, v1
	ds_bpermute_b32 v2, v0, v1
	v_xor_b32_e32 v64, 8, v13
	v_cmp_lt_i32_e32 vcc, v64, v61
	v_cndmask_b32_e32 v60, v13, v64, vcc
	v_lshlrev_b32_e32 v67, 2, v60
	s_waitcnt lgkmcnt(0)
	v_max_f32_e32 v2, v2, v2
	v_max_f32_e32 v1, v1, v2
	ds_bpermute_b32 v60, v67, v1
	v_xor_b32_e32 v65, 4, v13
	v_cmp_lt_i32_e32 vcc, v65, v61
	v_cndmask_b32_e32 v2, v13, v65, vcc
	v_lshlrev_b32_e32 v2, 2, v2
	s_waitcnt lgkmcnt(0)
	v_max_f32_e32 v60, v60, v60
	;; [unrolled: 8-line block ×4, first 2 shown]
	v_max_f32_e32 v68, v68, v69
	ds_bpermute_b32 v69, v66, v68
	v_cmp_nlt_f32_e64 s[8:9], |v59|, s19
                                        ; implicit-def: $vgpr71
	s_and_saveexec_b64 s[34:35], s[8:9]
	s_xor_b64 s[8:9], exec, s[34:35]
	s_cbranch_execz .LBB58_15
; %bb.14:                               ;   in Loop: Header=BB58_9 Depth=1
	v_add_f32_e64 v71, |v59|, |v59|
	v_mul_f32_e32 v72, 0x3fb8aa3b, v71
	v_rndne_f32_e32 v73, v72
	v_sub_f32_e32 v74, v72, v73
	v_fma_f32 v72, v71, s24, -v72
	v_fmac_f32_e32 v72, 0x32a5705f, v71
	v_add_f32_e32 v72, v74, v72
	v_cvt_i32_f32_e32 v73, v73
	v_exp_f32_e32 v72, v72
	v_cmp_ngt_f32_e32 vcc, s25, v71
	v_ldexp_f32 v72, v72, v73
	v_cndmask_b32_e32 v72, 0, v72, vcc
	v_cmp_nlt_f32_e32 vcc, s26, v71
	v_cndmask_b32_e32 v71, v46, v72, vcc
	v_add_f32_e32 v71, 1.0, v71
	v_rcp_f32_e32 v71, v71
	v_fma_f32 v71, v71, -2.0, 1.0
.LBB58_15:                              ;   in Loop: Header=BB58_9 Depth=1
	s_andn2_saveexec_b64 s[8:9], s[8:9]
; %bb.16:                               ;   in Loop: Header=BB58_9 Depth=1
	v_mul_f32_e32 v71, v59, v59
	v_mov_b32_e32 v72, 0x3ca908c9
	v_fmac_f32_e32 v72, 0xbbbac73d, v71
	v_fma_f32 v72, v71, v72, v43
	v_fma_f32 v72, v71, v72, v44
	;; [unrolled: 1-line block ×3, first 2 shown]
	v_mul_f32_e64 v72, |v59|, v72
	v_fma_f32 v71, v71, v72, |v59|
; %bb.17:                               ;   in Loop: Header=BB58_9 Depth=1
	s_or_b64 exec, exec, s[8:9]
	v_cvt_f32_f16_e32 v70, v70
	v_bfi_b32 v59, s27, v71, v59
	v_max_f32_e32 v72, v54, v54
	v_cmp_nlt_f32_e64 s[8:9], |v58|, s19
	v_fma_f32 v59, s14, v59, v70
	v_add_f32_e32 v71, 0x40051340, v59
	v_max_f32_e32 v71, v72, v71
	ds_bpermute_b32 v72, v0, v71
                                        ; implicit-def: $vgpr73
	s_waitcnt lgkmcnt(0)
	v_max_f32_e32 v72, v72, v72
	v_max_f32_e32 v71, v71, v72
	ds_bpermute_b32 v72, v67, v71
	s_waitcnt lgkmcnt(0)
	v_max_f32_e32 v72, v72, v72
	v_max_f32_e32 v71, v71, v72
	ds_bpermute_b32 v72, v2, v71
	;; [unrolled: 4-line block ×4, first 2 shown]
	s_and_saveexec_b64 s[34:35], s[8:9]
	s_xor_b64 s[8:9], exec, s[34:35]
	s_cbranch_execz .LBB58_19
; %bb.18:                               ;   in Loop: Header=BB58_9 Depth=1
	v_add_f32_e64 v73, |v58|, |v58|
	v_mul_f32_e32 v74, 0x3fb8aa3b, v73
	v_rndne_f32_e32 v75, v74
	v_sub_f32_e32 v76, v74, v75
	v_fma_f32 v74, v73, s24, -v74
	v_fmac_f32_e32 v74, 0x32a5705f, v73
	v_add_f32_e32 v74, v76, v74
	v_cvt_i32_f32_e32 v75, v75
	v_exp_f32_e32 v74, v74
	v_cmp_ngt_f32_e32 vcc, s25, v73
	v_ldexp_f32 v74, v74, v75
	v_cndmask_b32_e32 v74, 0, v74, vcc
	v_cmp_nlt_f32_e32 vcc, s26, v73
	v_cndmask_b32_e32 v73, v46, v74, vcc
	v_add_f32_e32 v73, 1.0, v73
	v_rcp_f32_e32 v73, v73
	v_fma_f32 v73, v73, -2.0, 1.0
.LBB58_19:                              ;   in Loop: Header=BB58_9 Depth=1
	s_andn2_saveexec_b64 s[8:9], s[8:9]
; %bb.20:                               ;   in Loop: Header=BB58_9 Depth=1
	v_mul_f32_e32 v73, v58, v58
	v_mov_b32_e32 v74, 0x3ca908c9
	v_fmac_f32_e32 v74, 0xbbbac73d, v73
	v_fma_f32 v74, v73, v74, v43
	v_fma_f32 v74, v73, v74, v44
	;; [unrolled: 1-line block ×3, first 2 shown]
	v_mul_f32_e64 v74, |v58|, v74
	v_fma_f32 v73, v73, v74, |v58|
; %bb.21:                               ;   in Loop: Header=BB58_9 Depth=1
	s_or_b64 exec, exec, s[8:9]
	v_bfi_b32 v58, s27, v73, v58
	v_fma_f32 v58, s14, v58, v70
	v_add_f32_e32 v73, 0x40051340, v58
	v_max_f32_e32 v74, v55, v55
	v_max_f32_e32 v73, v74, v73
	ds_bpermute_b32 v74, v0, v73
	v_cmp_nlt_f32_e64 s[8:9], |v57|, s19
                                        ; implicit-def: $vgpr75
	s_waitcnt lgkmcnt(0)
	v_max_f32_e32 v74, v74, v74
	v_max_f32_e32 v73, v73, v74
	ds_bpermute_b32 v74, v67, v73
	s_waitcnt lgkmcnt(0)
	v_max_f32_e32 v74, v74, v74
	v_max_f32_e32 v73, v73, v74
	ds_bpermute_b32 v74, v2, v73
	;; [unrolled: 4-line block ×4, first 2 shown]
	s_and_saveexec_b64 s[34:35], s[8:9]
	s_xor_b64 s[8:9], exec, s[34:35]
	s_cbranch_execz .LBB58_23
; %bb.22:                               ;   in Loop: Header=BB58_9 Depth=1
	v_add_f32_e64 v75, |v57|, |v57|
	v_mul_f32_e32 v76, 0x3fb8aa3b, v75
	v_rndne_f32_e32 v77, v76
	v_sub_f32_e32 v78, v76, v77
	v_fma_f32 v76, v75, s24, -v76
	v_fmac_f32_e32 v76, 0x32a5705f, v75
	v_add_f32_e32 v76, v78, v76
	v_cvt_i32_f32_e32 v77, v77
	v_exp_f32_e32 v76, v76
	v_cmp_ngt_f32_e32 vcc, s25, v75
	v_ldexp_f32 v76, v76, v77
	v_cndmask_b32_e32 v76, 0, v76, vcc
	v_cmp_nlt_f32_e32 vcc, s26, v75
	v_cndmask_b32_e32 v75, v46, v76, vcc
	v_add_f32_e32 v75, 1.0, v75
	v_rcp_f32_e32 v75, v75
	v_fma_f32 v75, v75, -2.0, 1.0
.LBB58_23:                              ;   in Loop: Header=BB58_9 Depth=1
	s_andn2_saveexec_b64 s[8:9], s[8:9]
; %bb.24:                               ;   in Loop: Header=BB58_9 Depth=1
	v_mul_f32_e32 v75, v57, v57
	v_mov_b32_e32 v76, 0x3ca908c9
	v_fmac_f32_e32 v76, 0xbbbac73d, v75
	v_fma_f32 v76, v75, v76, v43
	v_fma_f32 v76, v75, v76, v44
	;; [unrolled: 1-line block ×3, first 2 shown]
	v_mul_f32_e64 v76, |v57|, v76
	v_fma_f32 v75, v75, v76, |v57|
; %bb.25:                               ;   in Loop: Header=BB58_9 Depth=1
	s_or_b64 exec, exec, s[8:9]
	v_bfi_b32 v57, s27, v75, v57
	v_fmac_f32_e32 v70, s14, v57
	v_add_f32_e32 v57, 0x40051340, v70
	v_max_f32_e32 v75, v56, v56
	v_max_f32_e32 v57, v75, v57
	ds_bpermute_b32 v0, v0, v57
	s_mul_hi_i32 s9, s6, s15
	s_mul_i32 s8, s6, s15
	s_lshl_b64 s[8:9], s[8:9], 2
	s_add_u32 s8, s12, s8
	s_waitcnt lgkmcnt(0)
	v_max_f32_e32 v0, v0, v0
	v_max_f32_e32 v0, v57, v0
	ds_bpermute_b32 v57, v67, v0
	v_max_f32_e32 v67, v69, v69
	v_max_f32_e32 v69, v71, v71
	;; [unrolled: 1-line block ×3, first 2 shown]
	s_addc_u32 s9, s13, s9
	s_waitcnt lgkmcnt(0)
	v_max_f32_e32 v57, v57, v57
	v_max_f32_e32 v0, v0, v57
	ds_bpermute_b32 v2, v2, v0
	v_max_f32_e32 v57, v68, v68
	v_max_f32_e32 v68, v72, v72
	s_waitcnt lgkmcnt(0)
	s_barrier
	v_max_f32_e32 v2, v2, v2
	v_max_f32_e32 v72, v0, v2
	ds_bpermute_b32 v74, v1, v72
	v_max_f32_e32 v0, v57, v67
	v_max_f32_e32 v1, v69, v68
	v_sub_f32_e32 v68, v3, v0
	v_max_f32_e32 v2, v73, v73
	s_waitcnt lgkmcnt(0)
	v_max_f32_e32 v57, v74, v74
	v_max_f32_e32 v57, v72, v57
	ds_bpermute_b32 v66, v66, v57
	v_sub_f32_e32 v67, v59, v1
	v_mul_f32_e32 v59, 0x3fb8aa3b, v68
	v_max_f32_e32 v2, v2, v71
	v_rndne_f32_e32 v71, v59
	s_waitcnt lgkmcnt(0)
	v_max_f32_e32 v3, v66, v66
	v_max_f32_e32 v3, v57, v3
	v_sub_f32_e32 v57, v70, v3
	v_mul_f32_e32 v66, 0x3fb8aa3b, v57
	v_fma_f32 v69, v57, s24, -v66
	v_rndne_f32_e32 v70, v66
	v_fmac_f32_e32 v69, 0x32a5705f, v57
	v_sub_f32_e32 v66, v66, v70
	v_add_f32_e32 v66, v66, v69
	v_cvt_i32_f32_e32 v70, v70
	v_exp_f32_e32 v66, v66
	v_fma_f32 v69, v68, s24, -v59
	v_fmac_f32_e32 v69, 0x32a5705f, v68
	v_sub_f32_e32 v59, v59, v71
	v_add_f32_e32 v59, v59, v69
	v_ldexp_f32 v66, v66, v70
	v_exp_f32_e32 v69, v59
	v_cvt_i32_f32_e32 v70, v71
	v_cmp_ngt_f32_e32 vcc, s25, v57
	v_cndmask_b32_e32 v59, 0, v66, vcc
	v_mul_f32_e32 v66, 0x3fb8aa3b, v67
	v_cmp_nlt_f32_e32 vcc, s26, v57
	v_ldexp_f32 v57, v69, v70
	v_fma_f32 v69, v67, s24, -v66
	v_rndne_f32_e32 v70, v66
	v_fmac_f32_e32 v69, 0x32a5705f, v67
	v_sub_f32_e32 v66, v66, v70
	v_add_f32_e32 v66, v66, v69
	v_exp_f32_e32 v66, v66
	v_cvt_i32_f32_e32 v69, v70
	v_cndmask_b32_e32 v59, v46, v59, vcc
	v_cmp_ngt_f32_e32 vcc, s25, v68
	v_sub_f32_e32 v58, v58, v2
	v_cndmask_b32_e32 v57, 0, v57, vcc
	v_cmp_nlt_f32_e32 vcc, s26, v68
	v_cndmask_b32_e32 v70, v46, v57, vcc
	v_ldexp_f32 v57, v66, v69
	v_mul_f32_e32 v66, 0x3fb8aa3b, v58
	v_fma_f32 v68, v58, s24, -v66
	v_rndne_f32_e32 v69, v66
	v_fmac_f32_e32 v68, 0x32a5705f, v58
	v_sub_f32_e32 v66, v66, v69
	v_add_f32_e32 v66, v66, v68
	v_exp_f32_e32 v66, v66
	v_cvt_i32_f32_e32 v68, v69
	v_cmp_ngt_f32_e32 vcc, s25, v67
	v_cndmask_b32_e32 v57, 0, v57, vcc
	v_cmp_nlt_f32_e32 vcc, s26, v67
	v_cndmask_b32_e32 v71, v46, v57, vcc
	v_ldexp_f32 v57, v66, v68
	v_cmp_ngt_f32_e32 vcc, s25, v58
	v_cndmask_b32_e32 v57, 0, v57, vcc
	v_cmp_nlt_f32_e32 vcc, s26, v58
	v_cndmask_b32_e32 v58, v46, v57, vcc
	v_sub_f32_e32 v77, v55, v2
	v_sub_f32_e32 v78, v54, v1
	v_mov_b32_e32 v54, s9
	v_add_co_u32_e32 v55, vcc, s8, v18
	v_addc_co_u32_e32 v54, vcc, v54, v19, vcc
	v_add_co_u32_e32 v72, vcc, v55, v38
	v_addc_co_u32_e32 v73, vcc, 0, v54, vcc
	v_mov_b32_e32 v54, s9
	v_add_co_u32_e32 v55, vcc, s8, v20
	v_addc_co_u32_e32 v54, vcc, v54, v21, vcc
	v_add_co_u32_e32 v74, vcc, v55, v38
	v_sub_f32_e32 v76, v56, v3
	v_addc_co_u32_e32 v75, vcc, 0, v54, vcc
	global_load_dwordx4 v[54:57], v[72:73], off
	global_load_dwordx4 v[66:69], v[74:75], off
	v_mul_f32_e32 v72, 0x3fb8aa3b, v78
	v_fma_f32 v73, v78, s24, -v72
	v_rndne_f32_e32 v74, v72
	v_sub_f32_e32 v53, v53, v0
	v_fmac_f32_e32 v73, 0x32a5705f, v78
	v_sub_f32_e32 v72, v72, v74
	v_add_f32_e32 v72, v72, v73
	v_cvt_i32_f32_e32 v73, v74
	v_mul_f32_e32 v74, 0x3fb8aa3b, v53
	v_fma_f32 v75, v53, s24, -v74
	v_rndne_f32_e32 v79, v74
	v_fmac_f32_e32 v75, 0x32a5705f, v53
	v_sub_f32_e32 v74, v74, v79
	v_exp_f32_e32 v72, v72
	v_add_f32_e32 v74, v74, v75
	v_exp_f32_e32 v74, v74
	v_cvt_i32_f32_e32 v75, v79
	v_ldexp_f32 v72, v72, v73
	v_cmp_ngt_f32_e32 vcc, s25, v78
	v_cndmask_b32_e32 v73, 0, v72, vcc
	v_ldexp_f32 v72, v74, v75
	v_cmp_ngt_f32_e32 vcc, s25, v53
	v_cndmask_b32_e32 v72, 0, v72, vcc
	v_cmp_nlt_f32_e32 vcc, s26, v53
	v_mul_f32_e32 v53, 0x3fb8aa3b, v76
	v_fma_f32 v74, v76, s24, -v53
	v_rndne_f32_e32 v75, v53
	v_cndmask_b32_e32 v72, v46, v72, vcc
	v_cmp_nlt_f32_e32 vcc, s26, v78
	v_fmac_f32_e32 v74, 0x32a5705f, v76
	v_sub_f32_e32 v53, v53, v75
	v_cndmask_b32_e32 v73, v46, v73, vcc
	v_add_f32_e32 v53, v53, v74
	v_cvt_f16_f32_e32 v78, v73
	v_exp_f32_e32 v74, v53
	v_mul_f32_e32 v53, 0x3fb8aa3b, v77
	v_fma_f32 v84, v77, s24, -v53
	v_rndne_f32_e32 v85, v53
	v_fmac_f32_e32 v84, 0x32a5705f, v77
	v_sub_f32_e32 v53, v53, v85
	v_add_f32_e32 v53, v53, v84
	v_pk_mul_f16 v82, v78, v28 op_sel_hi:[0,1]
	v_pk_mul_f16 v83, v78, v26 op_sel_hi:[0,1]
	v_cvt_f16_f32_e32 v26, v59
	v_cvt_f16_f32_e32 v28, v58
	v_exp_f32_e32 v84, v53
	v_cvt_i32_f32_e32 v85, v85
	v_cvt_i32_f32_e32 v75, v75
	v_cvt_f16_f32_e32 v79, v72
	v_pack_b32_f16 v53, v28, v26
	v_ldexp_f32 v28, v84, v85
	v_cmp_ngt_f32_e32 vcc, s25, v77
	v_cndmask_b32_e32 v28, 0, v28, vcc
	v_cmp_nlt_f32_e32 vcc, s26, v77
	v_ldexp_f32 v26, v74, v75
	v_cndmask_b32_e32 v74, v46, v28, vcc
	v_cmp_ngt_f32_e32 vcc, s25, v76
	v_pk_mul_f16 v80, v79, v52 op_sel_hi:[0,1]
	v_pk_mul_f16 v81, v79, v30 op_sel_hi:[0,1]
	v_cvt_f16_f32_e32 v30, v71
	v_cvt_f16_f32_e32 v52, v70
	;; [unrolled: 1-line block ×3, first 2 shown]
	v_cndmask_b32_e32 v26, 0, v26, vcc
	v_cmp_nlt_f32_e32 vcc, s26, v76
	v_cndmask_b32_e32 v75, v46, v26, vcc
	v_cvt_f16_f32_e32 v76, v75
	v_pack_b32_f16 v52, v52, v30
	v_pk_mul_f16 v26, v77, v24 op_sel_hi:[0,1]
	v_add_u32_e32 v24, v37, v25
	ds_write_b64 v24, v[52:53]
	s_waitcnt vmcnt(1)
	ds_write_b128 v39, v[54:57]
	s_waitcnt vmcnt(0)
	ds_write_b128 v40, v[66:69]
	v_add_u32_e32 v24, 0x4000, v25
	v_pk_fma_f32 v[6:7], v[6:7], v[74:75], v[58:59]
	v_pk_mul_f16 v74, v76, v31 op_sel_hi:[0,1]
	v_pk_mul_f16 v75, v76, v29 op_sel_hi:[0,1]
	s_waitcnt lgkmcnt(0)
	s_barrier
	ds_read2_b64 v[28:31], v24 offset1:32
	ds_read_b128 v[52:55], v37
	v_pk_mul_f16 v10, v76, v10 op_sel_hi:[0,1]
	v_pk_mul_f16 v76, v76, v27 op_sel_hi:[0,1]
	;; [unrolled: 1-line block ×4, first 2 shown]
	s_waitcnt lgkmcnt(0)
	v_pk_mul_f16 v27, v28, v52 op_sel_hi:[1,0]
	v_pk_fma_f16 v51, v79, v51, v27 op_sel_hi:[0,1,1]
	v_pk_mul_f16 v27, v28, v52 op_sel:[0,1]
	v_pk_fma_f16 v49, v78, v49, v27 op_sel_hi:[0,1,1]
	v_pk_mul_f16 v27, v28, v53 op_sel_hi:[1,0]
	v_pk_mul_f16 v48, v77, v48 op_sel_hi:[0,1]
	;; [unrolled: 1-line block ×3, first 2 shown]
	v_pk_fma_f32 v[8:9], v[8:9], v[72:73], v[70:71]
	ds_read_b128 v[56:59], v37 offset:16
	ds_read_b128 v[66:69], v37 offset:32
	;; [unrolled: 1-line block ×3, first 2 shown]
	v_pk_fma_f16 v47, v77, v47, v27 op_sel_hi:[0,1,1]
	v_pk_fma_f16 v74, v28, v53, v74 op_sel:[0,1,0]
	v_pk_fma_f16 v32, v29, v52, v32 op_sel_hi:[1,0,1]
	v_pk_fma_f16 v77, v29, v52, v82 op_sel:[0,1,0]
	;; [unrolled: 2-line block ×3, first 2 shown]
	ds_read2_b64 v[26:29], v24 offset0:64 offset1:96
	v_pk_fma_f16 v79, v30, v52, v80 op_sel_hi:[1,0,1]
	v_pk_fma_f16 v50, v30, v52, v50 op_sel:[0,1,0]
	v_pk_fma_f16 v48, v30, v53, v48 op_sel_hi:[1,0,1]
	v_pk_fma_f16 v30, v30, v53, v75 op_sel:[0,1,0]
	;; [unrolled: 2-line block ×4, first 2 shown]
	s_waitcnt lgkmcnt(0)
	v_pk_fma_f16 v53, v26, v54, v51 op_sel_hi:[1,0,1]
	v_pk_fma_f16 v76, v26, v54, v49 op_sel:[0,1,0]
	v_pk_fma_f16 v47, v26, v55, v47 op_sel_hi:[1,0,1]
	v_pk_fma_f16 v26, v26, v55, v74 op_sel:[0,1,0]
	;; [unrolled: 2-line block ×5, first 2 shown]
	v_pk_fma_f16 v79, v28, v55, v48 op_sel_hi:[1,0,1]
	ds_read2_b64 v[48:51], v24 offset0:128 offset1:160
	v_pk_fma_f16 v28, v28, v55, v30 op_sel:[0,1,0]
	v_pk_fma_f16 v30, v29, v54, v75 op_sel_hi:[1,0,1]
	v_pk_fma_f16 v52, v29, v54, v52 op_sel:[0,1,0]
	v_pk_fma_f16 v22, v29, v55, v22 op_sel_hi:[1,0,1]
	v_pk_fma_f16 v31, v29, v55, v31 op_sel:[0,1,0]
	s_waitcnt lgkmcnt(0)
	v_pk_fma_f16 v53, v48, v56, v53 op_sel_hi:[1,0,1]
	v_pk_fma_f16 v54, v48, v56, v76 op_sel:[0,1,0]
	v_pk_fma_f16 v47, v48, v57, v47 op_sel_hi:[1,0,1]
	v_pk_fma_f16 v48, v48, v57, v26 op_sel:[0,1,0]
	;; [unrolled: 2-line block ×6, first 2 shown]
	ds_read2_b64 v[26:29], v24 offset0:192 offset1:224
	v_pk_fma_f16 v30, v51, v56, v30 op_sel_hi:[1,0,1]
	v_pk_fma_f16 v52, v51, v56, v52 op_sel:[0,1,0]
	v_pk_fma_f16 v22, v51, v57, v22 op_sel_hi:[1,0,1]
	v_pk_fma_f16 v31, v51, v57, v31 op_sel:[0,1,0]
	s_waitcnt lgkmcnt(0)
	v_pk_fma_f16 v53, v26, v58, v53 op_sel_hi:[1,0,1]
	v_pk_fma_f16 v54, v26, v58, v54 op_sel:[0,1,0]
	v_pk_fma_f16 v47, v26, v59, v47 op_sel_hi:[1,0,1]
	v_pk_fma_f16 v56, v26, v59, v48 op_sel:[0,1,0]
	v_add_u32_e32 v26, 0x4800, v25
	v_pk_fma_f16 v32, v27, v58, v32 op_sel_hi:[1,0,1]
	v_pk_fma_f16 v55, v27, v58, v55 op_sel:[0,1,0]
	v_pk_fma_f16 v57, v27, v59, v74 op_sel_hi:[1,0,1]
	v_pk_fma_f16 v10, v27, v59, v10 op_sel:[0,1,0]
	;; [unrolled: 2-line block ×4, first 2 shown]
	ds_read2_b64 v[48:51], v26 offset1:32
	v_pk_fma_f16 v76, v29, v58, v30 op_sel_hi:[1,0,1]
	v_pk_fma_f16 v52, v29, v58, v52 op_sel:[0,1,0]
	v_pk_fma_f16 v22, v29, v59, v22 op_sel_hi:[1,0,1]
	v_pk_fma_f16 v58, v29, v59, v31 op_sel:[0,1,0]
	s_waitcnt lgkmcnt(0)
	v_pk_fma_f16 v53, v48, v66, v53 op_sel_hi:[1,0,1]
	v_pk_fma_f16 v54, v48, v66, v54 op_sel:[0,1,0]
	v_pk_fma_f16 v47, v48, v67, v47 op_sel_hi:[1,0,1]
	v_pk_fma_f16 v48, v48, v67, v56 op_sel:[0,1,0]
	v_pk_fma_f16 v32, v49, v66, v32 op_sel_hi:[1,0,1]
	v_pk_fma_f16 v55, v49, v66, v55 op_sel:[0,1,0]
	v_pk_fma_f16 v56, v49, v67, v57 op_sel_hi:[1,0,1]
	v_pk_fma_f16 v10, v49, v67, v10 op_sel:[0,1,0]
	v_pk_fma_f16 v27, v50, v66, v27 op_sel_hi:[1,0,1]
	v_pk_fma_f16 v49, v50, v66, v74 op_sel:[0,1,0]
	v_pk_fma_f16 v57, v50, v67, v75 op_sel_hi:[1,0,1]
	v_pk_fma_f16 v50, v50, v67, v28 op_sel:[0,1,0]
	ds_read2_b64 v[28:31], v26 offset0:64 offset1:96
	v_pk_fma_f16 v59, v51, v66, v76 op_sel_hi:[1,0,1]
	v_pk_fma_f16 v52, v51, v66, v52 op_sel:[0,1,0]
	v_pk_fma_f16 v22, v51, v67, v22 op_sel_hi:[1,0,1]
	v_pk_fma_f16 v58, v51, v67, v58 op_sel:[0,1,0]
	s_waitcnt lgkmcnt(0)
	v_pk_fma_f16 v53, v28, v68, v53 op_sel_hi:[1,0,1]
	v_pk_fma_f16 v54, v28, v68, v54 op_sel:[0,1,0]
	v_pk_fma_f16 v47, v28, v69, v47 op_sel_hi:[1,0,1]
	v_pk_fma_f16 v28, v28, v69, v48 op_sel:[0,1,0]
	v_pk_fma_f16 v32, v29, v68, v32 op_sel_hi:[1,0,1]
	v_pk_fma_f16 v55, v29, v68, v55 op_sel:[0,1,0]
	v_pk_fma_f16 v56, v29, v69, v56 op_sel_hi:[1,0,1]
	v_pk_fma_f16 v10, v29, v69, v10 op_sel:[0,1,0]
	v_pk_fma_f16 v27, v30, v68, v27 op_sel_hi:[1,0,1]
	v_pk_fma_f16 v29, v30, v68, v49 op_sel:[0,1,0]
	v_pk_fma_f16 v57, v30, v69, v57 op_sel_hi:[1,0,1]
	v_pk_fma_f16 v30, v30, v69, v50 op_sel:[0,1,0]
	ds_read2_b64 v[48:51], v26 offset0:128 offset1:160
	;; [unrolled: 18-line block ×3, first 2 shown]
	v_pk_fma_f16 v22, v51, v71, v22 op_sel_hi:[1,0,1]
	v_pk_fma_f16 v58, v51, v71, v58 op_sel:[0,1,0]
	v_pk_fma_f16 v59, v51, v70, v59 op_sel_hi:[1,0,1]
	v_pk_fma_f16 v66, v51, v70, v52 op_sel:[0,1,0]
	s_waitcnt lgkmcnt(0)
	v_pk_fma_f16 v71, v29, v73, v10 op_sel:[0,1,0]
	v_add_u32_e32 v10, 0x5000, v25
	v_pk_fma_f16 v67, v28, v72, v53 op_sel_hi:[1,0,1]
	v_pk_fma_f16 v68, v28, v72, v54 op_sel:[0,1,0]
	v_pk_fma_f16 v69, v28, v73, v48 op_sel:[0,1,0]
	;; [unrolled: 1-line block ×5, first 2 shown]
	ds_read2_b64 v[48:51], v10 offset1:32
	ds_read_b128 v[52:55], v37 offset:64
	v_pk_fma_f16 v47, v28, v73, v47 op_sel_hi:[1,0,1]
	v_pk_fma_f16 v56, v29, v73, v56 op_sel_hi:[1,0,1]
	v_pk_fma_f16 v57, v30, v73, v57 op_sel_hi:[1,0,1]
	v_pk_fma_f16 v32, v29, v72, v32 op_sel_hi:[1,0,1]
	v_pk_fma_f16 v27, v30, v72, v27 op_sel_hi:[1,0,1]
	v_pk_fma_f16 v76, v31, v72, v59 op_sel_hi:[1,0,1]
	v_pk_fma_f16 v66, v31, v72, v66 op_sel:[0,1,0]
	v_pk_fma_f16 v22, v31, v73, v22 op_sel_hi:[1,0,1]
	v_pk_fma_f16 v72, v31, v73, v58 op_sel:[0,1,0]
	s_waitcnt lgkmcnt(0)
	v_pk_fma_f16 v67, v48, v52, v67 op_sel_hi:[1,0,1]
	v_pk_fma_f16 v68, v48, v52, v68 op_sel:[0,1,0]
	v_pk_fma_f16 v47, v48, v53, v47 op_sel_hi:[1,0,1]
	v_pk_fma_f16 v48, v48, v53, v69 op_sel:[0,1,0]
	v_pk_fma_f16 v69, v49, v52, v70 op_sel:[0,1,0]
	v_pk_fma_f16 v70, v49, v53, v56 op_sel_hi:[1,0,1]
	v_pk_fma_f16 v73, v50, v53, v57 op_sel_hi:[1,0,1]
	ds_read2_b64 v[56:59], v10 offset0:64 offset1:96
	v_pk_fma_f16 v32, v49, v52, v32 op_sel_hi:[1,0,1]
	v_pk_fma_f16 v49, v49, v53, v71 op_sel:[0,1,0]
	v_pk_fma_f16 v27, v50, v52, v27 op_sel_hi:[1,0,1]
	v_pk_fma_f16 v71, v50, v52, v74 op_sel:[0,1,0]
	v_pk_fma_f16 v50, v50, v53, v75 op_sel:[0,1,0]
	ds_read_b128 v[28:31], v37 offset:80
	v_pk_fma_f16 v74, v51, v52, v76 op_sel_hi:[1,0,1]
	v_pk_fma_f16 v52, v51, v52, v66 op_sel:[0,1,0]
	v_pk_fma_f16 v22, v51, v53, v22 op_sel_hi:[1,0,1]
	v_pk_fma_f16 v53, v51, v53, v72 op_sel:[0,1,0]
	s_waitcnt lgkmcnt(1)
	v_pk_fma_f16 v66, v56, v54, v67 op_sel_hi:[1,0,1]
	v_pk_fma_f16 v67, v56, v54, v68 op_sel:[0,1,0]
	v_pk_fma_f16 v47, v56, v55, v47 op_sel_hi:[1,0,1]
	v_pk_fma_f16 v56, v56, v55, v48 op_sel:[0,1,0]
	v_pk_fma_f16 v32, v57, v54, v32 op_sel_hi:[1,0,1]
	v_pk_fma_f16 v68, v57, v54, v69 op_sel:[0,1,0]
	v_pk_fma_f16 v69, v57, v55, v70 op_sel_hi:[1,0,1]
	v_pk_fma_f16 v57, v57, v55, v49 op_sel:[0,1,0]
	v_pk_fma_f16 v27, v58, v54, v27 op_sel_hi:[1,0,1]
	v_pk_fma_f16 v70, v58, v54, v71 op_sel:[0,1,0]
	v_pk_fma_f16 v71, v58, v55, v73 op_sel_hi:[1,0,1]
	v_pk_fma_f16 v58, v58, v55, v50 op_sel:[0,1,0]
	ds_read2_b64 v[48:51], v10 offset0:128 offset1:160
	s_or_b32 s8, s6, 16
	s_mul_hi_i32 s9, s8, s15
	s_mul_i32 s8, s8, s15
	s_lshl_b64 s[8:9], s[8:9], 2
	s_add_u32 s8, s12, s8
	v_pk_fma_f16 v72, v59, v54, v74 op_sel_hi:[1,0,1]
	v_pk_fma_f16 v73, v59, v54, v52 op_sel:[0,1,0]
	v_pk_fma_f16 v22, v59, v55, v22 op_sel_hi:[1,0,1]
	v_pk_fma_f16 v59, v59, v55, v53 op_sel:[0,1,0]
	s_addc_u32 s9, s13, s9
	s_waitcnt lgkmcnt(0)
	v_pk_fma_f16 v66, v48, v28, v66 op_sel_hi:[1,0,1]
	v_pk_fma_f16 v92, v48, v28, v67 op_sel:[0,1,0]
	v_pk_fma_f16 v47, v48, v29, v47 op_sel_hi:[1,0,1]
	v_pk_fma_f16 v93, v48, v29, v56 op_sel:[0,1,0]
	;; [unrolled: 2-line block ×8, first 2 shown]
	v_mov_b32_e32 v28, s9
	v_add_co_u32_e32 v29, vcc, s8, v18
	v_addc_co_u32_e32 v82, vcc, v28, v19, vcc
	ds_read2_b64 v[52:55], v10 offset0:192 offset1:224
	v_add_co_u32_e32 v28, vcc, v29, v38
	v_addc_co_u32_e32 v29, vcc, 0, v82, vcc
	v_mov_b32_e32 v82, s9
	v_add_co_u32_e32 v83, vcc, s8, v20
	v_addc_co_u32_e32 v82, vcc, v82, v21, vcc
	v_add_u32_e32 v22, 0x5800, v25
	v_add_co_u32_e32 v90, vcc, v83, v38
	s_waitcnt lgkmcnt(0)
	v_pk_fma_f16 v104, v52, v30, v66 op_sel_hi:[1,0,1]
	ds_read2_b64 v[48:51], v22 offset1:32
	ds_read2_b64 v[56:59], v22 offset0:64 offset1:96
	ds_read2_b64 v[66:69], v22 offset0:128 offset1:160
	ds_read_b128 v[70:73], v37 offset:96
	ds_read_b128 v[74:77], v37 offset:112
	ds_read2_b64 v[78:81], v22 offset0:192 offset1:224
	s_waitcnt lgkmcnt(0)
	s_barrier
	v_addc_co_u32_e32 v91, vcc, 0, v82, vcc
	global_load_dwordx4 v[82:85], v[28:29], off
	global_load_dwordx4 v[86:89], v[90:91], off
	v_pk_fma_f16 v28, v52, v30, v92 op_sel:[0,1,0]
	v_pk_fma_f16 v29, v52, v31, v47 op_sel_hi:[1,0,1]
	v_pk_fma_f16 v47, v52, v31, v93 op_sel:[0,1,0]
	v_pk_fma_f16 v32, v53, v30, v32 op_sel_hi:[1,0,1]
	;; [unrolled: 2-line block ×38, first 2 shown]
	v_pk_fma_f16 v76, v81, v76, v30 op_sel:[0,1,0]
	s_waitcnt vmcnt(1)
	ds_write_b128 v39, v[82:85]
	s_waitcnt vmcnt(0)
	ds_write_b128 v40, v[86:89]
	s_waitcnt lgkmcnt(0)
	s_barrier
	ds_read2_b64 v[28:31], v24 offset1:32
	ds_read_b128 v[48:51], v37 offset:128
	v_pk_fma_f16 v91, v81, v77, v56 op_sel_hi:[1,0,1]
	v_pk_fma_f16 v77, v81, v77, v57 op_sel:[0,1,0]
	ds_read_b128 v[52:55], v37 offset:144
	ds_read_b128 v[56:59], v37 offset:160
	;; [unrolled: 1-line block ×3, first 2 shown]
	s_waitcnt lgkmcnt(3)
	v_pk_fma_f16 v81, v28, v48, v70 op_sel_hi:[1,0,1]
	v_pk_fma_f16 v82, v28, v48, v71 op_sel:[0,1,0]
	v_pk_fma_f16 v83, v28, v49, v72 op_sel_hi:[1,0,1]
	v_pk_fma_f16 v28, v28, v49, v47 op_sel:[0,1,0]
	v_pk_fma_f16 v47, v29, v48, v73 op_sel:[0,1,0]
	ds_read2_b64 v[70:73], v24 offset0:64 offset1:96
	v_pk_fma_f16 v32, v29, v48, v32 op_sel_hi:[1,0,1]
	v_pk_fma_f16 v74, v29, v49, v74 op_sel_hi:[1,0,1]
	v_pk_fma_f16 v29, v29, v49, v75 op_sel:[0,1,0]
	v_pk_fma_f16 v27, v30, v48, v27 op_sel_hi:[1,0,1]
	v_pk_fma_f16 v75, v30, v48, v78 op_sel:[0,1,0]
	;; [unrolled: 2-line block ×5, first 2 shown]
	s_waitcnt lgkmcnt(0)
	v_pk_fma_f16 v77, v70, v50, v81 op_sel_hi:[1,0,1]
	v_pk_fma_f16 v80, v70, v50, v82 op_sel:[0,1,0]
	v_pk_fma_f16 v81, v70, v51, v83 op_sel_hi:[1,0,1]
	v_pk_fma_f16 v70, v70, v51, v28 op_sel:[0,1,0]
	;; [unrolled: 2-line block ×6, first 2 shown]
	ds_read2_b64 v[28:31], v24 offset0:128 offset1:160
	v_pk_fma_f16 v79, v73, v50, v79 op_sel_hi:[1,0,1]
	v_pk_fma_f16 v82, v73, v50, v48 op_sel:[0,1,0]
	v_pk_fma_f16 v76, v73, v51, v76 op_sel_hi:[1,0,1]
	v_pk_fma_f16 v73, v73, v51, v49 op_sel:[0,1,0]
	ds_read2_b64 v[48:51], v24 offset0:192 offset1:224
	s_waitcnt lgkmcnt(1)
	v_pk_fma_f16 v77, v28, v52, v77 op_sel_hi:[1,0,1]
	v_pk_fma_f16 v80, v28, v52, v80 op_sel:[0,1,0]
	v_pk_fma_f16 v81, v28, v53, v81 op_sel_hi:[1,0,1]
	v_pk_fma_f16 v28, v28, v53, v70 op_sel:[0,1,0]
	v_pk_fma_f16 v32, v29, v52, v32 op_sel_hi:[1,0,1]
	v_pk_fma_f16 v47, v29, v52, v47 op_sel:[0,1,0]
	v_pk_fma_f16 v70, v29, v53, v74 op_sel_hi:[1,0,1]
	v_pk_fma_f16 v29, v29, v53, v71 op_sel:[0,1,0]
	v_pk_fma_f16 v27, v30, v52, v27 op_sel_hi:[1,0,1]
	v_pk_fma_f16 v71, v30, v52, v75 op_sel:[0,1,0]
	v_pk_fma_f16 v74, v30, v53, v78 op_sel_hi:[1,0,1]
	v_pk_fma_f16 v30, v30, v53, v72 op_sel:[0,1,0]
	v_pk_fma_f16 v24, v31, v52, v79 op_sel_hi:[1,0,1]
	v_pk_fma_f16 v52, v31, v52, v82 op_sel:[0,1,0]
	v_pk_fma_f16 v72, v31, v53, v76 op_sel_hi:[1,0,1]
	v_pk_fma_f16 v53, v31, v53, v73 op_sel:[0,1,0]
	s_waitcnt lgkmcnt(0)
	v_pk_fma_f16 v73, v48, v54, v77 op_sel_hi:[1,0,1]
	v_pk_fma_f16 v75, v48, v54, v80 op_sel:[0,1,0]
	v_pk_fma_f16 v76, v48, v55, v81 op_sel_hi:[1,0,1]
	v_pk_fma_f16 v48, v48, v55, v28 op_sel:[0,1,0]
	;; [unrolled: 2-line block ×6, first 2 shown]
	ds_read2_b64 v[28:31], v26 offset1:32
	v_pk_fma_f16 v24, v51, v54, v24 op_sel_hi:[1,0,1]
	v_pk_fma_f16 v52, v51, v54, v52 op_sel:[0,1,0]
	v_pk_fma_f16 v54, v51, v55, v72 op_sel_hi:[1,0,1]
	v_pk_fma_f16 v53, v51, v55, v53 op_sel:[0,1,0]
	s_waitcnt lgkmcnt(0)
	v_pk_fma_f16 v55, v28, v56, v73 op_sel_hi:[1,0,1]
	v_pk_fma_f16 v72, v28, v56, v75 op_sel:[0,1,0]
	v_pk_fma_f16 v73, v28, v57, v76 op_sel_hi:[1,0,1]
	v_pk_fma_f16 v28, v28, v57, v48 op_sel:[0,1,0]
	;; [unrolled: 2-line block ×6, first 2 shown]
	ds_read2_b64 v[48:51], v26 offset0:64 offset1:96
	v_pk_fma_f16 v24, v31, v56, v24 op_sel_hi:[1,0,1]
	v_pk_fma_f16 v52, v31, v56, v52 op_sel:[0,1,0]
	v_pk_fma_f16 v54, v31, v57, v54 op_sel_hi:[1,0,1]
	v_pk_fma_f16 v53, v31, v57, v53 op_sel:[0,1,0]
	s_waitcnt lgkmcnt(0)
	v_pk_fma_f16 v55, v48, v58, v55 op_sel_hi:[1,0,1]
	v_pk_fma_f16 v56, v48, v58, v72 op_sel:[0,1,0]
	v_pk_fma_f16 v57, v48, v59, v73 op_sel_hi:[1,0,1]
	v_pk_fma_f16 v48, v48, v59, v28 op_sel:[0,1,0]
	;; [unrolled: 2-line block ×6, first 2 shown]
	ds_read2_b64 v[28:31], v26 offset0:128 offset1:160
	v_pk_fma_f16 v24, v51, v58, v24 op_sel_hi:[1,0,1]
	v_pk_fma_f16 v52, v51, v58, v52 op_sel:[0,1,0]
	v_pk_fma_f16 v54, v51, v59, v54 op_sel_hi:[1,0,1]
	v_pk_fma_f16 v51, v51, v59, v53 op_sel:[0,1,0]
	s_waitcnt lgkmcnt(0)
	v_pk_fma_f16 v53, v28, v66, v55 op_sel_hi:[1,0,1]
	v_pk_fma_f16 v55, v28, v66, v56 op_sel:[0,1,0]
	v_pk_fma_f16 v56, v28, v67, v57 op_sel_hi:[1,0,1]
	v_pk_fma_f16 v48, v28, v67, v48 op_sel:[0,1,0]
	;; [unrolled: 2-line block ×4, first 2 shown]
	v_pk_fma_f16 v58, v30, v66, v27 op_sel_hi:[1,0,1]
	ds_read2_b64 v[26:29], v26 offset0:192 offset1:224
	v_pk_fma_f16 v59, v30, v66, v71 op_sel:[0,1,0]
	v_pk_fma_f16 v70, v30, v67, v72 op_sel_hi:[1,0,1]
	v_pk_fma_f16 v30, v30, v67, v50 op_sel:[0,1,0]
	v_pk_fma_f16 v24, v31, v66, v24 op_sel_hi:[1,0,1]
	;; [unrolled: 2-line block ×3, first 2 shown]
	v_pk_fma_f16 v31, v31, v67, v51 op_sel:[0,1,0]
	s_waitcnt lgkmcnt(0)
	v_pk_fma_f16 v67, v26, v68, v53 op_sel_hi:[1,0,1]
	v_pk_fma_f16 v72, v26, v68, v55 op_sel:[0,1,0]
	v_pk_fma_f16 v73, v26, v69, v48 op_sel:[0,1,0]
	;; [unrolled: 1-line block ×3, first 2 shown]
	ds_read2_b64 v[48:51], v10 offset1:32
	ds_read_b128 v[52:55], v37 offset:192
	v_pk_fma_f16 v56, v26, v69, v56 op_sel_hi:[1,0,1]
	v_pk_fma_f16 v32, v27, v68, v32 op_sel_hi:[1,0,1]
	v_pk_fma_f16 v47, v27, v68, v47 op_sel:[0,1,0]
	v_pk_fma_f16 v57, v27, v69, v57 op_sel_hi:[1,0,1]
	v_pk_fma_f16 v58, v28, v68, v58 op_sel_hi:[1,0,1]
	v_pk_fma_f16 v59, v28, v68, v59 op_sel:[0,1,0]
	v_pk_fma_f16 v70, v28, v69, v70 op_sel_hi:[1,0,1]
	v_pk_fma_f16 v30, v28, v69, v30 op_sel:[0,1,0]
	;; [unrolled: 2-line block ×4, first 2 shown]
	s_waitcnt lgkmcnt(0)
	v_pk_fma_f16 v67, v48, v52, v67 op_sel_hi:[1,0,1]
	v_pk_fma_f16 v69, v48, v52, v72 op_sel:[0,1,0]
	v_pk_fma_f16 v71, v48, v53, v56 op_sel_hi:[1,0,1]
	v_pk_fma_f16 v48, v48, v53, v73 op_sel:[0,1,0]
	;; [unrolled: 2-line block ×5, first 2 shown]
	ds_read2_b64 v[56:59], v10 offset0:64 offset1:96
	ds_read_b128 v[26:29], v37 offset:208
	v_pk_fma_f16 v70, v50, v53, v70 op_sel_hi:[1,0,1]
	v_pk_fma_f16 v30, v50, v53, v30 op_sel:[0,1,0]
	v_pk_fma_f16 v24, v51, v52, v24 op_sel_hi:[1,0,1]
	v_pk_fma_f16 v52, v51, v52, v66 op_sel:[0,1,0]
	v_pk_fma_f16 v66, v51, v53, v68 op_sel_hi:[1,0,1]
	v_pk_fma_f16 v31, v51, v53, v31 op_sel:[0,1,0]
	s_waitcnt lgkmcnt(1)
	v_pk_fma_f16 v53, v56, v54, v67 op_sel_hi:[1,0,1]
	v_pk_fma_f16 v67, v56, v54, v69 op_sel:[0,1,0]
	v_pk_fma_f16 v68, v56, v55, v71 op_sel_hi:[1,0,1]
	v_pk_fma_f16 v56, v56, v55, v48 op_sel:[0,1,0]
	;; [unrolled: 2-line block ×4, first 2 shown]
	ds_read2_b64 v[48:51], v10 offset0:128 offset1:160
	v_pk_fma_f16 v71, v58, v54, v73 op_sel_hi:[1,0,1]
	v_pk_fma_f16 v72, v58, v54, v74 op_sel:[0,1,0]
	v_pk_fma_f16 v70, v58, v55, v70 op_sel_hi:[1,0,1]
	v_pk_fma_f16 v30, v58, v55, v30 op_sel:[0,1,0]
	;; [unrolled: 2-line block ×4, first 2 shown]
	s_waitcnt lgkmcnt(0)
	v_pk_fma_f16 v59, v48, v26, v53 op_sel_hi:[1,0,1]
	ds_read2_b64 v[52:55], v10 offset0:192 offset1:224
	v_pk_fma_f16 v67, v48, v26, v67 op_sel:[0,1,0]
	v_pk_fma_f16 v68, v48, v27, v68 op_sel_hi:[1,0,1]
	v_pk_fma_f16 v48, v48, v27, v56 op_sel:[0,1,0]
	v_pk_fma_f16 v32, v49, v26, v32 op_sel_hi:[1,0,1]
	;; [unrolled: 2-line block ×7, first 2 shown]
	v_pk_fma_f16 v27, v51, v27, v31 op_sel:[0,1,0]
	s_waitcnt lgkmcnt(0)
	v_pk_fma_f16 v31, v52, v28, v59 op_sel_hi:[1,0,1]
	v_pk_fma_f16 v66, v52, v28, v67 op_sel:[0,1,0]
	v_pk_fma_f16 v67, v52, v29, v68 op_sel_hi:[1,0,1]
	v_pk_fma_f16 v68, v52, v29, v48 op_sel:[0,1,0]
	;; [unrolled: 2-line block ×3, first 2 shown]
	v_pk_fma_f16 v73, v54, v28, v57 op_sel_hi:[1,0,1]
	ds_read2_b64 v[48:51], v22 offset1:32
	ds_read_b128 v[56:59], v37 offset:224
	v_pk_fma_f16 v32, v53, v28, v32 op_sel_hi:[1,0,1]
	v_pk_fma_f16 v47, v53, v28, v47 op_sel:[0,1,0]
	v_pk_fma_f16 v69, v54, v28, v69 op_sel:[0,1,0]
	v_pk_fma_f16 v70, v54, v29, v70 op_sel_hi:[1,0,1]
	v_pk_fma_f16 v30, v54, v29, v30 op_sel:[0,1,0]
	v_pk_fma_f16 v10, v55, v28, v10 op_sel_hi:[1,0,1]
	;; [unrolled: 2-line block ×3, first 2 shown]
	v_pk_fma_f16 v75, v55, v29, v27 op_sel:[0,1,0]
	ds_read2_b64 v[26:29], v22 offset0:64 offset1:96
	s_waitcnt lgkmcnt(1)
	v_pk_fma_f16 v31, v48, v56, v31 op_sel_hi:[1,0,1]
	v_pk_fma_f16 v66, v48, v56, v66 op_sel:[0,1,0]
	v_pk_fma_f16 v67, v48, v57, v67 op_sel_hi:[1,0,1]
	v_pk_fma_f16 v48, v48, v57, v68 op_sel:[0,1,0]
	;; [unrolled: 2-line block ×8, first 2 shown]
	ds_read_b128 v[52:55], v37 offset:240
	s_waitcnt lgkmcnt(1)
	v_pk_fma_f16 v31, v26, v58, v31 op_sel_hi:[1,0,1]
	v_pk_fma_f16 v66, v26, v58, v66 op_sel:[0,1,0]
	v_pk_fma_f16 v67, v26, v59, v67 op_sel_hi:[1,0,1]
	v_pk_fma_f16 v26, v26, v59, v48 op_sel:[0,1,0]
	;; [unrolled: 2-line block ×6, first 2 shown]
	ds_read2_b64 v[48:51], v22 offset0:128 offset1:160
	v_pk_fma_f16 v10, v29, v58, v10 op_sel_hi:[1,0,1]
	v_pk_fma_f16 v24, v29, v58, v24 op_sel:[0,1,0]
	v_pk_fma_f16 v30, v29, v59, v56 op_sel_hi:[1,0,1]
	v_pk_fma_f16 v29, v29, v59, v57 op_sel:[0,1,0]
	ds_read2_b64 v[56:59], v22 offset0:192 offset1:224
	s_waitcnt lgkmcnt(0)
	s_barrier
	s_load_dword s8, s[0:1], 0x4
	v_pk_fma_f16 v31, v48, v52, v31 op_sel_hi:[1,0,1]
	v_pk_fma_f16 v66, v48, v52, v66 op_sel:[0,1,0]
	v_pk_fma_f16 v67, v48, v53, v67 op_sel_hi:[1,0,1]
	v_pk_fma_f16 v26, v48, v53, v26 op_sel:[0,1,0]
	s_waitcnt lgkmcnt(0)
	s_lshl_b32 s8, s8, 5
	v_pk_fma_f16 v32, v49, v52, v32 op_sel_hi:[1,0,1]
	v_pk_fma_f16 v48, v49, v52, v47 op_sel:[0,1,0]
	v_pk_fma_f16 v68, v49, v53, v68 op_sel_hi:[1,0,1]
	v_pk_fma_f16 v27, v49, v53, v27 op_sel:[0,1,0]
	v_pk_fma_f16 v71, v50, v52, v71 op_sel_hi:[1,0,1]
	v_pk_fma_f16 v69, v50, v52, v69 op_sel:[0,1,0]
	v_pk_fma_f16 v70, v50, v53, v70 op_sel_hi:[1,0,1]
	v_pk_fma_f16 v72, v50, v53, v28 op_sel:[0,1,0]
	v_pk_fma_f16 v22, v51, v52, v10 op_sel_hi:[1,0,1]
	v_pk_fma_f16 v73, v51, v52, v24 op_sel:[0,1,0]
	v_pk_fma_f16 v74, v51, v53, v30 op_sel_hi:[1,0,1]
	v_pk_fma_f16 v53, v51, v53, v29 op_sel:[0,1,0]
	s_add_i32 s6, s8, s6
	v_pk_fma_f16 v51, v56, v54, v31 op_sel_hi:[1,0,1]
	v_pk_fma_f16 v49, v56, v54, v66 op_sel:[0,1,0]
	v_pk_fma_f16 v47, v56, v55, v67 op_sel_hi:[1,0,1]
	v_pk_fma_f16 v31, v56, v55, v26 op_sel:[0,1,0]
	;; [unrolled: 2-line block ×7, first 2 shown]
	v_pk_fma_f16 v22, v59, v55, v74 op_sel_hi:[1,0,1]
	s_cmp_ge_i32 s6, s28
	v_pk_fma_f16 v27, v59, v55, v53 op_sel:[0,1,0]
	s_cbranch_scc1 .LBB58_27
; %bb.26:                               ;   in Loop: Header=BB58_9 Depth=1
	v_mov_b32_e32 v53, v0
	v_mov_b32_e32 v54, v1
	;; [unrolled: 1-line block ×4, first 2 shown]
	s_branch .LBB58_9
.LBB58_27:
	v_cmp_lt_i32_e32 vcc, v62, v61
	v_cndmask_b32_e32 v12, v13, v62, vcc
	v_cmp_lt_i32_e32 vcc, v64, v61
	v_cndmask_b32_e32 v14, v13, v64, vcc
	v_cmp_lt_i32_e32 vcc, v65, v61
	v_lshlrev_b32_e32 v12, 2, v12
	v_lshlrev_b32_e32 v18, 2, v14
	v_cndmask_b32_e32 v14, v13, v65, vcc
	v_lshlrev_b32_e32 v19, 2, v14
	ds_bpermute_b32 v14, v12, v8
	ds_bpermute_b32 v15, v12, v9
	;; [unrolled: 1-line block ×4, first 2 shown]
	v_cmp_lt_i32_e32 vcc, v63, v61
	v_cndmask_b32_e32 v12, v13, v63, vcc
	s_waitcnt lgkmcnt(2)
	v_pk_add_f32 v[8:9], v[8:9], v[14:15]
	ds_bpermute_b32 v14, v18, v8
	s_waitcnt lgkmcnt(1)
	v_pk_add_f32 v[6:7], v[6:7], v[16:17]
	ds_bpermute_b32 v15, v18, v9
	ds_bpermute_b32 v16, v18, v6
	;; [unrolled: 1-line block ×3, first 2 shown]
	v_lshlrev_b32_e32 v18, 2, v12
	v_cmp_lt_i32_e32 vcc, v60, v61
	s_waitcnt lgkmcnt(2)
	v_pk_add_f32 v[8:9], v[8:9], v[14:15]
	ds_bpermute_b32 v14, v19, v8
	s_waitcnt lgkmcnt(1)
	v_pk_add_f32 v[6:7], v[6:7], v[16:17]
	ds_bpermute_b32 v15, v19, v9
	ds_bpermute_b32 v16, v19, v6
	;; [unrolled: 1-line block ×3, first 2 shown]
	v_cndmask_b32_e32 v19, v13, v60, vcc
	s_cmp_lg_u64 s[16:17], 0
	s_waitcnt lgkmcnt(2)
	v_pk_add_f32 v[8:9], v[8:9], v[14:15]
	ds_bpermute_b32 v12, v18, v8
	s_waitcnt lgkmcnt(1)
	v_pk_add_f32 v[6:7], v[6:7], v[16:17]
	ds_bpermute_b32 v13, v18, v9
	ds_bpermute_b32 v14, v18, v6
	;; [unrolled: 1-line block ×3, first 2 shown]
	v_lshlrev_b32_e32 v16, 2, v19
	s_cselect_b64 s[0:1], -1, 0
	s_waitcnt lgkmcnt(2)
	v_pk_add_f32 v[8:9], v[8:9], v[12:13]
	ds_bpermute_b32 v12, v16, v8
	s_waitcnt lgkmcnt(1)
	v_pk_add_f32 v[6:7], v[6:7], v[14:15]
	ds_bpermute_b32 v13, v16, v9
	ds_bpermute_b32 v14, v16, v6
	ds_bpermute_b32 v15, v16, v7
	s_cmp_eq_u32 s7, 0
	s_cselect_b64 s[8:9], -1, 0
	s_and_b64 s[0:1], s[8:9], s[0:1]
	s_waitcnt lgkmcnt(2)
	v_pk_add_f32 v[8:9], v[8:9], v[12:13]
	s_waitcnt lgkmcnt(0)
	v_pk_add_f32 v[6:7], v[6:7], v[14:15]
	s_and_b64 vcc, exec, s[0:1]
	s_cbranch_vccz .LBB58_29
; %bb.28:
	v_add_u32_e32 v12, s29, v23
	v_ashrrev_i32_e32 v13, 31, v12
	v_lshlrev_b64 v[12:13], 2, v[12:13]
	v_mov_b32_e32 v14, s17
	v_add_co_u32_e32 v12, vcc, s16, v12
	v_addc_co_u32_e32 v13, vcc, v14, v13, vcc
	global_load_dwordx4 v[12:15], v[12:13], off
	v_max_f32_e32 v16, v1, v1
	v_max_f32_e32 v18, v0, v0
	;; [unrolled: 1-line block ×4, first 2 shown]
	s_mov_b32 s6, 0x3fb8aa3b
	s_mov_b32 s0, 0xc2ce8ed0
	;; [unrolled: 1-line block ×3, first 2 shown]
	v_mov_b32_e32 v20, 0x7f800000
	s_waitcnt vmcnt(0)
	v_max_f32_e32 v17, v13, v13
	v_max_f32_e32 v25, v12, v12
	;; [unrolled: 1-line block ×6, first 2 shown]
	v_pk_add_f32 v[0:1], v[0:1], v[16:17] neg_lo:[0,1] neg_hi:[0,1]
	v_max_f32_e32 v19, v19, v33
	v_max_f32_e32 v18, v21, v34
	v_mul_f32_e32 v21, 0x3fb8aa3b, v1
	v_pk_add_f32 v[2:3], v[2:3], v[18:19] neg_lo:[0,1] neg_hi:[0,1]
	v_mul_f32_e32 v25, 0x3fb8aa3b, v0
	v_fma_f32 v36, v1, s6, -v21
	v_rndne_f32_e32 v37, v21
	v_mul_f32_e32 v33, 0x3fb8aa3b, v3
	v_fma_f32 v38, v0, s6, -v25
	v_rndne_f32_e32 v39, v25
	v_fmac_f32_e32 v36, 0x32a5705f, v1
	v_sub_f32_e32 v21, v21, v37
	v_mul_f32_e32 v34, 0x3fb8aa3b, v2
	v_fma_f32 v40, v3, s6, -v33
	v_rndne_f32_e32 v41, v33
	v_fmac_f32_e32 v38, 0x32a5705f, v0
	v_sub_f32_e32 v25, v25, v39
	v_add_f32_e32 v21, v21, v36
	v_fma_f32 v42, v2, s6, -v34
	v_rndne_f32_e32 v43, v34
	v_cvt_i32_f32_e32 v37, v37
	v_fmac_f32_e32 v40, 0x32a5705f, v3
	v_sub_f32_e32 v33, v33, v41
	v_add_f32_e32 v25, v25, v38
	v_exp_f32_e32 v21, v21
	v_cvt_i32_f32_e32 v39, v39
	v_fmac_f32_e32 v42, 0x32a5705f, v2
	v_sub_f32_e32 v34, v34, v43
	v_add_f32_e32 v33, v33, v40
	v_exp_f32_e32 v25, v25
	v_cvt_i32_f32_e32 v41, v41
	v_add_f32_e32 v34, v34, v42
	v_exp_f32_e32 v33, v33
	v_cvt_i32_f32_e32 v43, v43
	v_exp_f32_e32 v34, v34
	v_ldexp_f32 v21, v21, v37
	v_cmp_ngt_f32_e32 vcc, s0, v1
	v_ldexp_f32 v25, v25, v39
	v_cndmask_b32_e32 v21, 0, v21, vcc
	v_cmp_ngt_f32_e32 vcc, s0, v0
	v_ldexp_f32 v33, v33, v41
	v_cndmask_b32_e32 v25, 0, v25, vcc
	;; [unrolled: 3-line block ×3, first 2 shown]
	v_cmp_ngt_f32_e32 vcc, s0, v2
	v_cndmask_b32_e32 v34, 0, v34, vcc
	v_cmp_nlt_f32_e32 vcc, s1, v1
	v_cndmask_b32_e32 v1, v20, v21, vcc
	v_cmp_nlt_f32_e32 vcc, s1, v0
	v_cndmask_b32_e32 v0, v20, v25, vcc
	v_pk_add_f32 v[14:15], v[14:15], v[18:19] neg_lo:[0,1] neg_hi:[0,1]
	v_cvt_f16_f32_e32 v21, v0
	v_mul_f32_e32 v35, 0x3fb8aa3b, v15
	v_cvt_f16_f32_e32 v25, v1
	v_fma_f32 v44, v15, s6, -v35
	v_rndne_f32_e32 v45, v35
	v_fmac_f32_e32 v44, 0x32a5705f, v15
	v_sub_f32_e32 v35, v35, v45
	v_cmp_nlt_f32_e32 vcc, s1, v3
	v_cndmask_b32_e32 v3, v20, v33, vcc
	v_cmp_nlt_f32_e32 vcc, s1, v2
	v_pk_mul_f16 v51, v21, v51 op_sel_hi:[0,1]
	v_pk_mul_f16 v32, v21, v32 op_sel_hi:[0,1]
	;; [unrolled: 1-line block ×4, first 2 shown]
	v_add_f32_e32 v21, v35, v44
	v_cndmask_b32_e32 v2, v20, v34, vcc
	v_pk_mul_f16 v49, v25, v49 op_sel_hi:[0,1]
	v_pk_mul_f16 v28, v25, v28 op_sel_hi:[0,1]
	;; [unrolled: 1-line block ×4, first 2 shown]
	v_exp_f32_e32 v21, v21
	v_cvt_i32_f32_e32 v25, v45
	v_cvt_f16_f32_e32 v33, v2
	v_cvt_f16_f32_e32 v34, v3
	v_cmp_ngt_f32_e32 vcc, s0, v15
	v_ldexp_f32 v21, v21, v25
	v_mul_f32_e32 v25, 0x3fb8aa3b, v14
	v_pk_mul_f16 v47, v33, v47 op_sel_hi:[0,1]
	v_pk_mul_f16 v24, v33, v24 op_sel_hi:[0,1]
	;; [unrolled: 1-line block ×8, first 2 shown]
	v_fma_f32 v33, v14, s6, -v25
	v_rndne_f32_e32 v34, v25
	v_fmac_f32_e32 v33, 0x32a5705f, v14
	v_sub_f32_e32 v25, v25, v34
	v_add_f32_e32 v25, v25, v33
	v_exp_f32_e32 v25, v25
	v_cvt_i32_f32_e32 v33, v34
	v_pk_add_f32 v[12:13], v[12:13], v[16:17] neg_lo:[0,1] neg_hi:[0,1]
	v_cndmask_b32_e32 v21, 0, v21, vcc
	v_cmp_nlt_f32_e32 vcc, s1, v15
	v_cndmask_b32_e32 v15, v20, v21, vcc
	v_ldexp_f32 v21, v25, v33
	v_mul_f32_e32 v25, 0x3fb8aa3b, v13
	v_fma_f32 v33, v13, s6, -v25
	v_rndne_f32_e32 v34, v25
	v_fmac_f32_e32 v33, 0x32a5705f, v13
	v_sub_f32_e32 v25, v25, v34
	v_add_f32_e32 v25, v25, v33
	v_exp_f32_e32 v25, v25
	v_cvt_i32_f32_e32 v33, v34
	v_cmp_ngt_f32_e32 vcc, s0, v14
	v_cndmask_b32_e32 v21, 0, v21, vcc
	v_cmp_nlt_f32_e32 vcc, s1, v14
	v_cndmask_b32_e32 v14, v20, v21, vcc
	v_ldexp_f32 v21, v25, v33
	v_mul_f32_e32 v25, 0x3fb8aa3b, v12
	v_fma_f32 v33, v12, s6, -v25
	v_rndne_f32_e32 v34, v25
	v_fmac_f32_e32 v33, 0x32a5705f, v12
	v_sub_f32_e32 v25, v25, v34
	v_add_f32_e32 v25, v25, v33
	v_exp_f32_e32 v25, v25
	v_cvt_i32_f32_e32 v33, v34
	v_cmp_ngt_f32_e32 vcc, s0, v13
	v_cndmask_b32_e32 v21, 0, v21, vcc
	v_cmp_nlt_f32_e32 vcc, s1, v13
	v_cndmask_b32_e32 v13, v20, v21, vcc
	v_ldexp_f32 v21, v25, v33
	v_cmp_ngt_f32_e32 vcc, s0, v12
	v_cndmask_b32_e32 v21, 0, v21, vcc
	v_cmp_nlt_f32_e32 vcc, s1, v12
	v_cndmask_b32_e32 v12, v20, v21, vcc
	v_pk_fma_f32 v[6:7], v[6:7], v[2:3], v[14:15]
	v_pk_fma_f32 v[8:9], v[8:9], v[0:1], v[12:13]
	v_pk_mov_b32 v[0:1], v[16:17], v[16:17] op_sel:[0,1]
	v_pk_mov_b32 v[2:3], v[18:19], v[18:19] op_sel:[0,1]
.LBB58_29:
	v_cmp_gt_i32_e32 vcc, s2, v5
	s_and_saveexec_b64 s[0:1], vcc
	s_cbranch_execz .LBB58_46
; %bb.30:
	s_load_dword s6, s[4:5], 0xd4
	v_mov_b32_e32 v12, 1.0
	s_waitcnt lgkmcnt(0)
	s_cmp_lg_u32 s6, 1
	s_cselect_b64 s[0:1], -1, 0
	s_cmp_eq_u32 s6, 1
	s_cselect_b64 s[4:5], -1, 0
	s_and_b64 vcc, exec, s[0:1]
	s_cbranch_vccnz .LBB58_32
; %bb.31:
	v_div_scale_f32 v12, s[8:9], v8, v8, 1.0
	v_rcp_f32_e32 v13, v12
	v_div_scale_f32 v14, vcc, 1.0, v8, 1.0
	v_fma_f32 v15, -v12, v13, 1.0
	v_fmac_f32_e32 v13, v15, v13
	v_mul_f32_e32 v15, v14, v13
	v_fma_f32 v16, -v12, v15, v14
	v_fmac_f32_e32 v15, v16, v13
	v_fma_f32 v12, -v12, v15, v14
	v_div_fmas_f32 v12, v12, v13, v15
	v_div_fixup_f32 v12, v12, v8, 1.0
.LBB58_32:
	s_mul_i32 s33, s33, s2
	v_add_u32_e32 v5, s33, v5
	v_mul_lo_u32 v5, v5, s3
	v_add3_u32 v5, s29, v23, v5
	v_cmp_eq_u32_e32 vcc, 0, v4
	v_mul_lo_u32 v4, s6, v5
	v_add_u32_e32 v4, s7, v4
	v_cvt_f32_f16_sdwa v17, v51 dst_sel:DWORD dst_unused:UNUSED_PAD src0_sel:WORD_1
	v_cvt_f32_f16_e32 v16, v51
	v_cvt_f32_f16_sdwa v21, v32 dst_sel:DWORD dst_unused:UNUSED_PAD src0_sel:WORD_1
	v_cvt_f32_f16_e32 v20, v32
	v_lshl_add_u32 v18, v4, 8, v11
	v_mov_b32_e32 v19, 0
	v_lshlrev_b64 v[14:15], 2, v[18:19]
	s_and_b64 s[2:3], vcc, s[0:1]
	v_mov_b32_e32 v5, s21
	v_add_co_u32_e32 v32, vcc, s20, v14
	v_addc_co_u32_e32 v33, vcc, v5, v15, vcc
	v_pk_mul_f32 v[14:15], v[12:13], v[16:17] op_sel_hi:[0,1]
	v_pk_mul_f32 v[16:17], v[12:13], v[20:21] op_sel_hi:[0,1]
	v_add_u32_e32 v18, 0x80, v18
	global_store_dwordx4 v[32:33], v[14:17], off
	s_nop 0
	v_lshlrev_b64 v[14:15], 2, v[18:19]
	v_cvt_f32_f16_sdwa v17, v52 dst_sel:DWORD dst_unused:UNUSED_PAD src0_sel:WORD_1
	v_cvt_f32_f16_e32 v16, v52
	v_cvt_f32_f16_sdwa v19, v30 dst_sel:DWORD dst_unused:UNUSED_PAD src0_sel:WORD_1
	v_cvt_f32_f16_e32 v18, v30
	v_add_co_u32_e32 v20, vcc, s20, v14
	v_addc_co_u32_e32 v21, vcc, v5, v15, vcc
	v_pk_mul_f32 v[14:15], v[12:13], v[16:17] op_sel_hi:[0,1]
	v_pk_mul_f32 v[16:17], v[12:13], v[18:19] op_sel_hi:[0,1]
	global_store_dwordx4 v[20:21], v[14:17], off
	s_and_saveexec_b64 s[0:1], s[2:3]
	s_cbranch_execz .LBB58_34
; %bb.33:
	v_ashrrev_i32_e32 v5, 31, v4
	v_lshlrev_b64 v[12:13], 3, v[4:5]
	v_mov_b32_e32 v5, s23
	v_add_co_u32_e32 v12, vcc, s22, v12
	v_addc_co_u32_e32 v13, vcc, v5, v13, vcc
	v_mov_b32_e32 v14, v0
	v_mov_b32_e32 v15, v8
	global_store_dwordx2 v[12:13], v[14:15], off
.LBB58_34:
	s_or_b64 exec, exec, s[0:1]
	v_cndmask_b32_e64 v0, 0, 1, s[4:5]
	v_cmp_ne_u32_e64 s[0:1], 1, v0
	s_andn2_b64 vcc, exec, s[4:5]
	v_mov_b32_e32 v0, 1.0
	s_cbranch_vccnz .LBB58_36
; %bb.35:
	v_div_scale_f32 v0, s[4:5], v9, v9, 1.0
	v_rcp_f32_e32 v5, v0
	v_div_scale_f32 v8, vcc, 1.0, v9, 1.0
	v_fma_f32 v12, -v0, v5, 1.0
	v_fmac_f32_e32 v5, v12, v5
	v_mul_f32_e32 v12, v8, v5
	v_fma_f32 v13, -v0, v12, v8
	v_fmac_f32_e32 v12, v13, v5
	v_fma_f32 v0, -v0, v12, v8
	v_div_fmas_f32 v0, v0, v5, v12
	v_div_fixup_f32 v0, v0, v9, 1.0
.LBB58_36:
	v_add_u32_e32 v4, s6, v4
	v_cvt_f32_f16_sdwa v15, v49 dst_sel:DWORD dst_unused:UNUSED_PAD src0_sel:WORD_1
	v_cvt_f32_f16_e32 v14, v49
	v_cvt_f32_f16_sdwa v19, v28 dst_sel:DWORD dst_unused:UNUSED_PAD src0_sel:WORD_1
	v_cvt_f32_f16_e32 v18, v28
	v_lshl_add_u32 v16, v4, 8, v11
	v_mov_b32_e32 v17, 0
	v_lshlrev_b64 v[12:13], 2, v[16:17]
	v_mov_b32_e32 v5, s21
	v_add_co_u32_e32 v20, vcc, s20, v12
	v_addc_co_u32_e32 v21, vcc, v5, v13, vcc
	v_pk_mul_f32 v[12:13], v[0:1], v[14:15] op_sel_hi:[0,1]
	v_pk_mul_f32 v[14:15], v[0:1], v[18:19] op_sel_hi:[0,1]
	v_add_u32_e32 v16, 0x80, v16
	global_store_dwordx4 v[20:21], v[12:15], off
	s_nop 0
	v_lshlrev_b64 v[12:13], 2, v[16:17]
	v_cvt_f32_f16_sdwa v15, v50 dst_sel:DWORD dst_unused:UNUSED_PAD src0_sel:WORD_1
	v_cvt_f32_f16_e32 v14, v50
	v_cvt_f32_f16_sdwa v17, v26 dst_sel:DWORD dst_unused:UNUSED_PAD src0_sel:WORD_1
	v_cvt_f32_f16_e32 v16, v26
	v_add_co_u32_e32 v18, vcc, s20, v12
	v_addc_co_u32_e32 v19, vcc, v5, v13, vcc
	v_pk_mul_f32 v[12:13], v[0:1], v[14:15] op_sel_hi:[0,1]
	v_pk_mul_f32 v[14:15], v[0:1], v[16:17] op_sel_hi:[0,1]
	global_store_dwordx4 v[18:19], v[12:15], off
	s_and_saveexec_b64 s[4:5], s[2:3]
	s_cbranch_execz .LBB58_38
; %bb.37:
	v_ashrrev_i32_e32 v5, 31, v4
	v_lshlrev_b64 v[12:13], 3, v[4:5]
	v_mov_b32_e32 v0, s23
	v_add_co_u32_e32 v12, vcc, s22, v12
	v_addc_co_u32_e32 v13, vcc, v0, v13, vcc
	v_mov_b32_e32 v8, v1
	global_store_dwordx2 v[12:13], v[8:9], off
.LBB58_38:
	s_or_b64 exec, exec, s[4:5]
	s_and_b64 vcc, exec, s[0:1]
	v_mov_b32_e32 v8, 1.0
	s_cbranch_vccnz .LBB58_40
; %bb.39:
	v_div_scale_f32 v0, s[4:5], v6, v6, 1.0
	v_rcp_f32_e32 v1, v0
	v_div_scale_f32 v5, vcc, 1.0, v6, 1.0
	v_fma_f32 v8, -v0, v1, 1.0
	v_fmac_f32_e32 v1, v8, v1
	v_mul_f32_e32 v8, v5, v1
	v_fma_f32 v9, -v0, v8, v5
	v_fmac_f32_e32 v8, v9, v1
	v_fma_f32 v0, -v0, v8, v5
	v_div_fmas_f32 v0, v0, v1, v8
	v_div_fixup_f32 v8, v0, v6, 1.0
.LBB58_40:
	v_add_u32_e32 v0, s6, v4
	v_cvt_f32_f16_sdwa v15, v47 dst_sel:DWORD dst_unused:UNUSED_PAD src0_sel:WORD_1
	v_cvt_f32_f16_e32 v14, v47
	v_cvt_f32_f16_sdwa v17, v24 dst_sel:DWORD dst_unused:UNUSED_PAD src0_sel:WORD_1
	v_cvt_f32_f16_e32 v16, v24
	v_lshl_add_u32 v4, v0, 8, v11
	v_mov_b32_e32 v5, 0
	v_lshlrev_b64 v[12:13], 2, v[4:5]
	v_mov_b32_e32 v1, s21
	v_add_co_u32_e32 v18, vcc, s20, v12
	v_addc_co_u32_e32 v19, vcc, v1, v13, vcc
	v_pk_mul_f32 v[12:13], v[8:9], v[14:15] op_sel_hi:[0,1]
	v_pk_mul_f32 v[14:15], v[8:9], v[16:17] op_sel_hi:[0,1]
	global_store_dwordx4 v[18:19], v[12:15], off
	v_add_u32_e32 v4, 0x80, v4
	v_cvt_f32_f16_sdwa v13, v48 dst_sel:DWORD dst_unused:UNUSED_PAD src0_sel:WORD_1
	v_cvt_f32_f16_e32 v12, v48
	v_cvt_f32_f16_sdwa v15, v22 dst_sel:DWORD dst_unused:UNUSED_PAD src0_sel:WORD_1
	v_cvt_f32_f16_e32 v14, v22
	v_lshlrev_b64 v[4:5], 2, v[4:5]
	v_add_co_u32_e32 v4, vcc, s20, v4
	v_addc_co_u32_e32 v5, vcc, v1, v5, vcc
	v_pk_mul_f32 v[12:13], v[8:9], v[12:13] op_sel_hi:[0,1]
	v_pk_mul_f32 v[14:15], v[8:9], v[14:15] op_sel_hi:[0,1]
	global_store_dwordx4 v[4:5], v[12:15], off
	s_and_saveexec_b64 s[4:5], s[2:3]
	s_cbranch_execz .LBB58_42
; %bb.41:
	v_ashrrev_i32_e32 v1, 31, v0
	v_lshlrev_b64 v[4:5], 3, v[0:1]
	v_mov_b32_e32 v1, s23
	v_add_co_u32_e32 v4, vcc, s22, v4
	v_addc_co_u32_e32 v5, vcc, v1, v5, vcc
	v_mov_b32_e32 v8, v2
	v_mov_b32_e32 v9, v6
	global_store_dwordx2 v[4:5], v[8:9], off
.LBB58_42:
	s_or_b64 exec, exec, s[4:5]
	s_and_b64 vcc, exec, s[0:1]
	v_mov_b32_e32 v2, 1.0
	s_cbranch_vccnz .LBB58_44
; %bb.43:
	v_div_scale_f32 v1, s[0:1], v7, v7, 1.0
	v_rcp_f32_e32 v2, v1
	v_div_scale_f32 v4, vcc, 1.0, v7, 1.0
	v_fma_f32 v5, -v1, v2, 1.0
	v_fmac_f32_e32 v2, v5, v2
	v_mul_f32_e32 v5, v4, v2
	v_fma_f32 v6, -v1, v5, v4
	v_fmac_f32_e32 v5, v6, v2
	v_fma_f32 v1, -v1, v5, v4
	v_div_fmas_f32 v1, v1, v2, v5
	v_div_fixup_f32 v2, v1, v7, 1.0
.LBB58_44:
	v_add_u32_e32 v0, s6, v0
	v_lshl_add_u32 v4, v0, 8, v11
	v_cvt_f32_f16_sdwa v13, v31 dst_sel:DWORD dst_unused:UNUSED_PAD src0_sel:WORD_1
	v_cvt_f32_f16_e32 v12, v31
	v_cvt_f32_f16_sdwa v11, v10 dst_sel:DWORD dst_unused:UNUSED_PAD src0_sel:WORD_1
	v_cvt_f32_f16_e32 v10, v10
	v_mov_b32_e32 v5, 0
	v_lshlrev_b64 v[8:9], 2, v[4:5]
	v_mov_b32_e32 v1, s21
	v_add_co_u32_e32 v14, vcc, s20, v8
	v_addc_co_u32_e32 v15, vcc, v1, v9, vcc
	v_pk_mul_f32 v[8:9], v[2:3], v[12:13] op_sel_hi:[0,1]
	v_pk_mul_f32 v[10:11], v[2:3], v[10:11] op_sel_hi:[0,1]
	global_store_dwordx4 v[14:15], v[8:11], off
	v_add_u32_e32 v4, 0x80, v4
	v_cvt_f32_f16_sdwa v9, v29 dst_sel:DWORD dst_unused:UNUSED_PAD src0_sel:WORD_1
	v_cvt_f32_f16_e32 v8, v29
	v_cvt_f32_f16_sdwa v11, v27 dst_sel:DWORD dst_unused:UNUSED_PAD src0_sel:WORD_1
	v_cvt_f32_f16_e32 v10, v27
	v_lshlrev_b64 v[4:5], 2, v[4:5]
	v_add_co_u32_e32 v4, vcc, s20, v4
	v_addc_co_u32_e32 v5, vcc, v1, v5, vcc
	v_pk_mul_f32 v[8:9], v[2:3], v[8:9] op_sel_hi:[0,1]
	v_pk_mul_f32 v[10:11], v[2:3], v[10:11] op_sel_hi:[0,1]
	global_store_dwordx4 v[4:5], v[8:11], off
	s_and_b64 exec, exec, s[2:3]
	s_cbranch_execz .LBB58_46
; %bb.45:
	v_ashrrev_i32_e32 v1, 31, v0
	v_lshlrev_b64 v[0:1], 3, v[0:1]
	v_mov_b32_e32 v2, s23
	v_add_co_u32_e32 v0, vcc, s22, v0
	v_addc_co_u32_e32 v1, vcc, v2, v1, vcc
	v_mov_b32_e32 v6, v3
	global_store_dwordx2 v[0:1], v[6:7], off
.LBB58_46:
	s_endpgm
	.section	.rodata,"a",@progbits
	.p2align	6, 0x0
	.amdhsa_kernel _ZL15flash_attn_tileILi256ELi256ELi4ELi8ELb1EEvPKcS1_S1_S1_S1_PKiPfP15HIP_vector_typeIfLj2EEffffjfiS5_IjLj3EEiiiiiiiiiiiliiliiiiil
		.amdhsa_group_segment_fixed_size 27136
		.amdhsa_private_segment_fixed_size 0
		.amdhsa_kernarg_size 464
		.amdhsa_user_sgpr_count 6
		.amdhsa_user_sgpr_private_segment_buffer 1
		.amdhsa_user_sgpr_dispatch_ptr 0
		.amdhsa_user_sgpr_queue_ptr 0
		.amdhsa_user_sgpr_kernarg_segment_ptr 1
		.amdhsa_user_sgpr_dispatch_id 0
		.amdhsa_user_sgpr_flat_scratch_init 0
		.amdhsa_user_sgpr_kernarg_preload_length 0
		.amdhsa_user_sgpr_kernarg_preload_offset 0
		.amdhsa_user_sgpr_private_segment_size 0
		.amdhsa_uses_dynamic_stack 0
		.amdhsa_system_sgpr_private_segment_wavefront_offset 0
		.amdhsa_system_sgpr_workgroup_id_x 1
		.amdhsa_system_sgpr_workgroup_id_y 1
		.amdhsa_system_sgpr_workgroup_id_z 1
		.amdhsa_system_sgpr_workgroup_info 0
		.amdhsa_system_vgpr_workitem_id 1
		.amdhsa_next_free_vgpr 105
		.amdhsa_next_free_sgpr 39
		.amdhsa_accum_offset 108
		.amdhsa_reserve_vcc 1
		.amdhsa_reserve_flat_scratch 0
		.amdhsa_float_round_mode_32 0
		.amdhsa_float_round_mode_16_64 0
		.amdhsa_float_denorm_mode_32 3
		.amdhsa_float_denorm_mode_16_64 3
		.amdhsa_dx10_clamp 1
		.amdhsa_ieee_mode 1
		.amdhsa_fp16_overflow 0
		.amdhsa_tg_split 0
		.amdhsa_exception_fp_ieee_invalid_op 0
		.amdhsa_exception_fp_denorm_src 0
		.amdhsa_exception_fp_ieee_div_zero 0
		.amdhsa_exception_fp_ieee_overflow 0
		.amdhsa_exception_fp_ieee_underflow 0
		.amdhsa_exception_fp_ieee_inexact 0
		.amdhsa_exception_int_div_zero 0
	.end_amdhsa_kernel
	.section	.text._ZL15flash_attn_tileILi256ELi256ELi4ELi8ELb1EEvPKcS1_S1_S1_S1_PKiPfP15HIP_vector_typeIfLj2EEffffjfiS5_IjLj3EEiiiiiiiiiiiliiliiiiil,"axG",@progbits,_ZL15flash_attn_tileILi256ELi256ELi4ELi8ELb1EEvPKcS1_S1_S1_S1_PKiPfP15HIP_vector_typeIfLj2EEffffjfiS5_IjLj3EEiiiiiiiiiiiliiliiiiil,comdat
.Lfunc_end58:
	.size	_ZL15flash_attn_tileILi256ELi256ELi4ELi8ELb1EEvPKcS1_S1_S1_S1_PKiPfP15HIP_vector_typeIfLj2EEffffjfiS5_IjLj3EEiiiiiiiiiiiliiliiiiil, .Lfunc_end58-_ZL15flash_attn_tileILi256ELi256ELi4ELi8ELb1EEvPKcS1_S1_S1_S1_PKiPfP15HIP_vector_typeIfLj2EEffffjfiS5_IjLj3EEiiiiiiiiiiiliiliiiiil
                                        ; -- End function
	.section	.AMDGPU.csdata,"",@progbits
; Kernel info:
; codeLenInByte = 17928
; NumSgprs: 43
; NumVgprs: 105
; NumAgprs: 0
; TotalNumVgprs: 105
; ScratchSize: 0
; MemoryBound: 0
; FloatMode: 240
; IeeeMode: 1
; LDSByteSize: 27136 bytes/workgroup (compile time only)
; SGPRBlocks: 5
; VGPRBlocks: 13
; NumSGPRsForWavesPerEU: 43
; NumVGPRsForWavesPerEU: 105
; AccumOffset: 108
; Occupancy: 2
; WaveLimiterHint : 1
; COMPUTE_PGM_RSRC2:SCRATCH_EN: 0
; COMPUTE_PGM_RSRC2:USER_SGPR: 6
; COMPUTE_PGM_RSRC2:TRAP_HANDLER: 0
; COMPUTE_PGM_RSRC2:TGID_X_EN: 1
; COMPUTE_PGM_RSRC2:TGID_Y_EN: 1
; COMPUTE_PGM_RSRC2:TGID_Z_EN: 1
; COMPUTE_PGM_RSRC2:TIDIG_COMP_CNT: 1
; COMPUTE_PGM_RSRC3_GFX90A:ACCUM_OFFSET: 26
; COMPUTE_PGM_RSRC3_GFX90A:TG_SPLIT: 0
	.section	.text._ZL15flash_attn_tileILi256ELi256ELi2ELi8ELb1EEvPKcS1_S1_S1_S1_PKiPfP15HIP_vector_typeIfLj2EEffffjfiS5_IjLj3EEiiiiiiiiiiiliiliiiiil,"axG",@progbits,_ZL15flash_attn_tileILi256ELi256ELi2ELi8ELb1EEvPKcS1_S1_S1_S1_PKiPfP15HIP_vector_typeIfLj2EEffffjfiS5_IjLj3EEiiiiiiiiiiiliiliiiiil,comdat
	.globl	_ZL15flash_attn_tileILi256ELi256ELi2ELi8ELb1EEvPKcS1_S1_S1_S1_PKiPfP15HIP_vector_typeIfLj2EEffffjfiS5_IjLj3EEiiiiiiiiiiiliiliiiiil ; -- Begin function _ZL15flash_attn_tileILi256ELi256ELi2ELi8ELb1EEvPKcS1_S1_S1_S1_PKiPfP15HIP_vector_typeIfLj2EEffffjfiS5_IjLj3EEiiiiiiiiiiiliiliiiiil
	.p2align	8
	.type	_ZL15flash_attn_tileILi256ELi256ELi2ELi8ELb1EEvPKcS1_S1_S1_S1_PKiPfP15HIP_vector_typeIfLj2EEffffjfiS5_IjLj3EEiiiiiiiiiiiliiliiiiil,@function
_ZL15flash_attn_tileILi256ELi256ELi2ELi8ELb1EEvPKcS1_S1_S1_S1_PKiPfP15HIP_vector_typeIfLj2EEffffjfiS5_IjLj3EEiiiiiiiiiiiliiliiiiil: ; @_ZL15flash_attn_tileILi256ELi256ELi2ELi8ELb1EEvPKcS1_S1_S1_S1_PKiPfP15HIP_vector_typeIfLj2EEffffjfiS5_IjLj3EEiiiiiiiiiiiliiliiiiil
; %bb.0:
	s_load_dwordx4 s[0:3], s[4:5], 0x5c
	s_load_dwordx2 s[28:29], s[4:5], 0x80
	s_load_dwordx2 s[34:35], s[4:5], 0xb8
	s_mov_b64 s[30:31], 0
	s_waitcnt lgkmcnt(0)
	s_ashr_i32 s9, s3, 31
	s_lshr_b32 s9, s9, 29
	s_add_i32 s9, s3, s9
	s_ashr_i32 s9, s9, 3
	v_cvt_f32_u32_e32 v1, s9
	s_sub_i32 s10, 0, s9
	v_rcp_iflag_f32_e32 v1, v1
	v_mul_f32_e32 v1, 0x4f7ffffe, v1
	v_cvt_u32_f32_e32 v1, v1
	v_readfirstlane_b32 s11, v1
	s_mul_i32 s10, s10, s11
	s_mul_hi_u32 s10, s11, s10
	s_add_i32 s11, s11, s10
	s_mul_hi_u32 s10, s8, s11
	s_mul_i32 s11, s10, s9
	s_sub_i32 s11, s8, s11
	s_add_i32 s12, s10, 1
	s_sub_i32 s13, s11, s9
	s_cmp_ge_u32 s11, s9
	s_cselect_b32 s10, s12, s10
	s_cselect_b32 s11, s13, s11
	s_add_i32 s12, s10, 1
	s_cmp_ge_u32 s11, s9
	s_cselect_b32 s33, s12, s10
	s_abs_i32 s9, s29
	v_cvt_f32_u32_e32 v1, s9
	s_lshl_b32 s8, s8, 3
	s_mul_i32 s12, s33, s3
	s_xor_b32 s10, s3, s29
	v_rcp_iflag_f32_e32 v1, v1
	s_sub_i32 s13, 0, s9
	s_sub_i32 s29, s8, s12
	s_abs_i32 s11, s3
	v_mul_f32_e32 v1, 0x4f7ffffe, v1
	v_cvt_u32_f32_e32 v1, v1
	s_ashr_i32 s10, s10, 31
	v_readfirstlane_b32 s8, v1
	s_mul_i32 s13, s13, s8
	s_mul_hi_u32 s12, s8, s13
	s_add_i32 s8, s8, s12
	s_mul_hi_u32 s8, s11, s8
	s_mul_i32 s12, s8, s9
	s_sub_i32 s11, s11, s12
	s_add_i32 s13, s8, 1
	s_sub_i32 s12, s11, s9
	s_cmp_ge_u32 s11, s9
	s_cselect_b32 s8, s13, s8
	s_cselect_b32 s11, s12, s11
	s_add_i32 s12, s8, 1
	s_cmp_ge_u32 s11, s9
	s_cselect_b32 s8, s12, s8
	s_xor_b32 s8, s8, s10
	s_sub_i32 s37, s8, s10
	s_abs_i32 s36, s37
	v_cvt_f32_u32_e32 v1, s36
	s_load_dwordx16 s[8:23], s[4:5], 0x0
	v_rcp_iflag_f32_e32 v1, v1
	s_waitcnt lgkmcnt(0)
	s_cmp_eq_u64 s[14:15], 0
	v_mul_f32_e32 v1, 0x4f7ffffe, v1
	v_cvt_u32_f32_e32 v1, v1
	v_readfirstlane_b32 s38, v1
	s_cbranch_scc1 .LBB59_2
; %bb.1:
	s_abs_i32 s26, s34
	v_cvt_f32_u32_e32 v1, s26
	s_sub_i32 s31, 0, s26
	s_abs_i32 s30, s33
	s_ashr_i32 s27, s33, 31
	v_rcp_iflag_f32_e32 v1, v1
	s_load_dwordx2 s[24:25], s[4:5], 0xc8
	v_mul_f32_e32 v1, 0x4f7ffffe, v1
	v_cvt_u32_f32_e32 v1, v1
	v_readfirstlane_b32 s34, v1
	s_mul_i32 s31, s31, s34
	s_mul_hi_u32 s31, s34, s31
	s_add_i32 s34, s34, s31
	s_mul_hi_u32 s31, s30, s34
	s_mul_i32 s31, s31, s26
	s_sub_i32 s30, s30, s31
	s_sub_i32 s31, s30, s26
	s_cmp_ge_u32 s30, s26
	s_cselect_b32 s30, s31, s30
	s_sub_i32 s31, s30, s26
	s_cmp_ge_u32 s30, s26
	s_cselect_b32 s26, s31, s30
	s_xor_b32 s26, s26, s27
	s_sub_i32 s26, s26, s27
	s_ashr_i32 s27, s26, 31
	s_waitcnt lgkmcnt(0)
	s_mul_i32 s25, s26, s25
	s_mul_hi_u32 s30, s26, s24
	s_add_i32 s25, s30, s25
	s_mul_i32 s27, s27, s24
	s_add_i32 s25, s25, s27
	s_mul_i32 s26, s26, s24
	s_add_u32 s30, s14, s26
	s_addc_u32 s31, s15, s25
.LBB59_2:
	s_load_dwordx4 s[24:27], s[4:5], 0x70
	v_bfe_u32 v4, v0, 10, 10
	v_lshrrev_b32_e32 v1, 2, v4
	v_lshl_add_u32 v9, s6, 1, v1
	v_mul_hi_u32 v1, s0, v9
	s_waitcnt lgkmcnt(0)
	s_mul_i32 s14, s33, s26
	s_ashr_i32 s26, s14, 31
	s_mul_i32 s15, s29, s25
	s_add_u32 s8, s8, s14
	v_add_u32_e32 v1, v9, v1
	s_addc_u32 s9, s9, s26
	s_ashr_i32 s14, s15, 31
	v_lshrrev_b32_e32 v1, s1, v1
	s_add_u32 s8, s8, s15
	v_mul_lo_u32 v1, v1, s2
	s_addc_u32 s9, s9, s14
	v_sub_u32_e32 v5, v9, v1
	s_ashr_i32 s15, s24, 31
	v_mov_b32_e32 v1, s24
	v_alignbit_b32 v1, s15, v1, 2
	v_mad_u64_u32 v[2:3], s[0:1], v1, v5, 0
	v_mov_b32_e32 v8, v3
	s_lshr_b32 s0, s15, 2
	v_mad_u64_u32 v[10:11], s[0:1], s0, v5, v[8:9]
	v_mov_b32_e32 v3, v10
	v_and_b32_e32 v8, 0x3ff, v0
	v_lshlrev_b64 v[0:1], 2, v[2:3]
	v_mov_b32_e32 v2, s9
	v_add_co_u32_e32 v0, vcc, s8, v0
	v_addc_co_u32_e32 v1, vcc, v2, v1, vcc
	v_lshlrev_b32_e32 v2, 4, v8
	v_lshlrev_b32_e32 v6, 1, v4
	s_ashr_i32 s14, s25, 31
	v_add_co_u32_e32 v7, vcc, v0, v2
	v_mov_b32_e32 v0, s25
	v_and_b32_e32 v25, 6, v6
	v_alignbit_b32 v16, s14, v0, 2
	v_addc_co_u32_e32 v18, vcc, 0, v1, vcc
	v_mad_u64_u32 v[0:1], s[0:1], v16, v25, 0
	v_mov_b32_e32 v2, v1
	s_lshr_b32 s8, s14, 2
	v_mad_u64_u32 v[2:3], s[0:1], s8, v25, v[2:3]
	v_mov_b32_e32 v1, v2
	v_lshlrev_b64 v[0:1], 2, v[0:1]
	v_add_co_u32_e32 v14, vcc, v7, v0
	v_or_b32_e32 v24, 1, v6
	v_addc_co_u32_e32 v15, vcc, v18, v1, vcc
	v_and_b32_e32 v17, 7, v24
	global_load_dwordx4 v[0:3], v[14:15], off
	global_load_dwordx4 v[10:13], v[14:15], off offset:512
	v_mad_u64_u32 v[14:15], s[0:1], v16, v17, 0
	v_mov_b32_e32 v16, v15
	v_mad_u64_u32 v[16:17], s[0:1], s8, v17, v[16:17]
	v_mov_b32_e32 v15, v16
	v_lshlrev_b64 v[14:15], 2, v[14:15]
	v_add_co_u32_e32 v22, vcc, v7, v14
	v_addc_co_u32_e32 v23, vcc, v18, v15, vcc
	global_load_dwordx4 v[14:17], v[22:23], off
	global_load_dwordx4 v[18:21], v[22:23], off offset:512
	s_load_dword s0, s[4:5], 0x40
	s_mov_b32 s1, 0
	v_lshlrev_b32_e32 v23, 7, v24
	v_lshlrev_b32_e32 v7, 1, v8
	;; [unrolled: 1-line block ×3, first 2 shown]
	v_add_lshl_u32 v22, v22, v7, 2
	v_add_u32_e32 v22, 0x2000, v22
	v_add_lshl_u32 v23, v23, v7, 2
	s_cmp_eq_u64 s[18:19], 0
	s_waitcnt vmcnt(3) lgkmcnt(0)
	v_pk_mul_f32 v[0:1], v[0:1], s[0:1] op_sel_hi:[1,0]
	v_pk_mul_f32 v[2:3], v[2:3], s[0:1] op_sel_hi:[1,0]
	s_waitcnt vmcnt(2)
	v_pk_mul_f32 v[10:11], v[10:11], s[0:1] op_sel_hi:[1,0]
	v_pk_mul_f32 v[12:13], v[12:13], s[0:1] op_sel_hi:[1,0]
	v_cvt_f16_f32_e32 v24, v1
	v_cvt_f16_f32_e32 v0, v0
	;; [unrolled: 1-line block ×8, first 2 shown]
	s_waitcnt vmcnt(1)
	v_pk_mul_f32 v[14:15], v[14:15], s[0:1] op_sel_hi:[1,0]
	v_pk_mul_f32 v[16:17], v[16:17], s[0:1] op_sel_hi:[1,0]
	s_waitcnt vmcnt(0)
	v_pk_mul_f32 v[18:19], v[18:19], s[0:1] op_sel_hi:[1,0]
	v_pk_mul_f32 v[20:21], v[20:21], s[0:1] op_sel_hi:[1,0]
	v_pack_b32_f16 v1, v2, v1
	v_pack_b32_f16 v0, v0, v24
	;; [unrolled: 1-line block ×4, first 2 shown]
	v_cvt_f16_f32_e32 v13, v15
	v_cvt_f16_f32_e32 v14, v14
	;; [unrolled: 1-line block ×5, first 2 shown]
	ds_write2_b64 v22, v[0:1], v[2:3] offset0:64 offset1:96
	v_cvt_f16_f32_e32 v2, v21
	v_cvt_f16_f32_e32 v3, v20
	;; [unrolled: 1-line block ×3, first 2 shown]
	v_pack_b32_f16 v1, v16, v15
	v_pack_b32_f16 v0, v14, v13
	;; [unrolled: 1-line block ×4, first 2 shown]
	v_add_u32_e32 v10, 0x2000, v23
	ds_write2_b64 v10, v[0:1], v[2:3] offset0:64 offset1:96
	s_waitcnt lgkmcnt(0)
	s_barrier
	s_cbranch_scc1 .LBB59_4
; %bb.3:
	s_load_dword s0, s[4:5], 0xd0
	s_waitcnt lgkmcnt(0)
	s_mul_i32 s0, s0, s33
	s_add_i32 s0, s0, s6
	s_lshl_b64 s[0:1], s[0:1], 2
	s_add_u32 s0, s18, s0
	s_addc_u32 s1, s19, s1
	s_load_dword s28, s[0:1], 0x0
.LBB59_4:
	s_lshl_b32 s6, s7, 5
	v_lshlrev_b32_e32 v26, 2, v8
	s_waitcnt lgkmcnt(0)
	s_cmp_lt_i32 s6, s28
	v_mbcnt_lo_u32_b32 v20, -1, 0
	s_cbranch_scc1 .LBB59_6
; %bb.5:
	v_mbcnt_hi_u32_b32 v15, -1, v20
	v_and_b32_e32 v0, 0x60, v15
	s_mov_b32 s0, 0xfeffffff
	s_mov_b32 s14, 0
	v_add_u32_e32 v48, 32, v0
	v_xor_b32_e32 v49, 16, v15
	v_xor_b32_e32 v47, 8, v15
	v_xor_b32_e32 v50, 4, v15
	v_xor_b32_e32 v51, 2, v15
	v_xor_b32_e32 v52, 1, v15
	s_mov_b32 s1, s0
	s_mov_b64 s[8:9], 0
	s_branch .LBB59_7
.LBB59_6:
	s_mov_b64 s[8:9], -1
                                        ; implicit-def: $sgpr14
                                        ; implicit-def: $sgpr0_sgpr1
                                        ; implicit-def: $vgpr15
                                        ; implicit-def: $vgpr48
                                        ; implicit-def: $vgpr49
                                        ; implicit-def: $vgpr47
                                        ; implicit-def: $vgpr50
                                        ; implicit-def: $vgpr51
                                        ; implicit-def: $vgpr52
.LBB59_7:
	s_andn2_b64 vcc, exec, s[8:9]
	v_mov_b32_e32 v13, s14
	v_mov_b32_e32 v45, s14
	v_pk_mov_b32 v[10:11], s[0:1], s[0:1] op_sel:[0,1]
	v_mov_b32_e32 v44, s14
	v_mov_b32_e32 v12, s14
	;; [unrolled: 1-line block ×8, first 2 shown]
	s_cbranch_vccnz .LBB59_18
; %bb.8:
	s_sub_i32 s0, 0, s36
	s_mul_i32 s0, s0, s38
	s_mul_hi_u32 s0, s38, s0
	s_add_i32 s38, s38, s0
	s_load_dwordx4 s[24:27], s[4:5], 0x98
	s_load_dword s14, s[4:5], 0x54
	s_load_dwordx2 s[0:1], s[4:5], 0x8c
	s_abs_i32 s19, s29
	s_mul_hi_u32 s34, s19, s38
	s_waitcnt lgkmcnt(0)
	s_ashr_i32 s15, s26, 2
	s_ashr_i32 s26, s35, 1
	;; [unrolled: 1-line block ×4, first 2 shown]
	s_mul_i32 s25, s33, s25
	s_mul_hi_u32 s35, s33, s24
	s_add_i32 s25, s35, s25
	s_mul_i32 s35, s0, s24
	s_ashr_i32 s38, s29, 31
	s_ashr_i32 s37, s37, 31
	s_add_i32 s25, s25, s35
	s_mul_i32 s24, s33, s24
	s_add_u32 s10, s10, s24
	s_addc_u32 s11, s11, s25
	s_mul_i32 s25, s34, s36
	s_sub_i32 s19, s19, s25
	s_xor_b32 s24, s38, s37
	s_add_i32 s25, s34, 1
	s_sub_i32 s35, s19, s36
	s_cmp_ge_u32 s19, s36
	s_cselect_b32 s25, s25, s34
	s_cselect_b32 s19, s35, s19
	s_add_i32 s34, s25, 1
	s_cmp_ge_u32 s19, s36
	s_load_dwordx2 s[8:9], s[4:5], 0xa8
	s_cselect_b32 s19, s34, s25
	s_xor_b32 s19, s19, s24
	s_sub_i32 s19, s19, s24
	s_mul_i32 s1, s19, s1
	s_ashr_i32 s24, s1, 31
	s_add_u32 s10, s10, s1
	s_waitcnt lgkmcnt(0)
	s_mul_i32 s1, s33, s9
	s_mul_hi_u32 s9, s33, s8
	s_addc_u32 s11, s11, s24
	s_add_i32 s1, s9, s1
	s_mul_i32 s0, s0, s8
	s_add_i32 s1, s1, s0
	s_mul_i32 s0, s33, s8
	s_add_u32 s0, s12, s0
	s_mul_i32 s19, s19, s27
	v_lshrrev_b32_e32 v0, 4, v8
	s_addc_u32 s1, s13, s1
	s_ashr_i32 s8, s19, 31
	v_add_u32_e32 v2, v0, v6
	v_and_b32_e32 v0, 60, v26
	s_add_u32 s12, s0, s19
	v_lshlrev_b32_e32 v3, 2, v0
	s_movk_i32 s0, 0x110
	s_addc_u32 s13, s1, s8
	v_mad_u32_u24 v27, v2, s0, v3
	v_mov_b32_e32 v6, 0x2200
	v_mad_u64_u32 v[14:15], s[0:1], v5, s26, v[8:9]
	v_mov_b32_e32 v5, 0x4200
	v_lshlrev_b32_e32 v33, 2, v26
	v_mul_lo_u32 v2, s18, v2
	v_lshl_add_u32 v30, v4, 10, v6
	v_lshl_add_u32 v31, v4, 7, v5
	;; [unrolled: 1-line block ×3, first 2 shown]
	v_mul_lo_u32 v4, s15, v4
	v_lshl_add_u32 v12, s18, 4, v2
	v_lshl_add_u32 v22, s15, 3, v4
	v_mov_b32_e32 v1, 0
	v_ashrrev_i32_e32 v3, 31, v2
	v_ashrrev_i32_e32 v13, 31, v12
	v_ashrrev_i32_e32 v5, 31, v4
	v_ashrrev_i32_e32 v23, 31, v22
	s_add_u32 s0, s4, 0xd0
	v_mov_b32_e32 v10, 0xfeffffff
	v_add_u32_e32 v28, 0x1100, v27
	v_mul_u32_u24_e32 v29, 0x110, v8
	v_lshl_add_u32 v32, v7, 1, v31
	v_add_u32_e32 v35, 0x1000, v34
	v_lshlrev_b32_e32 v36, 2, v7
	s_addc_u32 s1, s5, 0
	v_lshlrev_b64 v[16:17], 2, v[2:3]
	v_lshlrev_b32_e32 v37, 2, v0
	v_lshlrev_b64 v[18:19], 2, v[12:13]
	v_mov_b32_e32 v38, s31
	s_mov_b32 s19, 0x3f200000
	s_mov_b32 s24, 0x3fb8aa3b
	;; [unrolled: 1-line block ×4, first 2 shown]
	v_mov_b32_e32 v39, 0xbd5c1c4e
	v_mov_b32_e32 v40, 0x3e088382
	;; [unrolled: 1-line block ×3, first 2 shown]
	v_mbcnt_hi_u32_b32 v15, -1, v20
	s_brev_b32 s27, -2
	v_lshlrev_b64 v[20:21], 2, v[4:5]
	v_lshlrev_b64 v[22:23], 2, v[22:23]
	v_mov_b32_e32 v42, 0x7f800000
	v_mov_b32_e32 v44, 0
	;; [unrolled: 1-line block ×11, first 2 shown]
	s_branch .LBB59_10
.LBB59_9:                               ;   in Loop: Header=BB59_10 Depth=1
	s_or_b64 exec, exec, s[8:9]
	v_cvt_f32_f16_e32 v5, v5
	v_bfi_b32 v46, s27, v58, v46
	v_max_f32_e32 v58, v11, v11
	s_mul_hi_i32 s9, s6, s15
	v_fmac_f32_e32 v5, s14, v46
	v_add_f32_e32 v46, 0x40051340, v5
	v_max_f32_e32 v46, v58, v46
	ds_bpermute_b32 v57, v57, v46
	s_mul_i32 s8, s6, s15
	s_lshl_b64 s[8:9], s[8:9], 2
	s_add_u32 s8, s12, s8
	s_addc_u32 s9, s13, s9
	s_waitcnt lgkmcnt(0)
	v_max_f32_e32 v57, v57, v57
	v_max_f32_e32 v46, v46, v57
	ds_bpermute_b32 v55, v55, v46
	v_mov_b32_e32 v57, s9
	s_waitcnt lgkmcnt(0)
	s_barrier
	v_max_f32_e32 v55, v55, v55
	v_max_f32_e32 v46, v46, v55
	ds_bpermute_b32 v53, v53, v46
	v_add_co_u32_e32 v55, vcc, s8, v20
	v_addc_co_u32_e32 v57, vcc, v57, v21, vcc
	s_waitcnt lgkmcnt(0)
	v_max_f32_e32 v53, v53, v53
	v_max_f32_e32 v46, v46, v53
	ds_bpermute_b32 v53, v54, v46
	v_add_co_u32_e32 v62, vcc, v55, v33
	v_addc_co_u32_e32 v63, vcc, 0, v57, vcc
	v_mov_b32_e32 v54, s9
	v_add_co_u32_e32 v55, vcc, s8, v22
	s_waitcnt lgkmcnt(0)
	v_max_f32_e32 v53, v53, v53
	v_addc_co_u32_e32 v54, vcc, v54, v23, vcc
	v_max_f32_e32 v46, v46, v53
	v_add_co_u32_e32 v64, vcc, v55, v33
	ds_bpermute_b32 v53, v56, v46
	v_addc_co_u32_e32 v65, vcc, 0, v54, vcc
	global_load_dwordx4 v[54:57], v[62:63], off
	global_load_dwordx4 v[58:61], v[64:65], off
	v_mov_b32_e32 v62, v10
	s_waitcnt lgkmcnt(0)
	v_max_f32_e32 v10, v53, v53
	v_max_f32_e32 v7, v7, v7
	v_max_f32_e32 v6, v6, v6
	v_mov_b32_e32 v63, v11
	v_max_f32_e32 v11, v46, v10
	v_max_f32_e32 v10, v6, v7
	v_pk_add_f32 v[4:5], v[4:5], v[10:11] neg_lo:[0,1] neg_hi:[0,1]
	v_mul_f32_e32 v6, 0x3fb8aa3b, v5
	v_fma_f32 v7, v5, s24, -v6
	v_rndne_f32_e32 v46, v6
	v_fmac_f32_e32 v7, 0x32a5705f, v5
	v_sub_f32_e32 v6, v6, v46
	v_add_f32_e32 v6, v6, v7
	v_exp_f32_e32 v6, v6
	v_cvt_i32_f32_e32 v7, v46
	v_cmp_ngt_f32_e32 vcc, s25, v5
	v_add_u32_e32 v106, 0x800, v36
	s_or_b32 s8, s6, 16
	v_ldexp_f32 v6, v6, v7
	v_mul_f32_e32 v7, 0x3fb8aa3b, v4
	v_fma_f32 v46, v4, s24, -v7
	v_rndne_f32_e32 v53, v7
	v_fmac_f32_e32 v46, 0x32a5705f, v4
	v_sub_f32_e32 v7, v7, v53
	v_add_f32_e32 v7, v7, v46
	v_exp_f32_e32 v7, v7
	v_cvt_i32_f32_e32 v46, v53
	v_cndmask_b32_e32 v6, 0, v6, vcc
	v_cmp_nlt_f32_e32 vcc, s26, v5
	v_cndmask_b32_e32 v5, v42, v6, vcc
	v_ldexp_f32 v6, v7, v46
	v_cmp_ngt_f32_e32 vcc, s25, v4
	v_cndmask_b32_e32 v6, 0, v6, vcc
	v_cmp_nlt_f32_e32 vcc, s26, v4
	v_cndmask_b32_e32 v4, v42, v6, vcc
	v_cvt_f16_f32_e32 v6, v5
	v_cvt_f16_f32_e32 v7, v4
	s_mul_hi_i32 s9, s8, s15
	s_mul_i32 s8, s8, s15
	s_lshl_b64 s[8:9], s[8:9], 2
	v_pack_b32_f16 v46, v7, v6
	v_pk_add_f32 v[6:7], v[62:63], v[10:11] neg_lo:[0,1] neg_hi:[0,1]
	v_mul_f32_e32 v53, 0x3fb8aa3b, v7
	v_fma_f32 v62, v7, s24, -v53
	v_rndne_f32_e32 v63, v53
	v_fmac_f32_e32 v62, 0x32a5705f, v7
	v_sub_f32_e32 v53, v53, v63
	v_add_f32_e32 v53, v53, v62
	v_cvt_i32_f32_e32 v62, v63
	v_mul_f32_e32 v63, 0x3fb8aa3b, v6
	v_fma_f32 v64, v6, s24, -v63
	v_rndne_f32_e32 v65, v63
	v_fmac_f32_e32 v64, 0x32a5705f, v6
	v_sub_f32_e32 v63, v63, v65
	v_exp_f32_e32 v53, v53
	v_add_f32_e32 v63, v63, v64
	v_exp_f32_e32 v63, v63
	v_cvt_i32_f32_e32 v64, v65
	v_ldexp_f32 v53, v53, v62
	v_cmp_ngt_f32_e32 vcc, s25, v7
	v_cndmask_b32_e32 v53, 0, v53, vcc
	v_ldexp_f32 v62, v63, v64
	v_cmp_ngt_f32_e32 vcc, s25, v6
	v_cndmask_b32_e32 v62, 0, v62, vcc
	v_cmp_nlt_f32_e32 vcc, s26, v6
	v_cndmask_b32_e32 v6, v42, v62, vcc
	v_cmp_nlt_f32_e32 vcc, s26, v7
	v_cndmask_b32_e32 v7, v42, v53, vcc
	ds_write_b32 v32, v46
	s_waitcnt vmcnt(1)
	ds_write_b128 v34, v[54:57]
	s_waitcnt vmcnt(0)
	ds_write_b128 v35, v[58:61]
	s_waitcnt lgkmcnt(0)
	s_barrier
	ds_read2_b64 v[54:57], v36 offset1:32
	ds_read_b128 v[58:61], v31
	v_cvt_f16_f32_e32 v53, v7
	v_cvt_f16_f32_e32 v66, v6
	v_pk_fma_f32 v[12:13], v[12:13], v[6:7], v[4:5]
	s_add_u32 s8, s12, s8
	s_waitcnt lgkmcnt(0)
	v_pk_mul_f16 v68, v54, v58 op_sel_hi:[1,0]
	v_pk_mul_f16 v54, v54, v58 op_sel:[0,1]
	v_pk_mul_f16 v67, v53, v0 op_sel_hi:[0,1]
	v_pk_mul_f16 v71, v53, v3 op_sel_hi:[0,1]
	;; [unrolled: 1-line block ×3, first 2 shown]
	v_pk_fma_f16 v43, v53, v43, v54 op_sel_hi:[0,1,1]
	v_pk_mul_f16 v53, v55, v58 op_sel_hi:[1,0]
	v_pk_mul_f16 v45, v66, v45 op_sel_hi:[0,1]
	;; [unrolled: 1-line block ×3, first 2 shown]
	ds_read_b128 v[62:65], v31 offset:16
	ds_read_b128 v[4:7], v31 offset:32
	;; [unrolled: 1-line block ×3, first 2 shown]
	v_pk_fma_f16 v44, v66, v44, v68 op_sel_hi:[0,1,1]
	v_pk_fma_f16 v24, v66, v24, v53 op_sel_hi:[0,1,1]
	v_pk_fma_f16 v53, v55, v58, v67 op_sel:[0,1,0]
	ds_read2_b64 v[66:69], v36 offset0:64 offset1:96
	v_pk_fma_f16 v45, v56, v58, v45 op_sel_hi:[1,0,1]
	v_pk_fma_f16 v71, v56, v58, v71 op_sel:[0,1,0]
	v_pk_fma_f16 v70, v57, v58, v70 op_sel_hi:[1,0,1]
	v_pk_fma_f16 v46, v57, v58, v46 op_sel:[0,1,0]
	ds_read2_b64 v[54:57], v36 offset0:128 offset1:160
	s_waitcnt lgkmcnt(1)
	v_pk_fma_f16 v44, v66, v59, v44 op_sel_hi:[1,0,1]
	v_pk_fma_f16 v43, v66, v59, v43 op_sel:[0,1,0]
	v_pk_fma_f16 v24, v67, v59, v24 op_sel_hi:[1,0,1]
	v_pk_fma_f16 v53, v67, v59, v53 op_sel:[0,1,0]
	v_pk_fma_f16 v45, v68, v59, v45 op_sel_hi:[1,0,1]
	v_pk_fma_f16 v58, v68, v59, v71 op_sel:[0,1,0]
	v_pk_fma_f16 v70, v69, v59, v70 op_sel_hi:[1,0,1]
	v_pk_fma_f16 v46, v69, v59, v46 op_sel:[0,1,0]
	ds_read2_b64 v[66:69], v36 offset0:192 offset1:224
	s_waitcnt lgkmcnt(1)
	v_pk_fma_f16 v44, v54, v60, v44 op_sel_hi:[1,0,1]
	v_pk_fma_f16 v43, v54, v60, v43 op_sel:[0,1,0]
	v_pk_fma_f16 v24, v55, v60, v24 op_sel_hi:[1,0,1]
	v_pk_fma_f16 v53, v55, v60, v53 op_sel:[0,1,0]
	v_pk_fma_f16 v45, v56, v60, v45 op_sel_hi:[1,0,1]
	v_pk_fma_f16 v58, v56, v60, v58 op_sel:[0,1,0]
	v_pk_fma_f16 v59, v57, v60, v70 op_sel_hi:[1,0,1]
	v_pk_fma_f16 v46, v57, v60, v46 op_sel:[0,1,0]
	ds_read2_b64 v[54:57], v106 offset1:32
	s_waitcnt lgkmcnt(1)
	v_pk_fma_f16 v44, v66, v61, v44 op_sel_hi:[1,0,1]
	v_pk_fma_f16 v43, v66, v61, v43 op_sel:[0,1,0]
	v_pk_fma_f16 v24, v67, v61, v24 op_sel_hi:[1,0,1]
	v_pk_fma_f16 v53, v67, v61, v53 op_sel:[0,1,0]
	;; [unrolled: 2-line block ×4, first 2 shown]
	ds_read2_b64 v[58:61], v106 offset0:64 offset1:96
	s_waitcnt lgkmcnt(1)
	v_pk_fma_f16 v44, v54, v62, v44 op_sel_hi:[1,0,1]
	v_pk_fma_f16 v43, v54, v62, v43 op_sel:[0,1,0]
	v_pk_fma_f16 v24, v55, v62, v24 op_sel_hi:[1,0,1]
	v_pk_fma_f16 v53, v55, v62, v53 op_sel:[0,1,0]
	;; [unrolled: 2-line block ×4, first 2 shown]
	ds_read2_b64 v[54:57], v106 offset0:128 offset1:160
	s_waitcnt lgkmcnt(1)
	v_pk_fma_f16 v44, v58, v63, v44 op_sel_hi:[1,0,1]
	s_addc_u32 s9, s13, s9
	v_pk_fma_f16 v107, v60, v63, v45 op_sel_hi:[1,0,1]
	v_add_co_u32_e32 v45, vcc, s8, v20
	s_waitcnt lgkmcnt(0)
	v_pk_fma_f16 v110, v54, v64, v44 op_sel_hi:[1,0,1]
	v_mov_b32_e32 v44, s9
	v_addc_co_u32_e32 v62, vcc, v44, v21, vcc
	v_add_co_u32_e32 v44, vcc, v45, v33
	v_addc_co_u32_e32 v45, vcc, 0, v62, vcc
	v_pk_fma_f16 v43, v58, v63, v43 op_sel:[0,1,0]
	v_pk_fma_f16 v24, v59, v63, v24 op_sel_hi:[1,0,1]
	v_pk_fma_f16 v53, v59, v63, v53 op_sel:[0,1,0]
	v_pk_fma_f16 v108, v60, v63, v66 op_sel:[0,1,0]
	v_pk_fma_f16 v109, v61, v63, v67 op_sel_hi:[1,0,1]
	v_pk_fma_f16 v46, v61, v63, v46 op_sel:[0,1,0]
	v_mov_b32_e32 v62, s9
	v_add_co_u32_e32 v63, vcc, s8, v22
	v_addc_co_u32_e32 v98, vcc, v62, v23, vcc
	v_add_u32_e32 v111, 0x1000, v36
	v_add_u32_e32 v112, 0x1800, v36
	v_add_co_u32_e32 v62, vcc, v63, v33
	ds_read2_b64 v[58:61], v106 offset0:192 offset1:224
	ds_read2_b64 v[66:69], v111 offset1:32
	ds_read2_b64 v[70:73], v111 offset0:64 offset1:96
	ds_read2_b64 v[74:77], v111 offset0:128 offset1:160
	;; [unrolled: 1-line block ×3, first 2 shown]
	ds_read2_b64 v[82:85], v112 offset1:32
	ds_read2_b64 v[86:89], v112 offset0:64 offset1:96
	ds_read2_b64 v[90:93], v112 offset0:128 offset1:160
	;; [unrolled: 1-line block ×3, first 2 shown]
	s_waitcnt lgkmcnt(0)
	s_barrier
	v_addc_co_u32_e32 v63, vcc, 0, v98, vcc
	global_load_dwordx4 v[98:101], v[44:45], off
	global_load_dwordx4 v[102:105], v[62:63], off
	v_pk_fma_f16 v43, v54, v64, v43 op_sel:[0,1,0]
	v_pk_fma_f16 v24, v55, v64, v24 op_sel_hi:[1,0,1]
	v_pk_fma_f16 v44, v55, v64, v53 op_sel:[0,1,0]
	v_pk_fma_f16 v45, v56, v64, v107 op_sel_hi:[1,0,1]
	;; [unrolled: 2-line block ×35, first 2 shown]
	v_pk_fma_f16 v0, v93, v2, v0 op_sel:[0,1,0]
	v_pk_fma_f16 v45, v94, v3, v4 op_sel:[0,1,0]
	v_pk_fma_f16 v46, v95, v3, v5 op_sel_hi:[1,0,1]
	v_pk_fma_f16 v53, v95, v3, v6 op_sel:[0,1,0]
	v_pk_fma_f16 v70, v96, v3, v7 op_sel_hi:[1,0,1]
	s_waitcnt vmcnt(1)
	ds_write_b128 v34, v[98:101]
	s_waitcnt vmcnt(0)
	ds_write_b128 v35, v[102:105]
	s_waitcnt lgkmcnt(0)
	s_barrier
	ds_read2_b64 v[4:7], v36 offset1:32
	ds_read_b128 v[54:57], v31 offset:64
	v_pk_fma_f16 v44, v94, v3, v1 op_sel_hi:[1,0,1]
	v_pk_fma_f16 v24, v96, v3, v24 op_sel:[0,1,0]
	v_pk_fma_f16 v43, v97, v3, v43 op_sel_hi:[1,0,1]
	v_pk_fma_f16 v71, v97, v3, v0 op_sel:[0,1,0]
	ds_read_b128 v[0:3], v31 offset:80
	ds_read_b128 v[58:61], v31 offset:96
	;; [unrolled: 1-line block ×3, first 2 shown]
	ds_read2_b64 v[66:69], v36 offset0:64 offset1:96
	s_waitcnt lgkmcnt(4)
	v_pk_fma_f16 v44, v4, v54, v44 op_sel_hi:[1,0,1]
	v_pk_fma_f16 v4, v4, v54, v45 op_sel:[0,1,0]
	v_pk_fma_f16 v45, v5, v54, v46 op_sel_hi:[1,0,1]
	v_pk_fma_f16 v5, v5, v54, v53 op_sel:[0,1,0]
	;; [unrolled: 2-line block ×4, first 2 shown]
	s_waitcnt lgkmcnt(0)
	v_pk_fma_f16 v44, v66, v55, v44 op_sel_hi:[1,0,1]
	v_pk_fma_f16 v54, v66, v55, v4 op_sel:[0,1,0]
	v_pk_fma_f16 v66, v67, v55, v5 op_sel:[0,1,0]
	ds_read2_b64 v[4:7], v36 offset0:128 offset1:160
	v_pk_fma_f16 v45, v67, v55, v45 op_sel_hi:[1,0,1]
	v_pk_fma_f16 v46, v68, v55, v46 op_sel_hi:[1,0,1]
	v_pk_fma_f16 v24, v68, v55, v24 op_sel:[0,1,0]
	v_pk_fma_f16 v43, v69, v55, v43 op_sel_hi:[1,0,1]
	v_pk_fma_f16 v53, v69, v55, v53 op_sel:[0,1,0]
	s_waitcnt lgkmcnt(0)
	v_pk_fma_f16 v45, v5, v56, v45 op_sel_hi:[1,0,1]
	v_pk_fma_f16 v5, v5, v56, v66 op_sel:[0,1,0]
	ds_read2_b64 v[66:69], v36 offset0:192 offset1:224
	v_pk_fma_f16 v44, v4, v56, v44 op_sel_hi:[1,0,1]
	v_pk_fma_f16 v4, v4, v56, v54 op_sel:[0,1,0]
	v_pk_fma_f16 v46, v6, v56, v46 op_sel_hi:[1,0,1]
	v_pk_fma_f16 v24, v6, v56, v24 op_sel:[0,1,0]
	v_pk_fma_f16 v43, v7, v56, v43 op_sel_hi:[1,0,1]
	v_pk_fma_f16 v53, v7, v56, v53 op_sel:[0,1,0]
	s_waitcnt lgkmcnt(0)
	v_pk_fma_f16 v54, v66, v57, v4 op_sel:[0,1,0]
	v_pk_fma_f16 v55, v67, v57, v5 op_sel:[0,1,0]
	ds_read2_b64 v[4:7], v106 offset1:32
	v_pk_fma_f16 v44, v66, v57, v44 op_sel_hi:[1,0,1]
	v_pk_fma_f16 v45, v67, v57, v45 op_sel_hi:[1,0,1]
	;; [unrolled: 1-line block ×3, first 2 shown]
	v_pk_fma_f16 v24, v68, v57, v24 op_sel:[0,1,0]
	v_pk_fma_f16 v43, v69, v57, v43 op_sel_hi:[1,0,1]
	v_pk_fma_f16 v53, v69, v57, v53 op_sel:[0,1,0]
	s_waitcnt lgkmcnt(0)
	v_pk_fma_f16 v44, v4, v0, v44 op_sel_hi:[1,0,1]
	v_pk_fma_f16 v4, v4, v0, v54 op_sel:[0,1,0]
	v_pk_fma_f16 v45, v5, v0, v45 op_sel_hi:[1,0,1]
	v_pk_fma_f16 v5, v5, v0, v55 op_sel:[0,1,0]
	ds_read2_b64 v[54:57], v106 offset0:64 offset1:96
	v_pk_fma_f16 v46, v6, v0, v46 op_sel_hi:[1,0,1]
	v_pk_fma_f16 v24, v6, v0, v24 op_sel:[0,1,0]
	v_pk_fma_f16 v43, v7, v0, v43 op_sel_hi:[1,0,1]
	v_pk_fma_f16 v0, v7, v0, v53 op_sel:[0,1,0]
	s_waitcnt lgkmcnt(0)
	v_pk_fma_f16 v44, v54, v1, v44 op_sel_hi:[1,0,1]
	v_pk_fma_f16 v53, v54, v1, v4 op_sel:[0,1,0]
	v_pk_fma_f16 v54, v55, v1, v5 op_sel:[0,1,0]
	ds_read2_b64 v[4:7], v106 offset0:128 offset1:160
	v_pk_fma_f16 v45, v55, v1, v45 op_sel_hi:[1,0,1]
	v_pk_fma_f16 v46, v56, v1, v46 op_sel_hi:[1,0,1]
	v_pk_fma_f16 v24, v56, v1, v24 op_sel:[0,1,0]
	v_pk_fma_f16 v43, v57, v1, v43 op_sel_hi:[1,0,1]
	v_pk_fma_f16 v0, v57, v1, v0 op_sel:[0,1,0]
	s_waitcnt lgkmcnt(0)
	v_pk_fma_f16 v1, v4, v2, v44 op_sel_hi:[1,0,1]
	v_pk_fma_f16 v44, v5, v2, v45 op_sel_hi:[1,0,1]
	v_pk_fma_f16 v5, v5, v2, v54 op_sel:[0,1,0]
	ds_read2_b64 v[54:57], v106 offset0:192 offset1:224
	v_pk_fma_f16 v4, v4, v2, v53 op_sel:[0,1,0]
	v_pk_fma_f16 v45, v6, v2, v46 op_sel_hi:[1,0,1]
	v_pk_fma_f16 v24, v6, v2, v24 op_sel:[0,1,0]
	v_pk_fma_f16 v43, v7, v2, v43 op_sel_hi:[1,0,1]
	v_pk_fma_f16 v0, v7, v2, v0 op_sel:[0,1,0]
	s_waitcnt lgkmcnt(0)
	v_pk_fma_f16 v2, v54, v3, v4 op_sel:[0,1,0]
	v_pk_fma_f16 v46, v55, v3, v5 op_sel:[0,1,0]
	ds_read2_b64 v[4:7], v111 offset1:32
	v_pk_fma_f16 v1, v54, v3, v1 op_sel_hi:[1,0,1]
	v_pk_fma_f16 v44, v55, v3, v44 op_sel_hi:[1,0,1]
	;; [unrolled: 1-line block ×3, first 2 shown]
	v_pk_fma_f16 v24, v56, v3, v24 op_sel:[0,1,0]
	v_pk_fma_f16 v43, v57, v3, v43 op_sel_hi:[1,0,1]
	v_pk_fma_f16 v53, v57, v3, v0 op_sel:[0,1,0]
	s_waitcnt lgkmcnt(0)
	v_pk_fma_f16 v54, v4, v58, v1 op_sel_hi:[1,0,1]
	v_pk_fma_f16 v4, v4, v58, v2 op_sel:[0,1,0]
	ds_read2_b64 v[0:3], v111 offset0:64 offset1:96
	v_pk_fma_f16 v44, v5, v58, v44 op_sel_hi:[1,0,1]
	v_pk_fma_f16 v5, v5, v58, v46 op_sel:[0,1,0]
	v_pk_fma_f16 v45, v6, v58, v45 op_sel_hi:[1,0,1]
	v_pk_fma_f16 v24, v6, v58, v24 op_sel:[0,1,0]
	;; [unrolled: 2-line block ×3, first 2 shown]
	s_waitcnt lgkmcnt(0)
	v_pk_fma_f16 v53, v0, v59, v54 op_sel_hi:[1,0,1]
	v_pk_fma_f16 v0, v0, v59, v4 op_sel:[0,1,0]
	v_pk_fma_f16 v44, v1, v59, v44 op_sel_hi:[1,0,1]
	v_pk_fma_f16 v1, v1, v59, v5 op_sel:[0,1,0]
	ds_read2_b64 v[4:7], v111 offset0:128 offset1:160
	v_pk_fma_f16 v45, v2, v59, v45 op_sel_hi:[1,0,1]
	v_pk_fma_f16 v24, v2, v59, v24 op_sel:[0,1,0]
	v_pk_fma_f16 v43, v3, v59, v43 op_sel_hi:[1,0,1]
	v_pk_fma_f16 v46, v3, v59, v46 op_sel:[0,1,0]
	s_waitcnt lgkmcnt(0)
	v_pk_fma_f16 v53, v4, v60, v53 op_sel_hi:[1,0,1]
	v_pk_fma_f16 v4, v4, v60, v0 op_sel:[0,1,0]
	v_pk_fma_f16 v44, v5, v60, v44 op_sel_hi:[1,0,1]
	v_pk_fma_f16 v5, v5, v60, v1 op_sel:[0,1,0]
	ds_read2_b64 v[0:3], v111 offset0:192 offset1:224
	v_pk_fma_f16 v45, v6, v60, v45 op_sel_hi:[1,0,1]
	v_pk_fma_f16 v24, v6, v60, v24 op_sel:[0,1,0]
	v_pk_fma_f16 v43, v7, v60, v43 op_sel_hi:[1,0,1]
	v_pk_fma_f16 v46, v7, v60, v46 op_sel:[0,1,0]
	s_waitcnt lgkmcnt(0)
	v_pk_fma_f16 v53, v0, v61, v53 op_sel_hi:[1,0,1]
	v_pk_fma_f16 v0, v0, v61, v4 op_sel:[0,1,0]
	v_pk_fma_f16 v44, v1, v61, v44 op_sel_hi:[1,0,1]
	v_pk_fma_f16 v1, v1, v61, v5 op_sel:[0,1,0]
	ds_read2_b64 v[4:7], v112 offset1:32
	v_pk_fma_f16 v45, v2, v61, v45 op_sel_hi:[1,0,1]
	v_pk_fma_f16 v24, v2, v61, v24 op_sel:[0,1,0]
	v_pk_fma_f16 v43, v3, v61, v43 op_sel_hi:[1,0,1]
	v_pk_fma_f16 v46, v3, v61, v46 op_sel:[0,1,0]
	s_waitcnt lgkmcnt(0)
	v_pk_fma_f16 v53, v4, v62, v53 op_sel_hi:[1,0,1]
	v_pk_fma_f16 v4, v4, v62, v0 op_sel:[0,1,0]
	v_pk_fma_f16 v44, v5, v62, v44 op_sel_hi:[1,0,1]
	v_pk_fma_f16 v5, v5, v62, v1 op_sel:[0,1,0]
	ds_read2_b64 v[0:3], v112 offset0:64 offset1:96
	v_pk_fma_f16 v45, v6, v62, v45 op_sel_hi:[1,0,1]
	v_pk_fma_f16 v24, v6, v62, v24 op_sel:[0,1,0]
	v_pk_fma_f16 v43, v7, v62, v43 op_sel_hi:[1,0,1]
	v_pk_fma_f16 v46, v7, v62, v46 op_sel:[0,1,0]
	s_waitcnt lgkmcnt(0)
	v_pk_fma_f16 v53, v0, v63, v53 op_sel_hi:[1,0,1]
	v_pk_fma_f16 v0, v0, v63, v4 op_sel:[0,1,0]
	v_pk_fma_f16 v44, v1, v63, v44 op_sel_hi:[1,0,1]
	v_pk_fma_f16 v1, v1, v63, v5 op_sel:[0,1,0]
	ds_read2_b64 v[4:7], v112 offset0:128 offset1:160
	;; [unrolled: 10-line block ×3, first 2 shown]
	s_waitcnt lgkmcnt(0)
	s_barrier
	s_load_dword s8, s[0:1], 0x4
	v_pk_fma_f16 v45, v6, v64, v45 op_sel_hi:[1,0,1]
	v_pk_fma_f16 v6, v6, v64, v24 op_sel:[0,1,0]
	v_pk_fma_f16 v55, v7, v64, v43 op_sel_hi:[1,0,1]
	v_pk_fma_f16 v7, v7, v64, v46 op_sel:[0,1,0]
	s_waitcnt lgkmcnt(0)
	s_lshl_b32 s8, s8, 5
	s_add_i32 s6, s8, s6
	v_pk_fma_f16 v44, v2, v65, v53 op_sel_hi:[1,0,1]
	v_pk_fma_f16 v43, v2, v65, v0 op_sel:[0,1,0]
	v_pk_fma_f16 v24, v3, v65, v54 op_sel_hi:[1,0,1]
	v_pk_fma_f16 v0, v3, v65, v1 op_sel:[0,1,0]
	;; [unrolled: 2-line block ×3, first 2 shown]
	v_pk_fma_f16 v2, v5, v65, v55 op_sel_hi:[1,0,1]
	s_cmp_ge_i32 s6, s28
	v_pk_fma_f16 v1, v5, v65, v7 op_sel:[0,1,0]
	s_cbranch_scc1 .LBB59_18
.LBB59_10:                              ; =>This Inner Loop Header: Depth=1
	s_mul_hi_i32 s9, s6, s18
	s_mul_i32 s8, s6, s18
	s_lshl_b64 s[8:9], s[8:9], 2
	s_add_u32 s8, s10, s8
	s_addc_u32 s9, s11, s9
	v_mov_b32_e32 v4, s9
	v_add_co_u32_e32 v5, vcc, s8, v16
	v_addc_co_u32_e32 v6, vcc, v4, v17, vcc
	v_add_co_u32_e32 v4, vcc, v5, v37
	v_addc_co_u32_e32 v5, vcc, 0, v6, vcc
	v_mov_b32_e32 v6, s9
	v_add_co_u32_e32 v7, vcc, s8, v18
	v_addc_co_u32_e32 v46, vcc, v6, v19, vcc
	v_add_co_u32_e32 v6, vcc, v7, v37
	v_addc_co_u32_e32 v7, vcc, 0, v46, vcc
	global_load_dwordx4 v[46:49], v[4:5], off
	global_load_dwordx4 v[50:53], v[6:7], off
	s_waitcnt vmcnt(1)
	ds_write_b128 v27, v[46:49]
	s_waitcnt vmcnt(0)
	ds_write_b128 v28, v[50:53]
	s_waitcnt lgkmcnt(0)
	s_barrier
	ds_read_b128 v[48:51], v29
	ds_read_b128 v[52:55], v30
	v_mov_b32_e32 v47, 0
	ds_read_b128 v[56:59], v30 offset:512
	s_waitcnt lgkmcnt(1)
	;;#ASMSTART
	v_dot2_f32_f16 v47, v48, v52, v47
	;;#ASMEND
	;;#ASMSTART
	v_dot2_f32_f16 v47, v49, v53, v47
	;;#ASMEND
	v_mov_b32_e32 v46, 0
	;;#ASMSTART
	v_dot2_f32_f16 v47, v50, v54, v47
	;;#ASMEND
	;;#ASMSTART
	v_dot2_f32_f16 v47, v51, v55, v47
	;;#ASMEND
	s_waitcnt lgkmcnt(0)
	;;#ASMSTART
	v_dot2_f32_f16 v46, v48, v56, v46
	;;#ASMEND
	;;#ASMSTART
	v_dot2_f32_f16 v46, v49, v57, v46
	;;#ASMEND
	;;#ASMSTART
	v_dot2_f32_f16 v46, v50, v58, v46
	;;#ASMEND
	;;#ASMSTART
	v_dot2_f32_f16 v46, v51, v59, v46
	;;#ASMEND
	ds_read_b128 v[48:51], v29 offset:16
	ds_read_b128 v[52:55], v30 offset:16
	ds_read_b128 v[56:59], v30 offset:528
	s_waitcnt lgkmcnt(1)
	;;#ASMSTART
	v_dot2_f32_f16 v47, v48, v52, v47
	;;#ASMEND
	;;#ASMSTART
	v_dot2_f32_f16 v47, v49, v53, v47
	;;#ASMEND
	;;#ASMSTART
	v_dot2_f32_f16 v47, v50, v54, v47
	;;#ASMEND
	;;#ASMSTART
	v_dot2_f32_f16 v47, v51, v55, v47
	;;#ASMEND
	s_waitcnt lgkmcnt(0)
	;;#ASMSTART
	v_dot2_f32_f16 v46, v48, v56, v46
	;;#ASMEND
	;;#ASMSTART
	v_dot2_f32_f16 v46, v49, v57, v46
	;;#ASMEND
	;;#ASMSTART
	v_dot2_f32_f16 v46, v50, v58, v46
	;;#ASMEND
	;;#ASMSTART
	v_dot2_f32_f16 v46, v51, v59, v46
	;;#ASMEND
	ds_read_b128 v[48:51], v29 offset:32
	ds_read_b128 v[52:55], v30 offset:32
	ds_read_b128 v[56:59], v30 offset:544
	s_waitcnt lgkmcnt(1)
	;;#ASMSTART
	v_dot2_f32_f16 v47, v48, v52, v47
	;;#ASMEND
	;;#ASMSTART
	v_dot2_f32_f16 v47, v49, v53, v47
	;;#ASMEND
	;; [unrolled: 29-line block ×15, first 2 shown]
	;;#ASMSTART
	v_dot2_f32_f16 v47, v50, v54, v47
	;;#ASMEND
	;;#ASMSTART
	v_dot2_f32_f16 v47, v51, v55, v47
	;;#ASMEND
	s_waitcnt lgkmcnt(0)
	;;#ASMSTART
	v_dot2_f32_f16 v46, v48, v56, v46
	;;#ASMEND
	;;#ASMSTART
	v_dot2_f32_f16 v46, v49, v57, v46
	;;#ASMEND
	;;#ASMSTART
	v_dot2_f32_f16 v46, v50, v58, v46
	;;#ASMEND
	;;#ASMSTART
	v_dot2_f32_f16 v46, v51, v59, v46
	;;#ASMEND
	s_barrier
	global_load_dwordx4 v[48:51], v[4:5], off offset:256
	global_load_dwordx4 v[52:55], v[6:7], off offset:256
	s_waitcnt vmcnt(1)
	ds_write_b128 v27, v[48:51]
	s_waitcnt vmcnt(0)
	ds_write_b128 v28, v[52:55]
	s_waitcnt lgkmcnt(0)
	s_barrier
	ds_read_b128 v[4:7], v29
	ds_read_b128 v[48:51], v30 offset:256
	ds_read_b128 v[52:55], v30 offset:768
	s_waitcnt lgkmcnt(1)
	;;#ASMSTART
	v_dot2_f32_f16 v47, v4, v48, v47
	;;#ASMEND
	;;#ASMSTART
	v_dot2_f32_f16 v47, v5, v49, v47
	;;#ASMEND
	;;#ASMSTART
	v_dot2_f32_f16 v47, v6, v50, v47
	;;#ASMEND
	;;#ASMSTART
	v_dot2_f32_f16 v47, v7, v51, v47
	;;#ASMEND
	s_waitcnt lgkmcnt(0)
	;;#ASMSTART
	v_dot2_f32_f16 v46, v4, v52, v46
	;;#ASMEND
	;;#ASMSTART
	v_dot2_f32_f16 v46, v5, v53, v46
	;;#ASMEND
	;;#ASMSTART
	v_dot2_f32_f16 v46, v6, v54, v46
	;;#ASMEND
	;;#ASMSTART
	v_dot2_f32_f16 v46, v7, v55, v46
	;;#ASMEND
	ds_read_b128 v[4:7], v29 offset:16
	ds_read_b128 v[48:51], v30 offset:272
	ds_read_b128 v[52:55], v30 offset:784
	s_waitcnt lgkmcnt(1)
	;;#ASMSTART
	v_dot2_f32_f16 v47, v4, v48, v47
	;;#ASMEND
	;;#ASMSTART
	v_dot2_f32_f16 v47, v5, v49, v47
	;;#ASMEND
	;;#ASMSTART
	v_dot2_f32_f16 v47, v6, v50, v47
	;;#ASMEND
	;;#ASMSTART
	v_dot2_f32_f16 v47, v7, v51, v47
	;;#ASMEND
	s_waitcnt lgkmcnt(0)
	;;#ASMSTART
	v_dot2_f32_f16 v46, v4, v52, v46
	;;#ASMEND
	;;#ASMSTART
	v_dot2_f32_f16 v46, v5, v53, v46
	;;#ASMEND
	;;#ASMSTART
	v_dot2_f32_f16 v46, v6, v54, v46
	;;#ASMEND
	;;#ASMSTART
	v_dot2_f32_f16 v46, v7, v55, v46
	;;#ASMEND
	ds_read_b128 v[4:7], v29 offset:32
	;; [unrolled: 29-line block ×14, first 2 shown]
	ds_read_b128 v[48:51], v30 offset:480
	v_add_u32_e32 v52, s6, v14
	v_ashrrev_i32_e32 v53, 31, v52
	v_lshlrev_b64 v[56:57], 1, v[52:53]
	ds_read_b128 v[52:55], v30 offset:992
	s_waitcnt lgkmcnt(1)
	;;#ASMSTART
	v_dot2_f32_f16 v47, v4, v48, v47
	;;#ASMEND
	;;#ASMSTART
	v_dot2_f32_f16 v47, v5, v49, v47
	;;#ASMEND
	;; [unrolled: 3-line block ×4, first 2 shown]
	s_waitcnt lgkmcnt(0)
	;;#ASMSTART
	v_dot2_f32_f16 v46, v4, v52, v46
	;;#ASMEND
	;;#ASMSTART
	v_dot2_f32_f16 v46, v5, v53, v46
	;;#ASMEND
	;; [unrolled: 3-line block ×4, first 2 shown]
	ds_read_b128 v[4:7], v29 offset:240
	ds_read_b128 v[48:51], v30 offset:496
	;; [unrolled: 1-line block ×3, first 2 shown]
	s_waitcnt lgkmcnt(1)
	;;#ASMSTART
	v_dot2_f32_f16 v47, v4, v48, v47
	;;#ASMEND
	;;#ASMSTART
	v_dot2_f32_f16 v47, v5, v49, v47
	;;#ASMEND
	;; [unrolled: 3-line block ×4, first 2 shown]
	s_waitcnt lgkmcnt(0)
	;;#ASMSTART
	v_dot2_f32_f16 v46, v4, v52, v46
	;;#ASMEND
	v_add_co_u32_e32 v56, vcc, s30, v56
	;;#ASMSTART
	v_dot2_f32_f16 v46, v5, v53, v46
	;;#ASMEND
	v_addc_co_u32_e32 v57, vcc, v38, v57, vcc
	;;#ASMSTART
	v_dot2_f32_f16 v46, v6, v54, v46
	;;#ASMEND
	;;#ASMSTART
	v_dot2_f32_f16 v46, v7, v55, v46
	;;#ASMEND
	flat_load_ushort v5, v[56:57]
	v_cmp_nlt_f32_e64 s[8:9], |v47|, s19
                                        ; implicit-def: $vgpr4
	s_and_saveexec_b64 s[34:35], s[8:9]
	s_xor_b64 s[8:9], exec, s[34:35]
	s_cbranch_execz .LBB59_12
; %bb.11:                               ;   in Loop: Header=BB59_10 Depth=1
	v_add_f32_e64 v4, |v47|, |v47|
	v_mul_f32_e32 v6, 0x3fb8aa3b, v4
	v_rndne_f32_e32 v7, v6
	v_sub_f32_e32 v48, v6, v7
	v_fma_f32 v6, v4, s24, -v6
	v_fmac_f32_e32 v6, 0x32a5705f, v4
	v_add_f32_e32 v6, v48, v6
	v_cvt_i32_f32_e32 v7, v7
	v_exp_f32_e32 v6, v6
	v_cmp_ngt_f32_e32 vcc, s25, v4
	v_ldexp_f32 v6, v6, v7
	v_cndmask_b32_e32 v6, 0, v6, vcc
	v_cmp_nlt_f32_e32 vcc, s26, v4
	v_cndmask_b32_e32 v4, v42, v6, vcc
	v_add_f32_e32 v4, 1.0, v4
	v_rcp_f32_e32 v4, v4
	v_fma_f32 v4, v4, -2.0, 1.0
.LBB59_12:                              ;   in Loop: Header=BB59_10 Depth=1
	s_andn2_saveexec_b64 s[8:9], s[8:9]
; %bb.13:                               ;   in Loop: Header=BB59_10 Depth=1
	v_mul_f32_e32 v4, v47, v47
	v_mov_b32_e32 v6, 0x3ca908c9
	v_fmac_f32_e32 v6, 0xbbbac73d, v4
	v_fma_f32 v6, v4, v6, v39
	v_fma_f32 v6, v4, v6, v40
	;; [unrolled: 1-line block ×3, first 2 shown]
	v_mul_f32_e64 v6, |v47|, v6
	v_fma_f32 v4, v4, v6, |v47|
; %bb.14:                               ;   in Loop: Header=BB59_10 Depth=1
	s_or_b64 exec, exec, s[8:9]
	v_and_b32_e32 v6, 0x60, v15
	v_add_u32_e32 v48, 32, v6
	v_xor_b32_e32 v49, 16, v15
	v_cmp_lt_i32_e32 vcc, v49, v48
	v_bfi_b32 v4, s27, v4, v47
	v_cndmask_b32_e32 v6, v15, v49, vcc
	s_waitcnt vmcnt(0) lgkmcnt(0)
	v_fma_mix_f32 v4, v4, s14, v5 op_sel_hi:[0,0,1]
	v_lshlrev_b32_e32 v57, 2, v6
	v_add_f32_e32 v6, 0x40051340, v4
	v_max_f32_e32 v7, v10, v10
	v_max_f32_e32 v6, v7, v6
	ds_bpermute_b32 v7, v57, v6
	v_xor_b32_e32 v47, 8, v15
	v_cmp_lt_i32_e32 vcc, v47, v48
	v_cndmask_b32_e32 v50, v15, v47, vcc
	v_lshlrev_b32_e32 v55, 2, v50
	s_waitcnt lgkmcnt(0)
	v_max_f32_e32 v7, v7, v7
	v_max_f32_e32 v6, v6, v7
	ds_bpermute_b32 v7, v55, v6
	v_xor_b32_e32 v50, 4, v15
	v_cmp_lt_i32_e32 vcc, v50, v48
	v_cndmask_b32_e32 v51, v15, v50, vcc
	v_lshlrev_b32_e32 v53, 2, v51
	s_waitcnt lgkmcnt(0)
	;; [unrolled: 8-line block ×4, first 2 shown]
	v_max_f32_e32 v7, v7, v7
	v_max_f32_e32 v6, v6, v7
	ds_bpermute_b32 v7, v56, v6
	v_cmp_nlt_f32_e64 s[8:9], |v46|, s19
                                        ; implicit-def: $vgpr58
	s_and_saveexec_b64 s[34:35], s[8:9]
	s_xor_b64 s[8:9], exec, s[34:35]
	s_cbranch_execz .LBB59_16
; %bb.15:                               ;   in Loop: Header=BB59_10 Depth=1
	v_add_f32_e64 v58, |v46|, |v46|
	v_mul_f32_e32 v59, 0x3fb8aa3b, v58
	v_rndne_f32_e32 v60, v59
	v_sub_f32_e32 v61, v59, v60
	v_fma_f32 v59, v58, s24, -v59
	v_fmac_f32_e32 v59, 0x32a5705f, v58
	v_add_f32_e32 v59, v61, v59
	v_cvt_i32_f32_e32 v60, v60
	v_exp_f32_e32 v59, v59
	v_cmp_ngt_f32_e32 vcc, s25, v58
	v_ldexp_f32 v59, v59, v60
	v_cndmask_b32_e32 v59, 0, v59, vcc
	v_cmp_nlt_f32_e32 vcc, s26, v58
	v_cndmask_b32_e32 v58, v42, v59, vcc
	v_add_f32_e32 v58, 1.0, v58
	v_rcp_f32_e32 v58, v58
	v_fma_f32 v58, v58, -2.0, 1.0
.LBB59_16:                              ;   in Loop: Header=BB59_10 Depth=1
	s_andn2_saveexec_b64 s[8:9], s[8:9]
	s_cbranch_execz .LBB59_9
; %bb.17:                               ;   in Loop: Header=BB59_10 Depth=1
	v_mul_f32_e32 v58, v46, v46
	v_mov_b32_e32 v59, 0x3ca908c9
	v_fmac_f32_e32 v59, 0xbbbac73d, v58
	v_fma_f32 v59, v58, v59, v39
	v_fma_f32 v59, v58, v59, v40
	;; [unrolled: 1-line block ×3, first 2 shown]
	v_mul_f32_e64 v59, |v46|, v59
	v_fma_f32 v58, v58, v59, |v46|
	s_branch .LBB59_9
.LBB59_18:
	v_cmp_lt_i32_e32 vcc, v49, v48
	v_cndmask_b32_e32 v4, v15, v49, vcc
	v_lshlrev_b32_e32 v5, 2, v4
	ds_bpermute_b32 v4, v5, v12
	ds_bpermute_b32 v5, v5, v13
	v_cmp_lt_i32_e32 vcc, v47, v48
	v_cndmask_b32_e32 v6, v15, v47, vcc
	v_lshlrev_b32_e32 v7, 2, v6
	v_cmp_lt_i32_e32 vcc, v50, v48
	s_waitcnt lgkmcnt(0)
	v_pk_add_f32 v[4:5], v[12:13], v[4:5]
	ds_bpermute_b32 v6, v7, v4
	ds_bpermute_b32 v7, v7, v5
	v_cndmask_b32_e32 v12, v15, v50, vcc
	v_lshlrev_b32_e32 v12, 2, v12
	v_cmp_lt_i32_e32 vcc, v51, v48
	s_cmp_lg_u64 s[16:17], 0
	s_waitcnt lgkmcnt(0)
	v_pk_add_f32 v[4:5], v[4:5], v[6:7]
	ds_bpermute_b32 v6, v12, v4
	ds_bpermute_b32 v7, v12, v5
	v_cndmask_b32_e32 v12, v15, v51, vcc
	v_lshlrev_b32_e32 v12, 2, v12
	v_cmp_lt_i32_e32 vcc, v52, v48
	s_cselect_b64 s[0:1], -1, 0
	s_waitcnt lgkmcnt(0)
	v_pk_add_f32 v[4:5], v[4:5], v[6:7]
	ds_bpermute_b32 v6, v12, v4
	ds_bpermute_b32 v7, v12, v5
	v_cndmask_b32_e32 v12, v15, v52, vcc
	v_lshlrev_b32_e32 v12, 2, v12
	s_cmp_eq_u32 s7, 0
	s_cselect_b64 s[8:9], -1, 0
	s_waitcnt lgkmcnt(0)
	v_pk_add_f32 v[4:5], v[4:5], v[6:7]
	ds_bpermute_b32 v6, v12, v4
	ds_bpermute_b32 v7, v12, v5
	s_and_b64 s[0:1], s[8:9], s[0:1]
	s_and_b64 vcc, exec, s[0:1]
	s_waitcnt lgkmcnt(0)
	v_pk_add_f32 v[4:5], v[4:5], v[6:7]
	s_cbranch_vccz .LBB59_20
; %bb.19:
	v_add_u32_e32 v6, s29, v25
	v_ashrrev_i32_e32 v7, 31, v6
	v_lshlrev_b64 v[6:7], 2, v[6:7]
	v_mov_b32_e32 v12, s17
	v_add_co_u32_e32 v6, vcc, s16, v6
	v_addc_co_u32_e32 v7, vcc, v12, v7, vcc
	global_load_dwordx2 v[6:7], v[6:7], off
	v_max_f32_e32 v12, v11, v11
	v_max_f32_e32 v14, v10, v10
	s_mov_b32 s0, 0x3fb8aa3b
	s_mov_b32 s1, 0xc2ce8ed0
	;; [unrolled: 1-line block ×3, first 2 shown]
	v_mov_b32_e32 v15, 0x7f800000
	s_waitcnt vmcnt(0)
	v_max_f32_e32 v13, v7, v7
	v_max_f32_e32 v16, v6, v6
	;; [unrolled: 1-line block ×4, first 2 shown]
	v_pk_add_f32 v[10:11], v[10:11], v[12:13] neg_lo:[0,1] neg_hi:[0,1]
	v_mul_f32_e32 v14, 0x3fb8aa3b, v11
	v_pk_add_f32 v[6:7], v[6:7], v[12:13] neg_lo:[0,1] neg_hi:[0,1]
	v_mul_f32_e32 v16, 0x3fb8aa3b, v10
	v_fma_f32 v19, v11, s0, -v14
	v_rndne_f32_e32 v20, v14
	v_mul_f32_e32 v17, 0x3fb8aa3b, v7
	v_fma_f32 v21, v10, s0, -v16
	v_rndne_f32_e32 v22, v16
	v_fmac_f32_e32 v19, 0x32a5705f, v11
	v_sub_f32_e32 v14, v14, v20
	v_mul_f32_e32 v18, 0x3fb8aa3b, v6
	v_fma_f32 v23, v7, s0, -v17
	v_rndne_f32_e32 v27, v17
	v_fmac_f32_e32 v21, 0x32a5705f, v10
	v_sub_f32_e32 v16, v16, v22
	v_add_f32_e32 v14, v14, v19
	v_fma_f32 v28, v6, s0, -v18
	v_rndne_f32_e32 v29, v18
	v_cvt_i32_f32_e32 v20, v20
	v_fmac_f32_e32 v23, 0x32a5705f, v7
	v_sub_f32_e32 v17, v17, v27
	v_add_f32_e32 v16, v16, v21
	v_exp_f32_e32 v14, v14
	v_cvt_i32_f32_e32 v22, v22
	v_fmac_f32_e32 v28, 0x32a5705f, v6
	v_sub_f32_e32 v18, v18, v29
	v_add_f32_e32 v17, v17, v23
	v_exp_f32_e32 v16, v16
	v_cvt_i32_f32_e32 v27, v27
	v_add_f32_e32 v18, v18, v28
	v_exp_f32_e32 v17, v17
	v_cvt_i32_f32_e32 v29, v29
	v_exp_f32_e32 v18, v18
	v_ldexp_f32 v14, v14, v20
	v_cmp_ngt_f32_e32 vcc, s1, v11
	v_ldexp_f32 v16, v16, v22
	v_cndmask_b32_e32 v14, 0, v14, vcc
	v_cmp_ngt_f32_e32 vcc, s1, v10
	v_ldexp_f32 v17, v17, v27
	v_cndmask_b32_e32 v16, 0, v16, vcc
	;; [unrolled: 3-line block ×3, first 2 shown]
	v_cmp_ngt_f32_e32 vcc, s1, v6
	v_cndmask_b32_e32 v18, 0, v18, vcc
	v_cmp_nlt_f32_e32 vcc, s6, v11
	v_cndmask_b32_e32 v11, v15, v14, vcc
	v_cmp_nlt_f32_e32 vcc, s6, v10
	v_cndmask_b32_e32 v10, v15, v16, vcc
	v_cmp_nlt_f32_e32 vcc, s6, v7
	v_cndmask_b32_e32 v7, v15, v17, vcc
	v_cmp_nlt_f32_e32 vcc, s6, v6
	v_cndmask_b32_e32 v6, v15, v18, vcc
	v_cvt_f16_f32_e32 v14, v10
	v_pk_fma_f32 v[4:5], v[4:5], v[10:11], v[6:7]
	v_cvt_f16_f32_e32 v6, v11
	v_pk_mov_b32 v[10:11], v[12:13], v[12:13] op_sel:[0,1]
	v_pk_mul_f16 v44, v14, v44 op_sel_hi:[0,1]
	v_pk_mul_f16 v24, v14, v24 op_sel_hi:[0,1]
	;; [unrolled: 1-line block ×8, first 2 shown]
.LBB59_20:
	v_cmp_gt_i32_e32 vcc, s2, v9
	s_and_saveexec_b64 s[0:1], vcc
	s_cbranch_execz .LBB59_29
; %bb.21:
	s_load_dword s6, s[4:5], 0xd4
	v_mov_b32_e32 v12, 1.0
	s_waitcnt lgkmcnt(0)
	s_cmp_lg_u32 s6, 1
	s_cselect_b64 s[0:1], -1, 0
	s_cmp_eq_u32 s6, 1
	s_cselect_b64 s[4:5], -1, 0
	s_and_b64 vcc, exec, s[0:1]
	s_cbranch_vccnz .LBB59_23
; %bb.22:
	v_div_scale_f32 v6, s[8:9], v4, v4, 1.0
	v_rcp_f32_e32 v7, v6
	v_div_scale_f32 v12, vcc, 1.0, v4, 1.0
	v_fma_f32 v13, -v6, v7, 1.0
	v_fmac_f32_e32 v7, v13, v7
	v_mul_f32_e32 v13, v12, v7
	v_fma_f32 v14, -v6, v13, v12
	v_fmac_f32_e32 v13, v14, v7
	v_fma_f32 v6, -v6, v13, v12
	v_div_fmas_f32 v6, v6, v7, v13
	v_div_fixup_f32 v12, v6, v4, 1.0
.LBB59_23:
	s_mul_i32 s33, s33, s2
	v_add_u32_e32 v6, s33, v9
	v_mul_lo_u32 v6, v6, s3
	v_add3_u32 v6, s29, v25, v6
	v_mul_lo_u32 v6, s6, v6
	v_add_u32_e32 v6, s7, v6
	v_cvt_f32_f16_sdwa v17, v44 dst_sel:DWORD dst_unused:UNUSED_PAD src0_sel:WORD_1
	v_cvt_f32_f16_e32 v16, v44
	v_cvt_f32_f16_sdwa v19, v24 dst_sel:DWORD dst_unused:UNUSED_PAD src0_sel:WORD_1
	v_cvt_f32_f16_e32 v18, v24
	v_cmp_eq_u32_e32 vcc, 0, v8
	v_lshl_add_u32 v8, v6, 8, v26
	v_mov_b32_e32 v9, 0
	v_lshlrev_b64 v[14:15], 2, v[8:9]
	s_and_b64 s[0:1], vcc, s[0:1]
	v_mov_b32_e32 v7, s21
	v_add_co_u32_e32 v20, vcc, s20, v14
	v_addc_co_u32_e32 v21, vcc, v7, v15, vcc
	v_pk_mul_f32 v[14:15], v[12:13], v[16:17] op_sel_hi:[0,1]
	v_pk_mul_f32 v[16:17], v[12:13], v[18:19] op_sel_hi:[0,1]
	global_store_dwordx4 v[20:21], v[14:17], off
	v_add_u32_e32 v8, 0x80, v8
	v_cvt_f32_f16_sdwa v15, v45 dst_sel:DWORD dst_unused:UNUSED_PAD src0_sel:WORD_1
	v_cvt_f32_f16_e32 v14, v45
	v_cvt_f32_f16_sdwa v17, v2 dst_sel:DWORD dst_unused:UNUSED_PAD src0_sel:WORD_1
	v_cvt_f32_f16_e32 v16, v2
	v_lshlrev_b64 v[8:9], 2, v[8:9]
	v_add_co_u32_e32 v8, vcc, s20, v8
	v_addc_co_u32_e32 v9, vcc, v7, v9, vcc
	v_pk_mul_f32 v[14:15], v[12:13], v[14:15] op_sel_hi:[0,1]
	v_pk_mul_f32 v[16:17], v[12:13], v[16:17] op_sel_hi:[0,1]
	global_store_dwordx4 v[8:9], v[14:17], off
	s_and_saveexec_b64 s[2:3], s[0:1]
	s_cbranch_execz .LBB59_25
; %bb.24:
	v_ashrrev_i32_e32 v7, 31, v6
	v_lshlrev_b64 v[8:9], 3, v[6:7]
	v_mov_b32_e32 v2, s23
	v_add_co_u32_e32 v8, vcc, s22, v8
	v_addc_co_u32_e32 v9, vcc, v2, v9, vcc
	v_mov_b32_e32 v12, v10
	v_mov_b32_e32 v13, v4
	global_store_dwordx2 v[8:9], v[12:13], off
.LBB59_25:
	s_or_b64 exec, exec, s[2:3]
	s_andn2_b64 vcc, exec, s[4:5]
	v_mov_b32_e32 v4, 1.0
	s_cbranch_vccnz .LBB59_27
; %bb.26:
	v_div_scale_f32 v2, s[2:3], v5, v5, 1.0
	v_rcp_f32_e32 v4, v2
	v_div_scale_f32 v7, vcc, 1.0, v5, 1.0
	v_fma_f32 v8, -v2, v4, 1.0
	v_fmac_f32_e32 v4, v8, v4
	v_mul_f32_e32 v8, v7, v4
	v_fma_f32 v9, -v2, v8, v7
	v_fmac_f32_e32 v8, v9, v4
	v_fma_f32 v2, -v2, v8, v7
	v_div_fmas_f32 v2, v2, v4, v8
	v_div_fixup_f32 v4, v2, v5, 1.0
.LBB59_27:
	v_add_u32_e32 v2, s6, v6
	v_cvt_f32_f16_sdwa v9, v43 dst_sel:DWORD dst_unused:UNUSED_PAD src0_sel:WORD_1
	v_cvt_f32_f16_e32 v8, v43
	v_cvt_f32_f16_sdwa v15, v0 dst_sel:DWORD dst_unused:UNUSED_PAD src0_sel:WORD_1
	v_cvt_f32_f16_e32 v14, v0
	v_lshl_add_u32 v12, v2, 8, v26
	v_mov_b32_e32 v13, 0
	v_lshlrev_b64 v[6:7], 2, v[12:13]
	v_mov_b32_e32 v10, s21
	v_add_co_u32_e32 v16, vcc, s20, v6
	v_addc_co_u32_e32 v17, vcc, v10, v7, vcc
	v_pk_mul_f32 v[6:7], v[4:5], v[8:9] op_sel_hi:[0,1]
	v_pk_mul_f32 v[8:9], v[4:5], v[14:15] op_sel_hi:[0,1]
	v_add_u32_e32 v12, 0x80, v12
	global_store_dwordx4 v[16:17], v[6:9], off
	s_nop 0
	v_lshlrev_b64 v[6:7], 2, v[12:13]
	v_cvt_f32_f16_sdwa v9, v3 dst_sel:DWORD dst_unused:UNUSED_PAD src0_sel:WORD_1
	v_cvt_f32_f16_e32 v8, v3
	v_cvt_f32_f16_sdwa v13, v1 dst_sel:DWORD dst_unused:UNUSED_PAD src0_sel:WORD_1
	v_cvt_f32_f16_e32 v12, v1
	v_add_co_u32_e32 v0, vcc, s20, v6
	v_addc_co_u32_e32 v1, vcc, v10, v7, vcc
	v_pk_mul_f32 v[6:7], v[4:5], v[8:9] op_sel_hi:[0,1]
	v_pk_mul_f32 v[8:9], v[4:5], v[12:13] op_sel_hi:[0,1]
	global_store_dwordx4 v[0:1], v[6:9], off
	s_and_b64 exec, exec, s[0:1]
	s_cbranch_execz .LBB59_29
; %bb.28:
	v_ashrrev_i32_e32 v3, 31, v2
	v_lshlrev_b64 v[0:1], 3, v[2:3]
	v_mov_b32_e32 v2, s23
	v_add_co_u32_e32 v0, vcc, s22, v0
	v_addc_co_u32_e32 v1, vcc, v2, v1, vcc
	v_mov_b32_e32 v4, v11
	global_store_dwordx2 v[0:1], v[4:5], off
.LBB59_29:
	s_endpgm
	.section	.rodata,"a",@progbits
	.p2align	6, 0x0
	.amdhsa_kernel _ZL15flash_attn_tileILi256ELi256ELi2ELi8ELb1EEvPKcS1_S1_S1_S1_PKiPfP15HIP_vector_typeIfLj2EEffffjfiS5_IjLj3EEiiiiiiiiiiiliiliiiiil
		.amdhsa_group_segment_fixed_size 17920
		.amdhsa_private_segment_fixed_size 0
		.amdhsa_kernarg_size 464
		.amdhsa_user_sgpr_count 6
		.amdhsa_user_sgpr_private_segment_buffer 1
		.amdhsa_user_sgpr_dispatch_ptr 0
		.amdhsa_user_sgpr_queue_ptr 0
		.amdhsa_user_sgpr_kernarg_segment_ptr 1
		.amdhsa_user_sgpr_dispatch_id 0
		.amdhsa_user_sgpr_flat_scratch_init 0
		.amdhsa_user_sgpr_kernarg_preload_length 0
		.amdhsa_user_sgpr_kernarg_preload_offset 0
		.amdhsa_user_sgpr_private_segment_size 0
		.amdhsa_uses_dynamic_stack 0
		.amdhsa_system_sgpr_private_segment_wavefront_offset 0
		.amdhsa_system_sgpr_workgroup_id_x 1
		.amdhsa_system_sgpr_workgroup_id_y 1
		.amdhsa_system_sgpr_workgroup_id_z 1
		.amdhsa_system_sgpr_workgroup_info 0
		.amdhsa_system_vgpr_workitem_id 1
		.amdhsa_next_free_vgpr 113
		.amdhsa_next_free_sgpr 39
		.amdhsa_accum_offset 116
		.amdhsa_reserve_vcc 1
		.amdhsa_reserve_flat_scratch 0
		.amdhsa_float_round_mode_32 0
		.amdhsa_float_round_mode_16_64 0
		.amdhsa_float_denorm_mode_32 3
		.amdhsa_float_denorm_mode_16_64 3
		.amdhsa_dx10_clamp 1
		.amdhsa_ieee_mode 1
		.amdhsa_fp16_overflow 0
		.amdhsa_tg_split 0
		.amdhsa_exception_fp_ieee_invalid_op 0
		.amdhsa_exception_fp_denorm_src 0
		.amdhsa_exception_fp_ieee_div_zero 0
		.amdhsa_exception_fp_ieee_overflow 0
		.amdhsa_exception_fp_ieee_underflow 0
		.amdhsa_exception_fp_ieee_inexact 0
		.amdhsa_exception_int_div_zero 0
	.end_amdhsa_kernel
	.section	.text._ZL15flash_attn_tileILi256ELi256ELi2ELi8ELb1EEvPKcS1_S1_S1_S1_PKiPfP15HIP_vector_typeIfLj2EEffffjfiS5_IjLj3EEiiiiiiiiiiiliiliiiiil,"axG",@progbits,_ZL15flash_attn_tileILi256ELi256ELi2ELi8ELb1EEvPKcS1_S1_S1_S1_PKiPfP15HIP_vector_typeIfLj2EEffffjfiS5_IjLj3EEiiiiiiiiiiiliiliiiiil,comdat
.Lfunc_end59:
	.size	_ZL15flash_attn_tileILi256ELi256ELi2ELi8ELb1EEvPKcS1_S1_S1_S1_PKiPfP15HIP_vector_typeIfLj2EEffffjfiS5_IjLj3EEiiiiiiiiiiiliiliiiiil, .Lfunc_end59-_ZL15flash_attn_tileILi256ELi256ELi2ELi8ELb1EEvPKcS1_S1_S1_S1_PKiPfP15HIP_vector_typeIfLj2EEffffjfiS5_IjLj3EEiiiiiiiiiiiliiliiiiil
                                        ; -- End function
	.section	.AMDGPU.csdata,"",@progbits
; Kernel info:
; codeLenInByte = 10352
; NumSgprs: 43
; NumVgprs: 113
; NumAgprs: 0
; TotalNumVgprs: 113
; ScratchSize: 0
; MemoryBound: 0
; FloatMode: 240
; IeeeMode: 1
; LDSByteSize: 17920 bytes/workgroup (compile time only)
; SGPRBlocks: 5
; VGPRBlocks: 14
; NumSGPRsForWavesPerEU: 43
; NumVGPRsForWavesPerEU: 113
; AccumOffset: 116
; Occupancy: 3
; WaveLimiterHint : 1
; COMPUTE_PGM_RSRC2:SCRATCH_EN: 0
; COMPUTE_PGM_RSRC2:USER_SGPR: 6
; COMPUTE_PGM_RSRC2:TRAP_HANDLER: 0
; COMPUTE_PGM_RSRC2:TGID_X_EN: 1
; COMPUTE_PGM_RSRC2:TGID_Y_EN: 1
; COMPUTE_PGM_RSRC2:TGID_Z_EN: 1
; COMPUTE_PGM_RSRC2:TIDIG_COMP_CNT: 1
; COMPUTE_PGM_RSRC3_GFX90A:ACCUM_OFFSET: 28
; COMPUTE_PGM_RSRC3_GFX90A:TG_SPLIT: 0
	.section	.text._ZL15flash_attn_tileILi256ELi256ELi1ELi8ELb1EEvPKcS1_S1_S1_S1_PKiPfP15HIP_vector_typeIfLj2EEffffjfiS5_IjLj3EEiiiiiiiiiiiliiliiiiil,"axG",@progbits,_ZL15flash_attn_tileILi256ELi256ELi1ELi8ELb1EEvPKcS1_S1_S1_S1_PKiPfP15HIP_vector_typeIfLj2EEffffjfiS5_IjLj3EEiiiiiiiiiiiliiliiiiil,comdat
	.globl	_ZL15flash_attn_tileILi256ELi256ELi1ELi8ELb1EEvPKcS1_S1_S1_S1_PKiPfP15HIP_vector_typeIfLj2EEffffjfiS5_IjLj3EEiiiiiiiiiiiliiliiiiil ; -- Begin function _ZL15flash_attn_tileILi256ELi256ELi1ELi8ELb1EEvPKcS1_S1_S1_S1_PKiPfP15HIP_vector_typeIfLj2EEffffjfiS5_IjLj3EEiiiiiiiiiiiliiliiiiil
	.p2align	8
	.type	_ZL15flash_attn_tileILi256ELi256ELi1ELi8ELb1EEvPKcS1_S1_S1_S1_PKiPfP15HIP_vector_typeIfLj2EEffffjfiS5_IjLj3EEiiiiiiiiiiiliiliiiiil,@function
_ZL15flash_attn_tileILi256ELi256ELi1ELi8ELb1EEvPKcS1_S1_S1_S1_PKiPfP15HIP_vector_typeIfLj2EEffffjfiS5_IjLj3EEiiiiiiiiiiiliiliiiiil: ; @_ZL15flash_attn_tileILi256ELi256ELi1ELi8ELb1EEvPKcS1_S1_S1_S1_PKiPfP15HIP_vector_typeIfLj2EEffffjfiS5_IjLj3EEiiiiiiiiiiiliiliiiiil
; %bb.0:
	s_load_dwordx4 s[0:3], s[4:5], 0x5c
	s_load_dwordx2 s[28:29], s[4:5], 0x80
	s_load_dwordx2 s[34:35], s[4:5], 0xb8
	s_mov_b64 s[30:31], 0
	s_waitcnt lgkmcnt(0)
	s_ashr_i32 s9, s3, 31
	s_lshr_b32 s9, s9, 29
	s_add_i32 s9, s3, s9
	s_ashr_i32 s9, s9, 3
	v_cvt_f32_u32_e32 v1, s9
	s_sub_i32 s10, 0, s9
	v_rcp_iflag_f32_e32 v1, v1
	v_mul_f32_e32 v1, 0x4f7ffffe, v1
	v_cvt_u32_f32_e32 v1, v1
	v_readfirstlane_b32 s11, v1
	s_mul_i32 s10, s10, s11
	s_mul_hi_u32 s10, s11, s10
	s_add_i32 s11, s11, s10
	s_mul_hi_u32 s10, s8, s11
	s_mul_i32 s11, s10, s9
	s_sub_i32 s11, s8, s11
	s_add_i32 s12, s10, 1
	s_sub_i32 s13, s11, s9
	s_cmp_ge_u32 s11, s9
	s_cselect_b32 s10, s12, s10
	s_cselect_b32 s11, s13, s11
	s_add_i32 s12, s10, 1
	s_cmp_ge_u32 s11, s9
	s_cselect_b32 s33, s12, s10
	s_abs_i32 s9, s29
	v_cvt_f32_u32_e32 v1, s9
	s_lshl_b32 s8, s8, 3
	s_mul_i32 s12, s33, s3
	s_xor_b32 s10, s3, s29
	v_rcp_iflag_f32_e32 v1, v1
	s_sub_i32 s13, 0, s9
	s_sub_i32 s29, s8, s12
	s_abs_i32 s11, s3
	v_mul_f32_e32 v1, 0x4f7ffffe, v1
	v_cvt_u32_f32_e32 v1, v1
	s_ashr_i32 s10, s10, 31
	v_readfirstlane_b32 s8, v1
	s_mul_i32 s13, s13, s8
	s_mul_hi_u32 s12, s8, s13
	s_add_i32 s8, s8, s12
	s_mul_hi_u32 s8, s11, s8
	s_mul_i32 s12, s8, s9
	s_sub_i32 s11, s11, s12
	s_add_i32 s13, s8, 1
	s_sub_i32 s12, s11, s9
	s_cmp_ge_u32 s11, s9
	s_cselect_b32 s8, s13, s8
	s_cselect_b32 s11, s12, s11
	s_add_i32 s12, s8, 1
	s_cmp_ge_u32 s11, s9
	s_cselect_b32 s8, s12, s8
	s_xor_b32 s8, s8, s10
	s_sub_i32 s37, s8, s10
	s_abs_i32 s36, s37
	v_cvt_f32_u32_e32 v1, s36
	s_load_dwordx16 s[8:23], s[4:5], 0x0
	v_rcp_iflag_f32_e32 v1, v1
	s_waitcnt lgkmcnt(0)
	s_cmp_eq_u64 s[14:15], 0
	v_mul_f32_e32 v1, 0x4f7ffffe, v1
	v_cvt_u32_f32_e32 v1, v1
	v_readfirstlane_b32 s24, v1
	s_cbranch_scc1 .LBB60_2
; %bb.1:
	s_abs_i32 s25, s34
	v_cvt_f32_u32_e32 v1, s25
	s_sub_i32 s34, 0, s25
	s_abs_i32 s31, s33
	s_ashr_i32 s30, s33, 31
	v_rcp_iflag_f32_e32 v1, v1
	s_load_dwordx2 s[26:27], s[4:5], 0xc8
	v_mul_f32_e32 v1, 0x4f7ffffe, v1
	v_cvt_u32_f32_e32 v1, v1
	v_readfirstlane_b32 s38, v1
	s_mul_i32 s34, s34, s38
	s_mul_hi_u32 s34, s38, s34
	s_add_i32 s38, s38, s34
	s_mul_hi_u32 s34, s31, s38
	s_mul_i32 s34, s34, s25
	s_sub_i32 s31, s31, s34
	s_sub_i32 s34, s31, s25
	s_cmp_ge_u32 s31, s25
	s_cselect_b32 s31, s34, s31
	s_sub_i32 s34, s31, s25
	s_cmp_ge_u32 s31, s25
	s_cselect_b32 s25, s34, s31
	s_xor_b32 s25, s25, s30
	s_sub_i32 s25, s25, s30
	s_ashr_i32 s30, s25, 31
	s_waitcnt lgkmcnt(0)
	s_mul_i32 s27, s25, s27
	s_mul_hi_u32 s31, s25, s26
	s_add_i32 s27, s31, s27
	s_mul_i32 s30, s30, s26
	s_add_i32 s27, s27, s30
	s_mul_i32 s25, s25, s26
	s_add_u32 s30, s14, s25
	s_addc_u32 s31, s15, s27
.LBB60_2:
	s_load_dwordx4 s[40:43], s[4:5], 0x70
	v_bfe_u32 v1, v0, 10, 10
	v_and_b32_e32 v33, 7, v1
	v_lshrrev_b32_e32 v6, 3, v1
	v_add_u32_e32 v13, s6, v6
	s_waitcnt lgkmcnt(0)
	s_mul_i32 s14, s33, s42
	s_ashr_i32 s25, s14, 31
	s_mul_i32 s15, s29, s41
	s_add_u32 s8, s8, s14
	s_addc_u32 s9, s9, s25
	s_ashr_i32 s14, s15, 31
	s_add_u32 s15, s8, s15
	s_addc_u32 s14, s9, s14
	s_ashr_i32 s25, s41, 31
	v_mov_b32_e32 v2, s41
	v_alignbit_b32 v2, s25, v2, 2
	v_mad_u64_u32 v[4:5], s[8:9], v2, v33, 0
	v_mov_b32_e32 v2, v5
	s_lshr_b32 s8, s25, 2
	v_mad_u64_u32 v[2:3], s[8:9], s8, v33, v[2:3]
	v_mov_b32_e32 v5, v2
	v_mul_hi_u32 v2, s0, v13
	v_add_u32_e32 v2, v13, v2
	v_lshrrev_b32_e32 v2, s1, v2
	v_mul_lo_u32 v2, v2, s2
	s_ashr_i32 s8, s40, 31
	v_mov_b32_e32 v3, s40
	v_sub_u32_e32 v2, v13, v2
	v_alignbit_b32 v3, s8, v3, 2
	v_mad_u64_u32 v[6:7], s[0:1], v3, v2, 0
	v_mov_b32_e32 v8, v7
	s_lshr_b32 s0, s8, 2
	v_mad_u64_u32 v[8:9], s[0:1], s0, v2, v[8:9]
	v_lshlrev_b64 v[4:5], 2, v[4:5]
	v_mov_b32_e32 v7, v8
	v_and_b32_e32 v12, 0x3ff, v0
	v_mov_b32_e32 v0, s14
	v_add_co_u32_e32 v3, vcc, s15, v4
	v_addc_co_u32_e32 v0, vcc, v0, v5, vcc
	v_lshlrev_b64 v[4:5], 2, v[6:7]
	v_add_co_u32_e32 v3, vcc, v3, v4
	v_addc_co_u32_e32 v0, vcc, v0, v5, vcc
	v_lshlrev_b32_e32 v4, 4, v12
	v_add_co_u32_e32 v14, vcc, v3, v4
	v_addc_co_u32_e32 v15, vcc, 0, v0, vcc
	global_load_dwordx4 v[4:7], v[14:15], off
	global_load_dwordx4 v[8:11], v[14:15], off offset:512
	s_load_dword s0, s[4:5], 0x40
	s_mov_b32 s1, 0
	v_lshlrev_b32_e32 v0, 7, v1
	v_lshlrev_b32_e32 v3, 1, v12
	v_add_lshl_u32 v3, v3, v0, 2
	v_add_u32_e32 v3, 0x4000, v3
	s_cmp_eq_u64 s[18:19], 0
	s_waitcnt vmcnt(1) lgkmcnt(0)
	v_pk_mul_f32 v[4:5], v[4:5], s[0:1] op_sel_hi:[1,0]
	v_pk_mul_f32 v[6:7], v[6:7], s[0:1] op_sel_hi:[1,0]
	s_waitcnt vmcnt(0)
	v_pk_mul_f32 v[8:9], v[8:9], s[0:1] op_sel_hi:[1,0]
	v_pk_mul_f32 v[10:11], v[10:11], s[0:1] op_sel_hi:[1,0]
	v_cvt_f16_f32_e32 v14, v5
	v_cvt_f16_f32_e32 v4, v4
	;; [unrolled: 1-line block ×8, first 2 shown]
	v_pack_b32_f16 v5, v6, v5
	v_pack_b32_f16 v4, v4, v14
	;; [unrolled: 1-line block ×4, first 2 shown]
	ds_write2_b64 v3, v[4:5], v[6:7] offset0:128 offset1:160
	s_waitcnt lgkmcnt(0)
	s_barrier
	s_cbranch_scc1 .LBB60_4
; %bb.3:
	s_load_dword s0, s[4:5], 0xd0
	s_waitcnt lgkmcnt(0)
	s_mul_i32 s0, s0, s33
	s_add_i32 s0, s0, s6
	s_lshl_b64 s[0:1], s[0:1], 2
	s_add_u32 s0, s18, s0
	s_addc_u32 s1, s19, s1
	s_load_dword s28, s[0:1], 0x0
.LBB60_4:
	s_lshl_b32 s6, s7, 6
	v_lshlrev_b32_e32 v34, 2, v12
	s_waitcnt lgkmcnt(0)
	s_cmp_lt_i32 s6, s28
	v_mbcnt_lo_u32_b32 v3, -1, 0
	s_cbranch_scc1 .LBB60_6
; %bb.5:
	v_mbcnt_hi_u32_b32 v15, -1, v3
	v_and_b32_e32 v4, 0x60, v15
	s_mov_b32 s8, 0
	v_add_u32_e32 v58, 32, v4
	v_xor_b32_e32 v55, 16, v15
	v_xor_b32_e32 v56, 8, v15
	v_xor_b32_e32 v57, 4, v15
	v_xor_b32_e32 v59, 2, v15
	v_xor_b32_e32 v60, 1, v15
	s_mov_b64 s[0:1], 0
	s_mov_b32 s9, 0xfeffffff
	s_branch .LBB60_7
.LBB60_6:
	s_mov_b64 s[0:1], -1
                                        ; implicit-def: $sgpr9
                                        ; implicit-def: $sgpr8
                                        ; implicit-def: $vgpr15
                                        ; implicit-def: $vgpr58
                                        ; implicit-def: $vgpr55
                                        ; implicit-def: $vgpr56
                                        ; implicit-def: $vgpr57
                                        ; implicit-def: $vgpr59
                                        ; implicit-def: $vgpr60
.LBB60_7:
	s_andn2_b64 vcc, exec, s[0:1]
	v_mov_b32_e32 v32, s9
	v_mov_b32_e32 v61, s8
	;; [unrolled: 1-line block ×6, first 2 shown]
	s_cbranch_vccnz .LBB60_19
; %bb.8:
	s_sub_i32 s0, 0, s36
	s_mul_i32 s0, s0, s24
	s_mul_hi_u32 s0, s24, s0
	s_abs_i32 s19, s29
	s_add_i32 s24, s24, s0
	s_mul_hi_u32 s34, s19, s24
	s_load_dwordx4 s[24:27], s[4:5], 0x98
	s_load_dword s14, s[4:5], 0x54
	s_load_dwordx2 s[0:1], s[4:5], 0x8c
	s_ashr_i32 s38, s29, 31
	s_ashr_i32 s37, s37, 31
	s_waitcnt lgkmcnt(0)
	s_ashr_i32 s15, s26, 2
	s_ashr_i32 s26, s35, 1
	;; [unrolled: 1-line block ×4, first 2 shown]
	s_mul_i32 s25, s33, s25
	s_mul_hi_u32 s35, s33, s24
	s_add_i32 s25, s35, s25
	s_mul_i32 s35, s0, s24
	s_add_i32 s25, s25, s35
	s_mul_i32 s24, s33, s24
	s_add_u32 s10, s10, s24
	s_addc_u32 s11, s11, s25
	s_mul_i32 s25, s34, s36
	s_sub_i32 s19, s19, s25
	s_xor_b32 s24, s38, s37
	s_add_i32 s25, s34, 1
	s_sub_i32 s35, s19, s36
	s_cmp_ge_u32 s19, s36
	s_cselect_b32 s25, s25, s34
	s_cselect_b32 s19, s35, s19
	s_add_i32 s34, s25, 1
	s_cmp_ge_u32 s19, s36
	s_load_dwordx2 s[8:9], s[4:5], 0xa8
	s_cselect_b32 s19, s34, s25
	s_xor_b32 s19, s19, s24
	s_sub_i32 s19, s19, s24
	s_mul_i32 s1, s19, s1
	s_ashr_i32 s24, s1, 31
	s_add_u32 s10, s10, s1
	s_waitcnt lgkmcnt(0)
	s_mul_i32 s1, s33, s9
	s_mul_hi_u32 s9, s33, s8
	s_addc_u32 s11, s11, s24
	s_add_i32 s1, s9, s1
	s_mul_i32 s0, s0, s8
	s_add_i32 s1, s1, s0
	s_mul_i32 s0, s33, s8
	s_add_u32 s0, s12, s0
	s_mul_i32 s19, s19, s27
	v_lshrrev_b32_e32 v4, 4, v12
	s_addc_u32 s1, s13, s1
	s_ashr_i32 s8, s19, 31
	v_lshl_add_u32 v5, v1, 1, v4
	v_and_b32_e32 v4, 60, v34
	s_add_u32 s12, s0, s19
	v_lshlrev_b32_e32 v6, 2, v4
	s_movk_i32 s0, 0x110
	s_addc_u32 s13, s1, s8
	v_mad_u32_u24 v35, v5, s0, v6
	v_mul_lo_u32 v6, s18, v5
	s_lshl_b32 s0, s18, 4
	v_add_u32_e32 v18, s0, v6
	v_add_u32_e32 v20, s0, v18
	;; [unrolled: 1-line block ×3, first 2 shown]
	v_mad_u64_u32 v[14:15], s[0:1], v2, s26, v[12:13]
	v_add_u32_e32 v41, 0x5400, v0
	v_mul_lo_u32 v0, s15, v1
	s_lshl_b32 s0, s15, 3
	v_add_u32_e32 v26, s0, v0
	v_add_u32_e32 v28, s0, v26
	v_lshlrev_b32_e32 v5, 9, v1
	v_add_u32_e32 v30, s0, v28
	v_ashrrev_i32_e32 v7, 31, v6
	v_ashrrev_i32_e32 v19, 31, v18
	;; [unrolled: 1-line block ×4, first 2 shown]
	v_lshl_add_u32 v43, v34, 2, v5
	v_ashrrev_i32_e32 v1, 31, v0
	v_ashrrev_i32_e32 v27, 31, v26
	;; [unrolled: 1-line block ×4, first 2 shown]
	s_add_u32 s0, s4, 0xd0
	v_mov_b32_e32 v8, 0
	v_add_u32_e32 v36, 0x1100, v35
	v_add_u32_e32 v37, 0x2200, v35
	;; [unrolled: 1-line block ×4, first 2 shown]
	v_mul_u32_u24_e32 v40, 0x110, v12
	v_lshl_add_u32 v42, v12, 1, v41
	v_add_u32_e32 v44, 0x1000, v43
	v_add_u32_e32 v45, 0x2000, v43
	;; [unrolled: 1-line block ×3, first 2 shown]
	v_lshlrev_b32_e32 v47, 3, v12
	s_addc_u32 s1, s5, 0
	v_mov_b32_e32 v11, 0xfeffffff
	v_lshlrev_b64 v[16:17], 2, v[6:7]
	v_lshlrev_b32_e32 v48, 2, v4
	v_lshlrev_b64 v[18:19], 2, v[18:19]
	v_lshlrev_b64 v[20:21], 2, v[20:21]
	;; [unrolled: 1-line block ×3, first 2 shown]
	s_mov_b32 s19, 0x3f200000
	s_mov_b32 s24, 0x3fb8aa3b
	;; [unrolled: 1-line block ×4, first 2 shown]
	v_mov_b32_e32 v49, 0xbd5c1c4e
	v_mov_b32_e32 v50, 0x3e088382
	;; [unrolled: 1-line block ×3, first 2 shown]
	s_brev_b32 s27, -2
	v_mbcnt_hi_u32_b32 v15, -1, v3
	v_lshlrev_b64 v[24:25], 2, v[0:1]
	v_lshlrev_b64 v[26:27], 2, v[26:27]
	v_lshlrev_b64 v[28:29], 2, v[28:29]
	v_lshlrev_b64 v[30:31], 2, v[30:31]
	v_mov_b32_e32 v52, 0x7f800000
	v_mov_b32_e32 v9, 0
	;; [unrolled: 1-line block ×5, first 2 shown]
.LBB60_9:                               ; =>This Inner Loop Header: Depth=1
	s_mul_hi_i32 s9, s6, s18
	s_mul_i32 s8, s6, s18
	s_lshl_b64 s[8:9], s[8:9], 2
	s_add_u32 s8, s10, s8
	s_addc_u32 s9, s11, s9
	v_mov_b32_e32 v0, s9
	v_add_co_u32_e32 v1, vcc, s8, v16
	v_addc_co_u32_e32 v2, vcc, v0, v17, vcc
	v_add_co_u32_e32 v0, vcc, v1, v48
	v_addc_co_u32_e32 v1, vcc, 0, v2, vcc
	v_mov_b32_e32 v2, s9
	v_add_co_u32_e32 v3, vcc, s8, v18
	v_addc_co_u32_e32 v4, vcc, v2, v19, vcc
	v_add_co_u32_e32 v2, vcc, v3, v48
	v_addc_co_u32_e32 v3, vcc, 0, v4, vcc
	;; [unrolled: 5-line block ×3, first 2 shown]
	v_mov_b32_e32 v6, s9
	v_add_co_u32_e32 v7, vcc, s8, v22
	v_addc_co_u32_e32 v32, vcc, v6, v23, vcc
	v_add_co_u32_e32 v6, vcc, v7, v48
	global_load_dwordx4 v[56:59], v[0:1], off
	global_load_dwordx4 v[60:63], v[2:3], off
	v_addc_co_u32_e32 v7, vcc, 0, v32, vcc
	global_load_dwordx4 v[64:67], v[4:5], off
	global_load_dwordx4 v[68:71], v[6:7], off
	v_mov_b32_e32 v32, 0
	v_mov_b32_e32 v55, 0
	s_waitcnt vmcnt(3)
	ds_write_b128 v35, v[56:59]
	s_waitcnt vmcnt(2)
	ds_write_b128 v36, v[60:63]
	;; [unrolled: 2-line block ×4, first 2 shown]
	s_waitcnt lgkmcnt(0)
	s_barrier
	ds_read_b128 v[56:59], v40
	ds_read_b128 v[60:63], v39
	ds_read_b128 v[64:67], v40 offset:8704
	s_waitcnt lgkmcnt(1)
	;;#ASMSTART
	v_dot2_f32_f16 v32, v56, v60, v32
	;;#ASMEND
	;;#ASMSTART
	v_dot2_f32_f16 v32, v57, v61, v32
	;;#ASMEND
	;;#ASMSTART
	v_dot2_f32_f16 v32, v58, v62, v32
	;;#ASMEND
	;;#ASMSTART
	v_dot2_f32_f16 v32, v59, v63, v32
	;;#ASMEND
	s_waitcnt lgkmcnt(0)
	;;#ASMSTART
	v_dot2_f32_f16 v55, v64, v60, v55
	;;#ASMEND
	;;#ASMSTART
	v_dot2_f32_f16 v55, v65, v61, v55
	;;#ASMEND
	;;#ASMSTART
	v_dot2_f32_f16 v55, v66, v62, v55
	;;#ASMEND
	;;#ASMSTART
	v_dot2_f32_f16 v55, v67, v63, v55
	;;#ASMEND
	ds_read_b128 v[56:59], v40 offset:16
	ds_read_b128 v[60:63], v39 offset:16
	ds_read_b128 v[64:67], v40 offset:8720
	s_waitcnt lgkmcnt(1)
	;;#ASMSTART
	v_dot2_f32_f16 v32, v56, v60, v32
	;;#ASMEND
	;;#ASMSTART
	v_dot2_f32_f16 v32, v57, v61, v32
	;;#ASMEND
	;;#ASMSTART
	v_dot2_f32_f16 v32, v58, v62, v32
	;;#ASMEND
	;;#ASMSTART
	v_dot2_f32_f16 v32, v59, v63, v32
	;;#ASMEND
	s_waitcnt lgkmcnt(0)
	;;#ASMSTART
	v_dot2_f32_f16 v55, v64, v60, v55
	;;#ASMEND
	;;#ASMSTART
	v_dot2_f32_f16 v55, v65, v61, v55
	;;#ASMEND
	;;#ASMSTART
	v_dot2_f32_f16 v55, v66, v62, v55
	;;#ASMEND
	;;#ASMSTART
	v_dot2_f32_f16 v55, v67, v63, v55
	;;#ASMEND
	ds_read_b128 v[56:59], v40 offset:32
	ds_read_b128 v[60:63], v39 offset:32
	;; [unrolled: 29-line block ×15, first 2 shown]
	ds_read_b128 v[64:67], v40 offset:8944
	s_waitcnt lgkmcnt(1)
	;;#ASMSTART
	v_dot2_f32_f16 v32, v56, v60, v32
	;;#ASMEND
	;;#ASMSTART
	v_dot2_f32_f16 v32, v57, v61, v32
	;;#ASMEND
	;; [unrolled: 3-line block ×4, first 2 shown]
	s_waitcnt lgkmcnt(0)
	;;#ASMSTART
	v_dot2_f32_f16 v55, v64, v60, v55
	;;#ASMEND
	;;#ASMSTART
	v_dot2_f32_f16 v55, v65, v61, v55
	;;#ASMEND
	;; [unrolled: 3-line block ×4, first 2 shown]
	s_barrier
	global_load_dwordx4 v[56:59], v[0:1], off offset:256
	global_load_dwordx4 v[60:63], v[2:3], off offset:256
	;; [unrolled: 1-line block ×4, first 2 shown]
	s_waitcnt vmcnt(3)
	ds_write_b128 v35, v[56:59]
	s_waitcnt vmcnt(2)
	ds_write_b128 v36, v[60:63]
	;; [unrolled: 2-line block ×4, first 2 shown]
	s_waitcnt lgkmcnt(0)
	s_barrier
	ds_read_b128 v[0:3], v40
	ds_read_b128 v[4:7], v39 offset:256
	ds_read_b128 v[56:59], v40 offset:8704
	s_waitcnt lgkmcnt(1)
	;;#ASMSTART
	v_dot2_f32_f16 v32, v0, v4, v32
	;;#ASMEND
	;;#ASMSTART
	v_dot2_f32_f16 v32, v1, v5, v32
	;;#ASMEND
	;;#ASMSTART
	v_dot2_f32_f16 v32, v2, v6, v32
	;;#ASMEND
	;;#ASMSTART
	v_dot2_f32_f16 v32, v3, v7, v32
	;;#ASMEND
	s_waitcnt lgkmcnt(0)
	;;#ASMSTART
	v_dot2_f32_f16 v55, v56, v4, v55
	;;#ASMEND
	;;#ASMSTART
	v_dot2_f32_f16 v55, v57, v5, v55
	;;#ASMEND
	;;#ASMSTART
	v_dot2_f32_f16 v55, v58, v6, v55
	;;#ASMEND
	;;#ASMSTART
	v_dot2_f32_f16 v55, v59, v7, v55
	;;#ASMEND
	ds_read_b128 v[0:3], v40 offset:16
	ds_read_b128 v[4:7], v39 offset:272
	ds_read_b128 v[56:59], v40 offset:8720
	s_waitcnt lgkmcnt(1)
	;;#ASMSTART
	v_dot2_f32_f16 v32, v0, v4, v32
	;;#ASMEND
	;;#ASMSTART
	v_dot2_f32_f16 v32, v1, v5, v32
	;;#ASMEND
	;;#ASMSTART
	v_dot2_f32_f16 v32, v2, v6, v32
	;;#ASMEND
	;;#ASMSTART
	v_dot2_f32_f16 v32, v3, v7, v32
	;;#ASMEND
	s_waitcnt lgkmcnt(0)
	;;#ASMSTART
	v_dot2_f32_f16 v55, v56, v4, v55
	;;#ASMEND
	;;#ASMSTART
	v_dot2_f32_f16 v55, v57, v5, v55
	;;#ASMEND
	;;#ASMSTART
	v_dot2_f32_f16 v55, v58, v6, v55
	;;#ASMEND
	;;#ASMSTART
	v_dot2_f32_f16 v55, v59, v7, v55
	;;#ASMEND
	ds_read_b128 v[0:3], v40 offset:32
	;; [unrolled: 29-line block ×15, first 2 shown]
	ds_read_b128 v[4:7], v39 offset:496
	ds_read_b128 v[56:59], v40 offset:8944
	s_waitcnt lgkmcnt(1)
	;;#ASMSTART
	v_dot2_f32_f16 v32, v0, v4, v32
	;;#ASMEND
	;;#ASMSTART
	v_dot2_f32_f16 v32, v1, v5, v32
	;;#ASMEND
	;; [unrolled: 3-line block ×4, first 2 shown]
	s_waitcnt lgkmcnt(0)
	;;#ASMSTART
	v_dot2_f32_f16 v55, v56, v4, v55
	;;#ASMEND
	;;#ASMSTART
	v_dot2_f32_f16 v55, v57, v5, v55
	;;#ASMEND
	;; [unrolled: 3-line block ×3, first 2 shown]
	v_cmp_nlt_f32_e64 s[8:9], |v32|, s19
	;;#ASMSTART
	v_dot2_f32_f16 v55, v59, v7, v55
	;;#ASMEND
                                        ; implicit-def: $vgpr3
	s_and_saveexec_b64 s[34:35], s[8:9]
	s_xor_b64 s[8:9], exec, s[34:35]
	s_cbranch_execz .LBB60_11
; %bb.10:                               ;   in Loop: Header=BB60_9 Depth=1
	v_add_f32_e64 v0, |v32|, |v32|
	v_mul_f32_e32 v1, 0x3fb8aa3b, v0
	v_rndne_f32_e32 v2, v1
	v_sub_f32_e32 v3, v1, v2
	v_fma_f32 v1, v0, s24, -v1
	v_fmac_f32_e32 v1, 0x32a5705f, v0
	v_add_f32_e32 v1, v3, v1
	v_cvt_i32_f32_e32 v2, v2
	v_exp_f32_e32 v1, v1
	v_cmp_ngt_f32_e32 vcc, s25, v0
	v_ldexp_f32 v1, v1, v2
	v_cndmask_b32_e32 v1, 0, v1, vcc
	v_cmp_nlt_f32_e32 vcc, s26, v0
	v_cndmask_b32_e32 v0, v52, v1, vcc
	v_add_f32_e32 v0, 1.0, v0
	v_rcp_f32_e32 v0, v0
	v_fma_f32 v3, v0, -2.0, 1.0
.LBB60_11:                              ;   in Loop: Header=BB60_9 Depth=1
	s_andn2_saveexec_b64 s[8:9], s[8:9]
; %bb.12:                               ;   in Loop: Header=BB60_9 Depth=1
	v_mul_f32_e32 v0, v32, v32
	v_mov_b32_e32 v1, 0x3ca908c9
	v_fmac_f32_e32 v1, 0xbbbac73d, v0
	v_fma_f32 v1, v0, v1, v49
	v_fma_f32 v1, v0, v1, v50
	;; [unrolled: 1-line block ×3, first 2 shown]
	v_mul_f32_e64 v1, |v32|, v1
	v_fma_f32 v3, v0, v1, |v32|
; %bb.13:                               ;   in Loop: Header=BB60_9 Depth=1
	s_or_b64 exec, exec, s[8:9]
	v_add_u32_e32 v0, s6, v14
	v_ashrrev_i32_e32 v1, 31, v0
	v_lshlrev_b64 v[0:1], 1, v[0:1]
	v_mov_b32_e32 v2, s31
	v_add_co_u32_e32 v0, vcc, s30, v0
	v_addc_co_u32_e32 v1, vcc, v2, v1, vcc
	flat_load_ushort v2, v[0:1]
	v_cmp_nlt_f32_e64 s[8:9], |v55|, s19
                                        ; implicit-def: $vgpr4
	s_and_saveexec_b64 s[34:35], s[8:9]
	s_xor_b64 s[8:9], exec, s[34:35]
	s_cbranch_execz .LBB60_15
; %bb.14:                               ;   in Loop: Header=BB60_9 Depth=1
	v_add_f32_e64 v4, |v55|, |v55|
	v_mul_f32_e32 v5, 0x3fb8aa3b, v4
	v_rndne_f32_e32 v6, v5
	v_sub_f32_e32 v7, v5, v6
	v_fma_f32 v5, v4, s24, -v5
	v_fmac_f32_e32 v5, 0x32a5705f, v4
	v_add_f32_e32 v5, v7, v5
	v_cvt_i32_f32_e32 v6, v6
	v_exp_f32_e32 v5, v5
	v_cmp_ngt_f32_e32 vcc, s25, v4
	v_ldexp_f32 v5, v5, v6
	v_cndmask_b32_e32 v5, 0, v5, vcc
	v_cmp_nlt_f32_e32 vcc, s26, v4
	v_cndmask_b32_e32 v4, v52, v5, vcc
	v_add_f32_e32 v4, 1.0, v4
	v_rcp_f32_e32 v4, v4
	v_fma_f32 v4, v4, -2.0, 1.0
.LBB60_15:                              ;   in Loop: Header=BB60_9 Depth=1
	s_andn2_saveexec_b64 s[8:9], s[8:9]
; %bb.16:                               ;   in Loop: Header=BB60_9 Depth=1
	v_mul_f32_e32 v4, v55, v55
	v_mov_b32_e32 v5, 0x3ca908c9
	v_fmac_f32_e32 v5, 0xbbbac73d, v4
	v_fma_f32 v5, v4, v5, v49
	v_fma_f32 v5, v4, v5, v50
	;; [unrolled: 1-line block ×3, first 2 shown]
	v_mul_f32_e64 v5, |v55|, v5
	v_fma_f32 v4, v4, v5, |v55|
; %bb.17:                               ;   in Loop: Header=BB60_9 Depth=1
	s_or_b64 exec, exec, s[8:9]
	flat_load_ushort v0, v[0:1] offset:64
	v_bfi_b32 v1, s27, v3, v32
	v_bfi_b32 v3, s27, v4, v55
	v_and_b32_e32 v4, 0x60, v15
	v_xor_b32_e32 v55, 16, v15
	s_mul_hi_i32 s9, s6, s15
	s_mul_i32 s8, s6, s15
	v_add_u32_e32 v58, 32, v4
	v_xor_b32_e32 v56, 8, v15
	s_lshl_b64 s[8:9], s[8:9], 2
	v_cmp_lt_i32_e32 vcc, v55, v58
	s_waitcnt vmcnt(0) lgkmcnt(0)
	v_fma_mix_f32 v74, v1, s14, v2 op_sel_hi:[0,0,1]
	v_cndmask_b32_e32 v2, v15, v55, vcc
	v_cmp_lt_i32_e32 vcc, v56, v58
	s_add_u32 s8, s12, s8
	v_cndmask_b32_e32 v4, v15, v56, vcc
	s_addc_u32 s9, s13, s9
	v_lshlrev_b32_e32 v32, 2, v4
	v_mov_b32_e32 v4, s9
	v_add_co_u32_e32 v59, vcc, s8, v24
	v_addc_co_u32_e32 v4, vcc, v4, v25, vcc
	v_mov_b32_e32 v5, s9
	v_add_co_u32_e32 v62, vcc, s8, v26
	v_addc_co_u32_e32 v5, vcc, v5, v27, vcc
	;; [unrolled: 3-line block ×3, first 2 shown]
	v_mov_b32_e32 v7, s9
	v_add_co_u32_e32 v65, vcc, s8, v30
	v_lshlrev_b32_e32 v150, 2, v34
	v_addc_co_u32_e32 v7, vcc, v7, v31, vcc
	v_add_co_u32_e32 v60, vcc, v59, v150
	v_addc_co_u32_e32 v61, vcc, 0, v4, vcc
	v_add_f32_e32 v1, 0x40051340, v74
	v_add_co_u32_e32 v62, vcc, v62, v150
	v_lshlrev_b32_e32 v2, 2, v2
	v_addc_co_u32_e32 v63, vcc, 0, v5, vcc
	v_add_co_u32_e32 v70, vcc, v64, v150
	v_addc_co_u32_e32 v71, vcc, 0, v6, vcc
	v_add_co_u32_e32 v72, vcc, v65, v150
	s_barrier
	v_addc_co_u32_e32 v73, vcc, 0, v7, vcc
	v_xor_b32_e32 v57, 4, v15
	v_cmp_lt_i32_e32 vcc, v57, v58
	v_add_u32_e32 v158, 0x800, v47
	v_add_u32_e32 v159, 0x1000, v47
	;; [unrolled: 1-line block ×3, first 2 shown]
	s_or_b32 s8, s6, 32
	s_mul_hi_i32 s9, s8, s15
	s_mul_i32 s8, s8, s15
	s_lshl_b64 s[8:9], s[8:9], 2
	s_add_u32 s8, s12, s8
	s_addc_u32 s9, s13, s9
	v_add_u32_e32 v162, 0x2000, v47
	v_add_u32_e32 v163, 0x2800, v47
	;; [unrolled: 1-line block ×4, first 2 shown]
	v_fma_mix_f32 v75, v3, s14, v0 op_sel_hi:[0,0,1]
	v_add_f32_e32 v0, 0x40051340, v75
	v_max3_f32 v59, v11, v1, v0
	ds_bpermute_b32 v64, v2, v59
	global_load_dwordx4 v[0:3], v[60:61], off
	global_load_dwordx4 v[4:7], v[62:63], off
	s_waitcnt lgkmcnt(0)
	v_max_f32_e32 v60, v64, v64
	global_load_dwordx4 v[62:65], v[70:71], off
	global_load_dwordx4 v[66:69], v[72:73], off
	v_max_f32_e32 v59, v59, v60
	ds_bpermute_b32 v32, v32, v59
	v_cndmask_b32_e32 v60, v15, v57, vcc
	v_lshlrev_b32_e32 v60, 2, v60
	s_waitcnt lgkmcnt(0)
	v_max_f32_e32 v32, v32, v32
	v_max_f32_e32 v32, v59, v32
	ds_bpermute_b32 v60, v60, v32
	v_xor_b32_e32 v59, 2, v15
	v_cmp_lt_i32_e32 vcc, v59, v58
	v_cndmask_b32_e32 v61, v15, v59, vcc
	v_lshlrev_b32_e32 v61, 2, v61
	s_waitcnt lgkmcnt(0)
	v_max_f32_e32 v60, v60, v60
	v_max_f32_e32 v32, v32, v60
	ds_bpermute_b32 v61, v61, v32
	v_xor_b32_e32 v60, 1, v15
	v_cmp_lt_i32_e32 vcc, v60, v58
	v_cndmask_b32_e32 v70, v15, v60, vcc
	v_lshlrev_b32_e32 v70, 2, v70
	s_waitcnt lgkmcnt(0)
	v_max_f32_e32 v61, v61, v61
	v_max_f32_e32 v32, v32, v61
	ds_bpermute_b32 v61, v70, v32
	s_waitcnt lgkmcnt(0)
	v_max_f32_e32 v61, v61, v61
	v_max_f32_e32 v32, v32, v61
	v_sub_f32_e32 v61, v74, v32
	v_sub_f32_e32 v70, v75, v32
	v_mul_f32_e32 v71, 0x3fb8aa3b, v61
	v_mul_f32_e32 v72, 0x3fb8aa3b, v70
	v_fma_f32 v74, v61, s24, -v71
	v_rndne_f32_e32 v75, v71
	v_fma_f32 v76, v70, s24, -v72
	v_rndne_f32_e32 v77, v72
	v_fmac_f32_e32 v74, 0x32a5705f, v61
	v_sub_f32_e32 v71, v71, v75
	v_fmac_f32_e32 v76, 0x32a5705f, v70
	v_sub_f32_e32 v72, v72, v77
	v_add_f32_e32 v71, v71, v74
	v_cvt_i32_f32_e32 v75, v75
	v_add_f32_e32 v72, v72, v76
	v_exp_f32_e32 v71, v71
	v_cvt_i32_f32_e32 v77, v77
	v_exp_f32_e32 v72, v72
	v_sub_f32_e32 v11, v11, v32
	v_mul_f32_e32 v73, 0x3fb8aa3b, v11
	v_fma_f32 v78, v11, s24, -v73
	v_rndne_f32_e32 v79, v73
	v_ldexp_f32 v71, v71, v75
	v_cmp_ngt_f32_e32 vcc, s25, v61
	v_fmac_f32_e32 v78, 0x32a5705f, v11
	v_sub_f32_e32 v73, v73, v79
	v_ldexp_f32 v72, v72, v77
	v_cndmask_b32_e32 v71, 0, v71, vcc
	v_cmp_ngt_f32_e32 vcc, s25, v70
	v_add_f32_e32 v73, v73, v78
	v_cndmask_b32_e32 v72, 0, v72, vcc
	v_cmp_nlt_f32_e32 vcc, s26, v61
	v_cvt_i32_f32_e32 v79, v79
	v_exp_f32_e32 v73, v73
	v_cndmask_b32_e32 v61, v52, v71, vcc
	v_cmp_nlt_f32_e32 vcc, s26, v70
	v_cvt_f16_f32_e32 v71, v61
	v_cndmask_b32_e32 v70, v52, v72, vcc
	v_add_f32_e32 v61, v61, v70
	v_cvt_f16_f32_e32 v70, v70
	v_ldexp_f32 v72, v73, v79
	v_cmp_ngt_f32_e32 vcc, s25, v11
	v_cndmask_b32_e32 v72, 0, v72, vcc
	v_cmp_nlt_f32_e32 vcc, s26, v11
	v_cndmask_b32_e32 v11, v52, v72, vcc
	v_cvt_f16_f32_e32 v74, v11
	v_fmac_f32_e32 v61, v10, v11
	ds_write_b16 v42, v71
	ds_write_b16 v42, v70 offset:64
	s_waitcnt vmcnt(3)
	ds_write_b128 v43, v[0:3]
	s_waitcnt vmcnt(2)
	ds_write_b128 v44, v[4:7]
	;; [unrolled: 2-line block ×4, first 2 shown]
	s_waitcnt lgkmcnt(0)
	s_barrier
	ds_read2_b64 v[62:65], v47 offset1:32
	ds_read_b128 v[66:69], v41
	v_pk_mul_f16 v75, v74, v9 op_sel_hi:[0,1]
	v_pk_mul_f16 v76, v74, v8 op_sel_hi:[0,1]
	ds_read_b128 v[8:11], v41 offset:16
	ds_read_b128 v[4:7], v41 offset:32
	;; [unrolled: 1-line block ×3, first 2 shown]
	ds_read2_b64 v[70:73], v47 offset0:64 offset1:96
	s_waitcnt lgkmcnt(4)
	v_pk_mul_f16 v62, v62, v66 op_sel_hi:[1,0]
	v_pk_fma_f16 v54, v54, v74, v62 op_sel_hi:[1,0,1]
	v_pk_mul_f16 v62, v63, v66 op_sel_hi:[1,0]
	v_pk_fma_f16 v53, v53, v74, v62 op_sel_hi:[1,0,1]
	v_pk_fma_f16 v74, v64, v66, v75 op_sel_hi:[1,0,1]
	;; [unrolled: 1-line block ×3, first 2 shown]
	ds_read2_b64 v[62:65], v47 offset0:128 offset1:160
	s_waitcnt lgkmcnt(1)
	v_pk_fma_f16 v54, v70, v66, v54 op_sel:[0,1,0]
	v_pk_fma_f16 v53, v71, v66, v53 op_sel:[0,1,0]
	;; [unrolled: 1-line block ×4, first 2 shown]
	ds_read2_b64 v[70:73], v47 offset0:192 offset1:224
	s_waitcnt lgkmcnt(1)
	v_pk_fma_f16 v54, v62, v67, v54 op_sel_hi:[1,0,1]
	v_pk_fma_f16 v53, v63, v67, v53 op_sel_hi:[1,0,1]
	;; [unrolled: 1-line block ×4, first 2 shown]
	ds_read2_b64 v[62:65], v158 offset1:32
	s_waitcnt lgkmcnt(1)
	v_pk_fma_f16 v54, v70, v67, v54 op_sel:[0,1,0]
	v_pk_fma_f16 v53, v71, v67, v53 op_sel:[0,1,0]
	;; [unrolled: 1-line block ×4, first 2 shown]
	ds_read2_b64 v[70:73], v158 offset0:64 offset1:96
	s_waitcnt lgkmcnt(1)
	v_pk_fma_f16 v54, v62, v68, v54 op_sel_hi:[1,0,1]
	v_pk_fma_f16 v53, v63, v68, v53 op_sel_hi:[1,0,1]
	;; [unrolled: 1-line block ×4, first 2 shown]
	ds_read2_b64 v[62:65], v158 offset0:128 offset1:160
	s_waitcnt lgkmcnt(1)
	v_pk_fma_f16 v54, v70, v68, v54 op_sel:[0,1,0]
	v_pk_fma_f16 v53, v71, v68, v53 op_sel:[0,1,0]
	;; [unrolled: 1-line block ×4, first 2 shown]
	ds_read2_b64 v[70:73], v158 offset0:192 offset1:224
	s_waitcnt lgkmcnt(1)
	v_pk_fma_f16 v54, v62, v69, v54 op_sel_hi:[1,0,1]
	v_pk_fma_f16 v53, v63, v69, v53 op_sel_hi:[1,0,1]
	;; [unrolled: 1-line block ×4, first 2 shown]
	ds_read2_b64 v[62:65], v159 offset1:32
	s_waitcnt lgkmcnt(1)
	v_pk_fma_f16 v54, v70, v69, v54 op_sel:[0,1,0]
	v_pk_fma_f16 v53, v71, v69, v53 op_sel:[0,1,0]
	;; [unrolled: 1-line block ×4, first 2 shown]
	ds_read2_b64 v[66:69], v159 offset0:64 offset1:96
	s_waitcnt lgkmcnt(1)
	v_pk_fma_f16 v54, v62, v8, v54 op_sel_hi:[1,0,1]
	v_pk_fma_f16 v53, v63, v8, v53 op_sel_hi:[1,0,1]
	;; [unrolled: 1-line block ×4, first 2 shown]
	ds_read2_b64 v[62:65], v159 offset0:128 offset1:160
	s_waitcnt lgkmcnt(1)
	v_pk_fma_f16 v54, v66, v8, v54 op_sel:[0,1,0]
	v_pk_fma_f16 v53, v67, v8, v53 op_sel:[0,1,0]
	;; [unrolled: 1-line block ×4, first 2 shown]
	ds_read2_b64 v[66:69], v159 offset0:192 offset1:224
	s_waitcnt lgkmcnt(1)
	v_pk_fma_f16 v54, v62, v9, v54 op_sel_hi:[1,0,1]
	v_pk_fma_f16 v53, v63, v9, v53 op_sel_hi:[1,0,1]
	;; [unrolled: 1-line block ×4, first 2 shown]
	ds_read2_b64 v[62:65], v160 offset1:32
	s_waitcnt lgkmcnt(1)
	v_pk_fma_f16 v54, v66, v9, v54 op_sel:[0,1,0]
	v_pk_fma_f16 v53, v67, v9, v53 op_sel:[0,1,0]
	;; [unrolled: 1-line block ×4, first 2 shown]
	v_mov_b32_e32 v8, s9
	v_add_co_u32_e32 v9, vcc, s8, v24
	s_waitcnt lgkmcnt(0)
	v_pk_fma_f16 v54, v62, v10, v54 op_sel_hi:[1,0,1]
	v_addc_co_u32_e32 v62, vcc, v8, v25, vcc
	v_add_co_u32_e32 v8, vcc, v9, v150
	v_addc_co_u32_e32 v9, vcc, 0, v62, vcc
	v_pk_fma_f16 v53, v63, v10, v53 op_sel_hi:[1,0,1]
	v_mov_b32_e32 v62, s9
	v_add_co_u32_e32 v63, vcc, s8, v26
	v_addc_co_u32_e32 v142, vcc, v62, v27, vcc
	v_add_co_u32_e32 v62, vcc, v63, v150
	v_addc_co_u32_e32 v63, vcc, 0, v142, vcc
	v_pk_fma_f16 v64, v64, v10, v66 op_sel_hi:[1,0,1]
	ds_read2_b64 v[66:69], v160 offset0:64 offset1:96
	ds_read2_b64 v[70:73], v160 offset0:128 offset1:160
	ds_read2_b64 v[74:77], v160 offset0:192 offset1:224
	ds_read2_b64 v[78:81], v162 offset1:32
	ds_read2_b64 v[82:85], v162 offset0:64 offset1:96
	ds_read2_b64 v[86:89], v162 offset0:128 offset1:160
	ds_read2_b64 v[90:93], v162 offset0:192 offset1:224
	ds_read2_b64 v[94:97], v163 offset1:32
	;; [unrolled: 4-line block ×4, first 2 shown]
	ds_read2_b64 v[130:133], v165 offset0:64 offset1:96
	ds_read2_b64 v[134:137], v165 offset0:128 offset1:160
	;; [unrolled: 1-line block ×3, first 2 shown]
	s_waitcnt lgkmcnt(0)
	s_barrier
	global_load_dwordx4 v[142:145], v[8:9], off
	global_load_dwordx4 v[146:149], v[62:63], off
	v_mov_b32_e32 v8, s9
	v_add_co_u32_e32 v9, vcc, s8, v28
	v_addc_co_u32_e32 v62, vcc, v8, v29, vcc
	v_add_co_u32_e32 v8, vcc, v9, v150
	v_addc_co_u32_e32 v9, vcc, 0, v62, vcc
	v_mov_b32_e32 v62, s9
	v_add_co_u32_e32 v63, vcc, s8, v30
	v_addc_co_u32_e32 v151, vcc, v62, v31, vcc
	v_add_co_u32_e32 v62, vcc, v63, v150
	v_addc_co_u32_e32 v63, vcc, 0, v151, vcc
	global_load_dwordx4 v[150:153], v[8:9], off
	global_load_dwordx4 v[154:157], v[62:63], off
	v_pk_fma_f16 v8, v65, v10, v161 op_sel_hi:[1,0,1]
	v_pk_fma_f16 v9, v66, v10, v54 op_sel:[0,1,0]
	v_pk_fma_f16 v53, v67, v10, v53 op_sel:[0,1,0]
	v_pk_fma_f16 v54, v68, v10, v64 op_sel:[0,1,0]
	v_pk_fma_f16 v8, v69, v10, v8 op_sel:[0,1,0]
	v_pk_fma_f16 v9, v70, v11, v9 op_sel_hi:[1,0,1]
	v_pk_fma_f16 v10, v71, v11, v53 op_sel_hi:[1,0,1]
	v_pk_fma_f16 v53, v72, v11, v54 op_sel_hi:[1,0,1]
	v_pk_fma_f16 v8, v73, v11, v8 op_sel_hi:[1,0,1]
	v_pk_fma_f16 v9, v74, v11, v9 op_sel:[0,1,0]
	v_pk_fma_f16 v10, v75, v11, v10 op_sel:[0,1,0]
	v_pk_fma_f16 v53, v76, v11, v53 op_sel:[0,1,0]
	v_pk_fma_f16 v8, v77, v11, v8 op_sel:[0,1,0]
	v_pk_fma_f16 v9, v78, v4, v9 op_sel_hi:[1,0,1]
	v_pk_fma_f16 v10, v79, v4, v10 op_sel_hi:[1,0,1]
	v_pk_fma_f16 v11, v80, v4, v53 op_sel_hi:[1,0,1]
	;; [unrolled: 8-line block ×8, first 2 shown]
	v_pk_fma_f16 v0, v129, v2, v0 op_sel_hi:[1,0,1]
	v_pk_fma_f16 v4, v131, v2, v4 op_sel:[0,1,0]
	v_pk_fma_f16 v5, v132, v2, v5 op_sel:[0,1,0]
	;; [unrolled: 1-line block ×4, first 2 shown]
	v_pk_fma_f16 v2, v135, v3, v4 op_sel_hi:[1,0,1]
	v_pk_fma_f16 v4, v136, v3, v5 op_sel_hi:[1,0,1]
	v_pk_fma_f16 v74, v140, v3, v4 op_sel:[0,1,0]
	s_waitcnt vmcnt(3)
	ds_write_b128 v43, v[142:145]
	s_waitcnt vmcnt(2)
	ds_write_b128 v44, v[146:149]
	;; [unrolled: 2-line block ×4, first 2 shown]
	s_waitcnt lgkmcnt(0)
	s_barrier
	ds_read2_b64 v[4:7], v47 offset1:32
	ds_read_b128 v[8:11], v41 offset:64
	v_pk_fma_f16 v1, v134, v3, v1 op_sel_hi:[1,0,1]
	v_pk_fma_f16 v0, v137, v3, v0 op_sel_hi:[1,0,1]
	v_pk_fma_f16 v53, v138, v3, v1 op_sel:[0,1,0]
	v_pk_fma_f16 v54, v139, v3, v2 op_sel:[0,1,0]
	;; [unrolled: 1-line block ×3, first 2 shown]
	ds_read_b128 v[62:65], v41 offset:80
	ds_read_b128 v[66:69], v41 offset:96
	;; [unrolled: 1-line block ×3, first 2 shown]
	ds_read2_b64 v[70:73], v47 offset0:64 offset1:96
	s_waitcnt lgkmcnt(4)
	v_pk_fma_f16 v53, v4, v8, v53 op_sel_hi:[1,0,1]
	v_pk_fma_f16 v54, v5, v8, v54 op_sel_hi:[1,0,1]
	;; [unrolled: 1-line block ×4, first 2 shown]
	ds_read2_b64 v[4:7], v47 offset0:128 offset1:160
	s_waitcnt lgkmcnt(1)
	v_pk_fma_f16 v53, v70, v8, v53 op_sel:[0,1,0]
	v_pk_fma_f16 v54, v71, v8, v54 op_sel:[0,1,0]
	;; [unrolled: 1-line block ×4, first 2 shown]
	ds_read2_b64 v[70:73], v47 offset0:192 offset1:224
	s_waitcnt lgkmcnt(1)
	v_pk_fma_f16 v53, v4, v9, v53 op_sel_hi:[1,0,1]
	v_pk_fma_f16 v54, v5, v9, v54 op_sel_hi:[1,0,1]
	;; [unrolled: 1-line block ×4, first 2 shown]
	ds_read2_b64 v[4:7], v158 offset1:32
	s_waitcnt lgkmcnt(1)
	v_pk_fma_f16 v53, v70, v9, v53 op_sel:[0,1,0]
	v_pk_fma_f16 v54, v71, v9, v54 op_sel:[0,1,0]
	;; [unrolled: 1-line block ×4, first 2 shown]
	ds_read2_b64 v[70:73], v158 offset0:64 offset1:96
	s_waitcnt lgkmcnt(1)
	v_pk_fma_f16 v9, v4, v10, v53 op_sel_hi:[1,0,1]
	v_pk_fma_f16 v53, v5, v10, v54 op_sel_hi:[1,0,1]
	v_pk_fma_f16 v54, v6, v10, v74 op_sel_hi:[1,0,1]
	v_pk_fma_f16 v8, v7, v10, v8 op_sel_hi:[1,0,1]
	ds_read2_b64 v[4:7], v158 offset0:128 offset1:160
	s_waitcnt lgkmcnt(1)
	v_pk_fma_f16 v9, v70, v10, v9 op_sel:[0,1,0]
	v_pk_fma_f16 v53, v71, v10, v53 op_sel:[0,1,0]
	v_pk_fma_f16 v54, v72, v10, v54 op_sel:[0,1,0]
	v_pk_fma_f16 v8, v73, v10, v8 op_sel:[0,1,0]
	ds_read2_b64 v[70:73], v158 offset0:192 offset1:224
	s_waitcnt lgkmcnt(1)
	v_pk_fma_f16 v9, v4, v11, v9 op_sel_hi:[1,0,1]
	v_pk_fma_f16 v10, v5, v11, v53 op_sel_hi:[1,0,1]
	;; [unrolled: 1-line block ×4, first 2 shown]
	ds_read2_b64 v[4:7], v159 offset1:32
	s_waitcnt lgkmcnt(1)
	v_pk_fma_f16 v9, v70, v11, v9 op_sel:[0,1,0]
	v_pk_fma_f16 v54, v71, v11, v10 op_sel:[0,1,0]
	v_pk_fma_f16 v53, v72, v11, v53 op_sel:[0,1,0]
	v_pk_fma_f16 v70, v73, v11, v8 op_sel:[0,1,0]
	s_waitcnt lgkmcnt(0)
	v_pk_fma_f16 v71, v4, v62, v9 op_sel_hi:[1,0,1]
	ds_read2_b64 v[8:11], v159 offset0:64 offset1:96
	v_pk_fma_f16 v54, v5, v62, v54 op_sel_hi:[1,0,1]
	v_pk_fma_f16 v53, v6, v62, v53 op_sel_hi:[1,0,1]
	v_pk_fma_f16 v70, v7, v62, v70 op_sel_hi:[1,0,1]
	ds_read2_b64 v[4:7], v159 offset0:128 offset1:160
	s_waitcnt lgkmcnt(1)
	v_pk_fma_f16 v8, v8, v62, v71 op_sel:[0,1,0]
	v_pk_fma_f16 v54, v9, v62, v54 op_sel:[0,1,0]
	v_pk_fma_f16 v53, v10, v62, v53 op_sel:[0,1,0]
	v_pk_fma_f16 v62, v11, v62, v70 op_sel:[0,1,0]
	s_waitcnt lgkmcnt(0)
	v_pk_fma_f16 v70, v4, v63, v8 op_sel_hi:[1,0,1]
	ds_read2_b64 v[8:11], v159 offset0:192 offset1:224
	v_pk_fma_f16 v54, v5, v63, v54 op_sel_hi:[1,0,1]
	v_pk_fma_f16 v53, v6, v63, v53 op_sel_hi:[1,0,1]
	v_pk_fma_f16 v62, v7, v63, v62 op_sel_hi:[1,0,1]
	ds_read2_b64 v[4:7], v160 offset1:32
	s_waitcnt lgkmcnt(1)
	v_pk_fma_f16 v8, v8, v63, v70 op_sel:[0,1,0]
	v_pk_fma_f16 v54, v9, v63, v54 op_sel:[0,1,0]
	v_pk_fma_f16 v53, v10, v63, v53 op_sel:[0,1,0]
	v_pk_fma_f16 v62, v11, v63, v62 op_sel:[0,1,0]
	s_waitcnt lgkmcnt(0)
	v_pk_fma_f16 v63, v4, v64, v8 op_sel_hi:[1,0,1]
	ds_read2_b64 v[8:11], v160 offset0:64 offset1:96
	v_pk_fma_f16 v54, v5, v64, v54 op_sel_hi:[1,0,1]
	v_pk_fma_f16 v53, v6, v64, v53 op_sel_hi:[1,0,1]
	v_pk_fma_f16 v62, v7, v64, v62 op_sel_hi:[1,0,1]
	ds_read2_b64 v[4:7], v160 offset0:128 offset1:160
	s_waitcnt lgkmcnt(1)
	v_pk_fma_f16 v8, v8, v64, v63 op_sel:[0,1,0]
	v_pk_fma_f16 v54, v9, v64, v54 op_sel:[0,1,0]
	v_pk_fma_f16 v53, v10, v64, v53 op_sel:[0,1,0]
	v_pk_fma_f16 v62, v11, v64, v62 op_sel:[0,1,0]
	s_waitcnt lgkmcnt(0)
	v_pk_fma_f16 v63, v4, v65, v8 op_sel_hi:[1,0,1]
	ds_read2_b64 v[8:11], v160 offset0:192 offset1:224
	v_pk_fma_f16 v54, v5, v65, v54 op_sel_hi:[1,0,1]
	v_pk_fma_f16 v53, v6, v65, v53 op_sel_hi:[1,0,1]
	v_pk_fma_f16 v62, v7, v65, v62 op_sel_hi:[1,0,1]
	;; [unrolled: 24-line block ×5, first 2 shown]
	ds_read2_b64 v[4:7], v165 offset1:32
	s_waitcnt lgkmcnt(1)
	v_pk_fma_f16 v8, v8, v1, v62 op_sel:[0,1,0]
	v_pk_fma_f16 v54, v9, v1, v54 op_sel:[0,1,0]
	;; [unrolled: 1-line block ×4, first 2 shown]
	s_waitcnt lgkmcnt(0)
	v_pk_fma_f16 v1, v4, v2, v8 op_sel_hi:[1,0,1]
	ds_read2_b64 v[8:11], v165 offset0:64 offset1:96
	v_pk_fma_f16 v54, v5, v2, v54 op_sel_hi:[1,0,1]
	v_pk_fma_f16 v53, v6, v2, v53 op_sel_hi:[1,0,1]
	;; [unrolled: 1-line block ×3, first 2 shown]
	ds_read2_b64 v[4:7], v165 offset0:128 offset1:160
	s_waitcnt lgkmcnt(1)
	v_pk_fma_f16 v1, v8, v2, v1 op_sel:[0,1,0]
	v_pk_fma_f16 v8, v9, v2, v54 op_sel:[0,1,0]
	;; [unrolled: 1-line block ×4, first 2 shown]
	s_waitcnt lgkmcnt(0)
	v_pk_fma_f16 v1, v4, v3, v1 op_sel_hi:[1,0,1]
	v_pk_fma_f16 v2, v5, v3, v8 op_sel_hi:[1,0,1]
	;; [unrolled: 1-line block ×3, first 2 shown]
	ds_read2_b64 v[8:11], v165 offset0:192 offset1:224
	s_waitcnt lgkmcnt(0)
	s_barrier
	s_load_dword s8, s[0:1], 0x4
	v_pk_fma_f16 v0, v7, v3, v0 op_sel_hi:[1,0,1]
	v_pk_fma_f16 v54, v8, v3, v1 op_sel:[0,1,0]
	v_pk_fma_f16 v53, v9, v3, v2 op_sel:[0,1,0]
	;; [unrolled: 1-line block ×3, first 2 shown]
	s_waitcnt lgkmcnt(0)
	s_lshl_b32 s8, s8, 6
	s_add_i32 s6, s8, s6
	s_cmp_lt_i32 s6, s28
	v_pk_fma_f16 v8, v11, v3, v0 op_sel:[0,1,0]
	s_cbranch_scc0 .LBB60_19
; %bb.18:                               ;   in Loop: Header=BB60_9 Depth=1
	v_mov_b32_e32 v11, v32
	v_mov_b32_e32 v10, v61
	s_branch .LBB60_9
.LBB60_19:
	v_cmp_lt_i32_e32 vcc, v55, v58
	v_cndmask_b32_e32 v0, v15, v55, vcc
	v_lshlrev_b32_e32 v0, 2, v0
	ds_bpermute_b32 v0, v0, v61
	v_cmp_lt_i32_e32 vcc, v56, v58
	v_cndmask_b32_e32 v1, v15, v56, vcc
	v_lshlrev_b32_e32 v1, 2, v1
	v_cmp_lt_i32_e32 vcc, v57, v58
	s_waitcnt lgkmcnt(0)
	v_add_f32_e32 v0, v61, v0
	ds_bpermute_b32 v1, v1, v0
	v_cndmask_b32_e32 v2, v15, v57, vcc
	v_lshlrev_b32_e32 v2, 2, v2
	v_cmp_lt_i32_e32 vcc, v59, v58
	s_cmp_eq_u64 s[16:17], 0
	s_waitcnt lgkmcnt(0)
	v_add_f32_e32 v0, v0, v1
	ds_bpermute_b32 v1, v2, v0
	v_cndmask_b32_e32 v2, v15, v59, vcc
	v_lshlrev_b32_e32 v2, 2, v2
	v_cmp_lt_i32_e32 vcc, v60, v58
	v_cndmask_b32_e32 v3, v15, v60, vcc
	s_waitcnt lgkmcnt(0)
	v_add_f32_e32 v1, v0, v1
	ds_bpermute_b32 v2, v2, v1
	v_lshlrev_b32_e32 v3, 2, v3
	s_cselect_b64 s[0:1], -1, 0
	s_cmp_lg_u32 s7, 0
	s_cselect_b64 s[8:9], -1, 0
	s_waitcnt lgkmcnt(0)
	v_add_f32_e32 v1, v1, v2
	ds_bpermute_b32 v2, v3, v1
	s_or_b64 s[0:1], s[8:9], s[0:1]
	v_add_u32_e32 v0, s29, v33
	s_and_b64 vcc, exec, s[0:1]
	s_waitcnt lgkmcnt(0)
	v_add_f32_e32 v33, v1, v2
	s_cbranch_vccnz .LBB60_21
; %bb.20:
	v_ashrrev_i32_e32 v1, 31, v0
	v_lshlrev_b64 v[2:3], 2, v[0:1]
	v_mov_b32_e32 v1, s17
	v_add_co_u32_e32 v2, vcc, s16, v2
	v_addc_co_u32_e32 v3, vcc, v1, v3, vcc
	global_load_dword v1, v[2:3], off
	v_max_f32_e32 v2, v32, v32
	s_mov_b32 s0, 0x3fb8aa3b
	s_mov_b32 s1, 0xc2ce8ed0
	s_waitcnt vmcnt(0)
	v_max_f32_e32 v3, v1, v1
	v_max_f32_e32 v2, v2, v3
	v_sub_f32_e32 v3, v32, v2
	v_sub_f32_e32 v1, v1, v2
	v_mul_f32_e32 v4, 0x3fb8aa3b, v3
	v_mul_f32_e32 v5, 0x3fb8aa3b, v1
	v_fma_f32 v6, v3, s0, -v4
	v_rndne_f32_e32 v7, v4
	v_fma_f32 v10, v1, s0, -v5
	v_rndne_f32_e32 v11, v5
	v_fmac_f32_e32 v6, 0x32a5705f, v3
	v_sub_f32_e32 v4, v4, v7
	v_fmac_f32_e32 v10, 0x32a5705f, v1
	v_sub_f32_e32 v5, v5, v11
	v_add_f32_e32 v4, v4, v6
	v_cvt_i32_f32_e32 v7, v7
	v_add_f32_e32 v5, v5, v10
	v_exp_f32_e32 v4, v4
	v_cvt_i32_f32_e32 v11, v11
	v_exp_f32_e32 v5, v5
	v_cmp_ngt_f32_e32 vcc, s1, v3
	v_ldexp_f32 v4, v4, v7
	s_mov_b32 s0, 0x42b17218
	v_ldexp_f32 v5, v5, v11
	v_cndmask_b32_e32 v4, 0, v4, vcc
	v_cmp_ngt_f32_e32 vcc, s1, v1
	v_mov_b32_e32 v6, 0x7f800000
	v_cndmask_b32_e32 v5, 0, v5, vcc
	v_cmp_nlt_f32_e32 vcc, s0, v3
	v_cndmask_b32_e32 v4, v6, v4, vcc
	v_cvt_f16_f32_e32 v7, v4
	v_cmp_nlt_f32_e32 vcc, s0, v1
	v_cndmask_b32_e32 v3, v6, v5, vcc
	v_fmac_f32_e32 v3, v33, v4
	v_pk_mul_f16 v54, v7, v54 op_sel_hi:[0,1]
	v_pk_mul_f16 v53, v7, v53 op_sel_hi:[0,1]
	;; [unrolled: 1-line block ×4, first 2 shown]
	v_pk_mov_b32 v[32:33], v[2:3], v[2:3] op_sel:[0,1]
	s_branch .LBB60_22
.LBB60_21:
	v_mov_b32_e32 v3, v33
.LBB60_22:
	v_div_scale_f32 v1, s[0:1], v3, v3, 1.0
	v_rcp_f32_e32 v2, v1
	s_load_dword s4, s[4:5], 0xd4
	s_mul_i32 s33, s33, s2
	v_cvt_f32_f16_sdwa v15, v53 dst_sel:DWORD dst_unused:UNUSED_PAD src0_sel:WORD_1
	v_fma_f32 v4, -v1, v2, 1.0
	v_fmac_f32_e32 v2, v4, v2
	v_div_scale_f32 v4, vcc, 1.0, v3, 1.0
	v_mul_f32_e32 v5, v4, v2
	v_fma_f32 v6, -v1, v5, v4
	v_fmac_f32_e32 v5, v6, v2
	v_fma_f32 v1, -v1, v5, v4
	s_waitcnt lgkmcnt(0)
	s_cmp_lg_u32 s4, 1
	v_div_fmas_f32 v1, v1, v2, v5
	v_div_fixup_f32 v1, v1, v3, 1.0
	s_cselect_b64 s[0:1], -1, 0
	v_cndmask_b32_e64 v6, v1, 1.0, s[0:1]
	v_add_u32_e32 v1, s33, v13
	v_mad_u64_u32 v[0:1], s[2:3], v1, s3, v[0:1]
	v_mul_lo_u32 v0, s4, v0
	v_add_u32_e32 v0, s7, v0
	v_cvt_f32_f16_sdwa v5, v54 dst_sel:DWORD dst_unused:UNUSED_PAD src0_sel:WORD_1
	v_cvt_f32_f16_e32 v4, v54
	v_cvt_f32_f16_e32 v14, v53
	v_lshl_add_u32 v10, v0, 8, v34
	v_mov_b32_e32 v11, 0
	v_lshlrev_b64 v[2:3], 2, v[10:11]
	v_mov_b32_e32 v1, s21
	v_add_co_u32_e32 v16, vcc, s20, v2
	v_addc_co_u32_e32 v17, vcc, v1, v3, vcc
	v_pk_mul_f32 v[2:3], v[6:7], v[4:5] op_sel_hi:[0,1]
	v_pk_mul_f32 v[4:5], v[6:7], v[14:15] op_sel_hi:[0,1]
	v_add_u32_e32 v10, 0x80, v10
	global_store_dwordx4 v[16:17], v[2:5], off
	s_nop 0
	v_lshlrev_b64 v[2:3], 2, v[10:11]
	v_cvt_f32_f16_sdwa v5, v9 dst_sel:DWORD dst_unused:UNUSED_PAD src0_sel:WORD_1
	v_cvt_f32_f16_e32 v4, v9
	v_cvt_f32_f16_sdwa v9, v8 dst_sel:DWORD dst_unused:UNUSED_PAD src0_sel:WORD_1
	v_cvt_f32_f16_e32 v8, v8
	v_add_co_u32_e32 v10, vcc, s20, v2
	v_addc_co_u32_e32 v11, vcc, v1, v3, vcc
	v_cmp_eq_u32_e32 vcc, 0, v12
	v_pk_mul_f32 v[2:3], v[6:7], v[4:5] op_sel_hi:[0,1]
	v_pk_mul_f32 v[4:5], v[6:7], v[8:9] op_sel_hi:[0,1]
	s_and_b64 s[0:1], vcc, s[0:1]
	global_store_dwordx4 v[10:11], v[2:5], off
	s_and_saveexec_b64 s[2:3], s[0:1]
	s_cbranch_execz .LBB60_24
; %bb.23:
	v_ashrrev_i32_e32 v1, 31, v0
	v_lshlrev_b64 v[0:1], 3, v[0:1]
	v_mov_b32_e32 v2, s23
	v_add_co_u32_e32 v0, vcc, s22, v0
	v_addc_co_u32_e32 v1, vcc, v2, v1, vcc
	global_store_dwordx2 v[0:1], v[32:33], off
.LBB60_24:
	s_endpgm
	.section	.rodata,"a",@progbits
	.p2align	6, 0x0
	.amdhsa_kernel _ZL15flash_attn_tileILi256ELi256ELi1ELi8ELb1EEvPKcS1_S1_S1_S1_PKiPfP15HIP_vector_typeIfLj2EEffffjfiS5_IjLj3EEiiiiiiiiiiiliiliiiiil
		.amdhsa_group_segment_fixed_size 22528
		.amdhsa_private_segment_fixed_size 0
		.amdhsa_kernarg_size 464
		.amdhsa_user_sgpr_count 6
		.amdhsa_user_sgpr_private_segment_buffer 1
		.amdhsa_user_sgpr_dispatch_ptr 0
		.amdhsa_user_sgpr_queue_ptr 0
		.amdhsa_user_sgpr_kernarg_segment_ptr 1
		.amdhsa_user_sgpr_dispatch_id 0
		.amdhsa_user_sgpr_flat_scratch_init 0
		.amdhsa_user_sgpr_kernarg_preload_length 0
		.amdhsa_user_sgpr_kernarg_preload_offset 0
		.amdhsa_user_sgpr_private_segment_size 0
		.amdhsa_uses_dynamic_stack 0
		.amdhsa_system_sgpr_private_segment_wavefront_offset 0
		.amdhsa_system_sgpr_workgroup_id_x 1
		.amdhsa_system_sgpr_workgroup_id_y 1
		.amdhsa_system_sgpr_workgroup_id_z 1
		.amdhsa_system_sgpr_workgroup_info 0
		.amdhsa_system_vgpr_workitem_id 1
		.amdhsa_next_free_vgpr 166
		.amdhsa_next_free_sgpr 44
		.amdhsa_accum_offset 168
		.amdhsa_reserve_vcc 1
		.amdhsa_reserve_flat_scratch 0
		.amdhsa_float_round_mode_32 0
		.amdhsa_float_round_mode_16_64 0
		.amdhsa_float_denorm_mode_32 3
		.amdhsa_float_denorm_mode_16_64 3
		.amdhsa_dx10_clamp 1
		.amdhsa_ieee_mode 1
		.amdhsa_fp16_overflow 0
		.amdhsa_tg_split 0
		.amdhsa_exception_fp_ieee_invalid_op 0
		.amdhsa_exception_fp_denorm_src 0
		.amdhsa_exception_fp_ieee_div_zero 0
		.amdhsa_exception_fp_ieee_overflow 0
		.amdhsa_exception_fp_ieee_underflow 0
		.amdhsa_exception_fp_ieee_inexact 0
		.amdhsa_exception_int_div_zero 0
	.end_amdhsa_kernel
	.section	.text._ZL15flash_attn_tileILi256ELi256ELi1ELi8ELb1EEvPKcS1_S1_S1_S1_PKiPfP15HIP_vector_typeIfLj2EEffffjfiS5_IjLj3EEiiiiiiiiiiiliiliiiiil,"axG",@progbits,_ZL15flash_attn_tileILi256ELi256ELi1ELi8ELb1EEvPKcS1_S1_S1_S1_PKiPfP15HIP_vector_typeIfLj2EEffffjfiS5_IjLj3EEiiiiiiiiiiiliiliiiiil,comdat
.Lfunc_end60:
	.size	_ZL15flash_attn_tileILi256ELi256ELi1ELi8ELb1EEvPKcS1_S1_S1_S1_PKiPfP15HIP_vector_typeIfLj2EEffffjfiS5_IjLj3EEiiiiiiiiiiiliiliiiiil, .Lfunc_end60-_ZL15flash_attn_tileILi256ELi256ELi1ELi8ELb1EEvPKcS1_S1_S1_S1_PKiPfP15HIP_vector_typeIfLj2EEffffjfiS5_IjLj3EEiiiiiiiiiiiliiliiiiil
                                        ; -- End function
	.section	.AMDGPU.csdata,"",@progbits
; Kernel info:
; codeLenInByte = 10048
; NumSgprs: 48
; NumVgprs: 166
; NumAgprs: 0
; TotalNumVgprs: 166
; ScratchSize: 0
; MemoryBound: 0
; FloatMode: 240
; IeeeMode: 1
; LDSByteSize: 22528 bytes/workgroup (compile time only)
; SGPRBlocks: 5
; VGPRBlocks: 20
; NumSGPRsForWavesPerEU: 48
; NumVGPRsForWavesPerEU: 166
; AccumOffset: 168
; Occupancy: 2
; WaveLimiterHint : 1
; COMPUTE_PGM_RSRC2:SCRATCH_EN: 0
; COMPUTE_PGM_RSRC2:USER_SGPR: 6
; COMPUTE_PGM_RSRC2:TRAP_HANDLER: 0
; COMPUTE_PGM_RSRC2:TGID_X_EN: 1
; COMPUTE_PGM_RSRC2:TGID_Y_EN: 1
; COMPUTE_PGM_RSRC2:TGID_Z_EN: 1
; COMPUTE_PGM_RSRC2:TIDIG_COMP_CNT: 1
; COMPUTE_PGM_RSRC3_GFX90A:ACCUM_OFFSET: 41
; COMPUTE_PGM_RSRC3_GFX90A:TG_SPLIT: 0
	.section	.text._ZL15flash_attn_tileILi256ELi256ELi8ELi4ELb1EEvPKcS1_S1_S1_S1_PKiPfP15HIP_vector_typeIfLj2EEffffjfiS5_IjLj3EEiiiiiiiiiiiliiliiiiil,"axG",@progbits,_ZL15flash_attn_tileILi256ELi256ELi8ELi4ELb1EEvPKcS1_S1_S1_S1_PKiPfP15HIP_vector_typeIfLj2EEffffjfiS5_IjLj3EEiiiiiiiiiiiliiliiiiil,comdat
	.globl	_ZL15flash_attn_tileILi256ELi256ELi8ELi4ELb1EEvPKcS1_S1_S1_S1_PKiPfP15HIP_vector_typeIfLj2EEffffjfiS5_IjLj3EEiiiiiiiiiiiliiliiiiil ; -- Begin function _ZL15flash_attn_tileILi256ELi256ELi8ELi4ELb1EEvPKcS1_S1_S1_S1_PKiPfP15HIP_vector_typeIfLj2EEffffjfiS5_IjLj3EEiiiiiiiiiiiliiliiiiil
	.p2align	8
	.type	_ZL15flash_attn_tileILi256ELi256ELi8ELi4ELb1EEvPKcS1_S1_S1_S1_PKiPfP15HIP_vector_typeIfLj2EEffffjfiS5_IjLj3EEiiiiiiiiiiiliiliiiiil,@function
_ZL15flash_attn_tileILi256ELi256ELi8ELi4ELb1EEvPKcS1_S1_S1_S1_PKiPfP15HIP_vector_typeIfLj2EEffffjfiS5_IjLj3EEiiiiiiiiiiiliiliiiiil: ; @_ZL15flash_attn_tileILi256ELi256ELi8ELi4ELb1EEvPKcS1_S1_S1_S1_PKiPfP15HIP_vector_typeIfLj2EEffffjfiS5_IjLj3EEiiiiiiiiiiiliiliiiiil
; %bb.0:
	s_load_dwordx4 s[0:3], s[4:5], 0x5c
	s_load_dwordx2 s[30:31], s[4:5], 0x80
	s_load_dwordx2 s[36:37], s[4:5], 0xb8
	s_mov_b64 s[34:35], 0
	s_waitcnt lgkmcnt(0)
	s_ashr_i32 s9, s3, 31
	s_lshr_b32 s9, s9, 30
	s_add_i32 s9, s3, s9
	s_ashr_i32 s9, s9, 2
	v_cvt_f32_u32_e32 v1, s9
	s_sub_i32 s10, 0, s9
	v_rcp_iflag_f32_e32 v1, v1
	v_mul_f32_e32 v1, 0x4f7ffffe, v1
	v_cvt_u32_f32_e32 v1, v1
	v_readfirstlane_b32 s11, v1
	s_mul_i32 s10, s10, s11
	s_mul_hi_u32 s10, s11, s10
	s_add_i32 s11, s11, s10
	s_mul_hi_u32 s10, s8, s11
	s_mul_i32 s11, s10, s9
	s_sub_i32 s11, s8, s11
	s_add_i32 s12, s10, 1
	s_sub_i32 s13, s11, s9
	s_cmp_ge_u32 s11, s9
	s_cselect_b32 s10, s12, s10
	s_cselect_b32 s11, s13, s11
	s_add_i32 s12, s10, 1
	s_cmp_ge_u32 s11, s9
	s_cselect_b32 s33, s12, s10
	s_abs_i32 s9, s31
	v_cvt_f32_u32_e32 v1, s9
	s_lshl_b32 s8, s8, 2
	s_mul_i32 s12, s33, s3
	s_sub_i32 s13, 0, s9
	v_rcp_iflag_f32_e32 v1, v1
	s_sub_i32 s28, s8, s12
	s_abs_i32 s11, s3
	s_xor_b32 s10, s3, s31
	v_mul_f32_e32 v1, 0x4f7ffffe, v1
	v_cvt_u32_f32_e32 v1, v1
	s_ashr_i32 s10, s10, 31
	v_readfirstlane_b32 s8, v1
	s_mul_i32 s13, s13, s8
	s_mul_hi_u32 s12, s8, s13
	s_add_i32 s8, s8, s12
	s_mul_hi_u32 s8, s11, s8
	s_mul_i32 s12, s8, s9
	s_sub_i32 s11, s11, s12
	s_add_i32 s13, s8, 1
	s_sub_i32 s12, s11, s9
	s_cmp_ge_u32 s11, s9
	s_cselect_b32 s8, s13, s8
	s_cselect_b32 s11, s12, s11
	s_add_i32 s12, s8, 1
	s_cmp_ge_u32 s11, s9
	s_cselect_b32 s8, s12, s8
	s_xor_b32 s8, s8, s10
	s_sub_i32 s31, s8, s10
	s_abs_i32 s29, s31
	v_cvt_f32_u32_e32 v1, s29
	s_load_dwordx16 s[8:23], s[4:5], 0x0
	v_rcp_iflag_f32_e32 v1, v1
	s_waitcnt lgkmcnt(0)
	s_cmp_eq_u64 s[14:15], 0
	v_mul_f32_e32 v1, 0x4f7ffffe, v1
	v_cvt_u32_f32_e32 v1, v1
	v_readfirstlane_b32 s38, v1
	s_cbranch_scc1 .LBB61_2
; %bb.1:
	s_abs_i32 s26, s36
	v_cvt_f32_u32_e32 v1, s26
	s_sub_i32 s35, 0, s26
	s_abs_i32 s34, s33
	s_ashr_i32 s27, s33, 31
	v_rcp_iflag_f32_e32 v1, v1
	s_load_dwordx2 s[24:25], s[4:5], 0xc8
	v_mul_f32_e32 v1, 0x4f7ffffe, v1
	v_cvt_u32_f32_e32 v1, v1
	v_readfirstlane_b32 s36, v1
	s_mul_i32 s35, s35, s36
	s_mul_hi_u32 s35, s36, s35
	s_add_i32 s36, s36, s35
	s_mul_hi_u32 s35, s34, s36
	s_mul_i32 s35, s35, s26
	s_sub_i32 s34, s34, s35
	s_sub_i32 s35, s34, s26
	s_cmp_ge_u32 s34, s26
	s_cselect_b32 s34, s35, s34
	s_sub_i32 s35, s34, s26
	s_cmp_ge_u32 s34, s26
	s_cselect_b32 s26, s35, s34
	s_xor_b32 s26, s26, s27
	s_sub_i32 s26, s26, s27
	s_ashr_i32 s27, s26, 31
	s_waitcnt lgkmcnt(0)
	s_mul_i32 s25, s26, s25
	s_mul_hi_u32 s34, s26, s24
	s_add_i32 s25, s34, s25
	s_mul_i32 s27, s27, s24
	s_add_i32 s25, s25, s27
	s_mul_i32 s26, s26, s24
	s_add_u32 s34, s14, s26
	s_addc_u32 s35, s15, s25
.LBB61_2:
	s_load_dwordx4 s[24:27], s[4:5], 0x70
	v_bfe_u32 v14, v0, 10, 10
	v_lshl_add_u32 v5, s6, 3, v14
	v_mul_hi_u32 v1, s0, v5
	v_add_u32_e32 v1, v5, v1
	s_waitcnt lgkmcnt(0)
	s_mul_i32 s14, s33, s26
	s_ashr_i32 s26, s14, 31
	s_mul_i32 s15, s28, s25
	s_add_u32 s8, s8, s14
	s_addc_u32 s9, s9, s26
	s_ashr_i32 s14, s15, 31
	v_lshrrev_b32_e32 v1, s1, v1
	s_add_u32 s8, s8, s15
	v_mul_lo_u32 v1, v1, s2
	s_addc_u32 s9, s9, s14
	v_sub_u32_e32 v12, v5, v1
	s_ashr_i32 s14, s24, 31
	v_mov_b32_e32 v1, s24
	v_alignbit_b32 v1, s14, v1, 2
	v_mad_u64_u32 v[2:3], s[0:1], v1, v12, 0
	v_mov_b32_e32 v4, v3
	s_lshr_b32 s0, s14, 2
	v_mad_u64_u32 v[6:7], s[0:1], s0, v12, v[4:5]
	v_mov_b32_e32 v3, v6
	v_and_b32_e32 v4, 0x3ff, v0
	v_lshlrev_b64 v[0:1], 2, v[2:3]
	v_mov_b32_e32 v2, s9
	v_add_co_u32_e32 v0, vcc, s8, v0
	v_addc_co_u32_e32 v1, vcc, v2, v1, vcc
	v_lshlrev_b32_e32 v2, 4, v4
	v_add_co_u32_e32 v10, vcc, v0, v2
	v_addc_co_u32_e32 v11, vcc, 0, v1, vcc
	s_ashr_i32 s1, s25, 31
	s_and_b32 s0, s25, -4
	v_mov_b32_e32 v13, s1
	v_add_co_u32_e32 v20, vcc, s0, v10
	global_load_dwordx4 v[0:3], v[10:11], off
	global_load_dwordx4 v[6:9], v[10:11], off offset:512
	v_addc_co_u32_e32 v21, vcc, v11, v13, vcc
	global_load_dwordx4 v[16:19], v[20:21], off
	global_load_dwordx4 v[24:27], v[20:21], off offset:512
	s_mov_b32 s0, s25
	s_lshr_b64 s[8:9], s[0:1], 2
	s_lshl_b64 s[8:9], s[8:9], 3
	v_mov_b32_e32 v13, s9
	v_add_co_u32_e32 v20, vcc, s8, v10
	v_addc_co_u32_e32 v21, vcc, v11, v13, vcc
	global_load_dwordx4 v[28:31], v[20:21], off
	global_load_dwordx4 v[32:35], v[20:21], off offset:512
	v_mov_b32_e32 v13, s25
	v_alignbit_b32 v13, s1, v13, 2
	s_lshr_b32 s8, s1, 2
	v_mad_u64_u32 v[10:11], s[0:1], v13, 12, v[10:11]
	v_mov_b32_e32 v20, v11
	v_mad_u64_u32 v[20:21], s[0:1], s8, 12, v[20:21]
	v_mov_b32_e32 v11, v20
	global_load_dwordx4 v[36:39], v[10:11], off
	global_load_dwordx4 v[40:43], v[10:11], off offset:512
	s_load_dword s0, s[4:5], 0x40
	s_mov_b32 s1, 0
	v_lshlrev_b32_e32 v23, 11, v14
	v_lshl_or_b32 v10, v4, 3, v23
	s_cmp_eq_u64 s[18:19], 0
	s_waitcnt vmcnt(7) lgkmcnt(0)
	v_pk_mul_f32 v[0:1], v[0:1], s[0:1] op_sel_hi:[1,0]
	v_pk_mul_f32 v[2:3], v[2:3], s[0:1] op_sel_hi:[1,0]
	s_waitcnt vmcnt(6)
	v_pk_mul_f32 v[6:7], v[6:7], s[0:1] op_sel_hi:[1,0]
	v_pk_mul_f32 v[8:9], v[8:9], s[0:1] op_sel_hi:[1,0]
	v_cvt_f16_f32_e32 v11, v1
	v_cvt_f16_f32_e32 v13, v0
	;; [unrolled: 1-line block ×8, first 2 shown]
	s_waitcnt vmcnt(5)
	v_pk_mul_f32 v[0:1], v[16:17], s[0:1] op_sel_hi:[1,0]
	v_pk_mul_f32 v[2:3], v[18:19], s[0:1] op_sel_hi:[1,0]
	s_waitcnt vmcnt(4)
	v_pk_mul_f32 v[6:7], v[24:25], s[0:1] op_sel_hi:[1,0]
	v_pk_mul_f32 v[8:9], v[26:27], s[0:1] op_sel_hi:[1,0]
	v_cvt_f16_f32_e32 v16, v1
	v_cvt_f16_f32_e32 v17, v0
	;; [unrolled: 1-line block ×8, first 2 shown]
	v_pack_b32_f16 v1, v20, v15
	v_pack_b32_f16 v0, v13, v11
	;; [unrolled: 1-line block ×4, first 2 shown]
	ds_write2_b64 v10, v[0:1], v[2:3] offset1:32
	v_pack_b32_f16 v1, v19, v18
	v_pack_b32_f16 v0, v17, v16
	;; [unrolled: 1-line block ×4, first 2 shown]
	ds_write2_b64 v10, v[0:1], v[2:3] offset0:64 offset1:96
	s_waitcnt vmcnt(3)
	v_pk_mul_f32 v[0:1], v[28:29], s[0:1] op_sel_hi:[1,0]
	v_cvt_f16_f32_e32 v6, v1
	v_cvt_f16_f32_e32 v7, v0
	v_pk_mul_f32 v[0:1], v[30:31], s[0:1] op_sel_hi:[1,0]
	v_cvt_f16_f32_e32 v8, v1
	v_cvt_f16_f32_e32 v9, v0
	s_waitcnt vmcnt(2)
	v_pk_mul_f32 v[0:1], v[32:33], s[0:1] op_sel_hi:[1,0]
	v_pk_mul_f32 v[2:3], v[34:35], s[0:1] op_sel_hi:[1,0]
	v_cvt_f16_f32_e32 v11, v1
	v_cvt_f16_f32_e32 v3, v3
	;; [unrolled: 1-line block ×4, first 2 shown]
	v_pack_b32_f16 v1, v9, v8
	v_pack_b32_f16 v0, v7, v6
	;; [unrolled: 1-line block ×4, first 2 shown]
	ds_write2_b64 v10, v[0:1], v[2:3] offset0:128 offset1:160
	s_waitcnt vmcnt(1)
	v_pk_mul_f32 v[0:1], v[36:37], s[0:1] op_sel_hi:[1,0]
	v_cvt_f16_f32_e32 v6, v1
	v_cvt_f16_f32_e32 v7, v0
	v_pk_mul_f32 v[0:1], v[38:39], s[0:1] op_sel_hi:[1,0]
	v_cvt_f16_f32_e32 v8, v1
	v_cvt_f16_f32_e32 v9, v0
	s_waitcnt vmcnt(0)
	v_pk_mul_f32 v[0:1], v[40:41], s[0:1] op_sel_hi:[1,0]
	v_pk_mul_f32 v[2:3], v[42:43], s[0:1] op_sel_hi:[1,0]
	v_cvt_f16_f32_e32 v11, v1
	v_cvt_f16_f32_e32 v3, v3
	;; [unrolled: 1-line block ×4, first 2 shown]
	v_pack_b32_f16 v1, v9, v8
	v_pack_b32_f16 v0, v7, v6
	;; [unrolled: 1-line block ×4, first 2 shown]
	ds_write2_b64 v10, v[0:1], v[2:3] offset0:192 offset1:224
	s_waitcnt lgkmcnt(0)
	s_barrier
	s_cbranch_scc1 .LBB61_4
; %bb.3:
	s_load_dword s0, s[4:5], 0xd0
	s_waitcnt lgkmcnt(0)
	s_mul_i32 s0, s0, s33
	s_add_i32 s0, s0, s6
	s_lshl_b64 s[0:1], s[0:1], 2
	s_add_u32 s0, s18, s0
	s_addc_u32 s1, s19, s1
	s_load_dword s30, s[0:1], 0x0
.LBB61_4:
	s_lshl_b32 s6, s7, 5
	v_lshlrev_b32_e32 v11, 2, v4
	s_waitcnt lgkmcnt(0)
	s_cmp_lt_i32 s6, s30
	v_mbcnt_lo_u32_b32 v18, -1, 0
	s_cbranch_scc1 .LBB61_6
; %bb.5:
	v_mbcnt_hi_u32_b32 v13, -1, v18
	v_and_b32_e32 v0, 0x60, v13
	s_mov_b32 s8, 0
	v_add_u32_e32 v60, 32, v0
	v_xor_b32_e32 v61, 16, v13
	v_xor_b32_e32 v63, 8, v13
	;; [unrolled: 1-line block ×5, first 2 shown]
	s_mov_b64 s[0:1], 0
	s_mov_b32 s9, 0xfeffffff
	s_branch .LBB61_7
.LBB61_6:
	s_mov_b64 s[0:1], -1
                                        ; implicit-def: $sgpr9
                                        ; implicit-def: $sgpr8
                                        ; implicit-def: $vgpr13
                                        ; implicit-def: $vgpr60
                                        ; implicit-def: $vgpr61
                                        ; implicit-def: $vgpr63
                                        ; implicit-def: $vgpr64
                                        ; implicit-def: $vgpr62
                                        ; implicit-def: $vgpr59
.LBB61_7:
	s_andn2_b64 vcc, exec, s[0:1]
	v_mov_b32_e32 v3, s9
	v_mov_b32_e32 v7, s8
	;; [unrolled: 1-line block ×24, first 2 shown]
	s_cbranch_vccnz .LBB61_27
; %bb.8:
	s_sub_i32 s0, 0, s29
	s_mul_i32 s0, s0, s38
	s_mul_hi_u32 s0, s38, s0
	s_add_i32 s38, s38, s0
	s_load_dwordx4 s[24:27], s[4:5], 0x98
	s_load_dword s14, s[4:5], 0x54
	s_load_dwordx2 s[0:1], s[4:5], 0x8c
	s_abs_i32 s19, s28
	s_mul_hi_u32 s36, s19, s38
	s_waitcnt lgkmcnt(0)
	s_ashr_i32 s15, s26, 2
	s_ashr_i32 s26, s37, 1
	;; [unrolled: 1-line block ×4, first 2 shown]
	s_mul_i32 s25, s33, s25
	s_mul_hi_u32 s37, s33, s24
	s_add_i32 s25, s37, s25
	s_mul_i32 s37, s0, s24
	s_ashr_i32 s38, s28, 31
	s_ashr_i32 s31, s31, 31
	s_add_i32 s25, s25, s37
	s_mul_i32 s24, s33, s24
	s_add_u32 s10, s10, s24
	s_addc_u32 s11, s11, s25
	s_mul_i32 s25, s36, s29
	s_sub_i32 s19, s19, s25
	s_xor_b32 s24, s38, s31
	s_add_i32 s25, s36, 1
	s_sub_i32 s31, s19, s29
	s_cmp_ge_u32 s19, s29
	s_cselect_b32 s25, s25, s36
	s_cselect_b32 s19, s31, s19
	s_add_i32 s31, s25, 1
	s_cmp_ge_u32 s19, s29
	s_load_dwordx2 s[8:9], s[4:5], 0xa8
	s_cselect_b32 s19, s31, s25
	s_xor_b32 s19, s19, s24
	s_sub_i32 s19, s19, s24
	s_mul_i32 s1, s19, s1
	s_ashr_i32 s24, s1, 31
	s_add_u32 s10, s10, s1
	s_waitcnt lgkmcnt(0)
	s_mul_i32 s1, s33, s9
	s_mul_hi_u32 s9, s33, s8
	s_addc_u32 s11, s11, s24
	s_add_i32 s1, s9, s1
	s_mul_i32 s0, s0, s8
	s_add_i32 s1, s1, s0
	s_mul_i32 s0, s33, s8
	s_add_u32 s0, s12, s0
	s_mul_i32 s19, s19, s27
	v_lshrrev_b32_e32 v0, 4, v4
	s_addc_u32 s1, s13, s1
	s_ashr_i32 s8, s19, 31
	v_lshl_add_u32 v1, v14, 1, v0
	v_and_b32_e32 v0, 60, v11
	s_add_u32 s12, s0, s19
	v_lshlrev_b32_e32 v2, 2, v0
	s_movk_i32 s0, 0x110
	v_mad_u32_u24 v6, v1, s0, v2
	v_mul_lo_u32 v2, s18, v1
	v_mov_b32_e32 v1, 0x4000
	v_mul_lo_u32 v8, s15, v14
	s_addc_u32 s13, s1, s8
	v_add_u32_e32 v31, 0x4000, v6
	v_add_u32_e32 v33, 0x5100, v6
	v_lshl_add_u32 v6, s18, 4, v2
	v_mad_u32_u24 v34, v4, s0, v1
	v_mad_u64_u32 v[12:13], s[0:1], v12, s26, v[4:5]
	v_mov_b32_e32 v1, 0x6200
	v_lshlrev_b32_e32 v37, 2, v11
	v_lshl_add_u32 v20, s15, 3, v8
	v_mov_b32_e32 v25, 0
	v_ashrrev_i32_e32 v3, 31, v2
	v_ashrrev_i32_e32 v7, 31, v6
	v_lshl_add_u32 v35, v14, 8, v1
	v_lshl_add_u32 v1, v14, 9, v37
	v_ashrrev_i32_e32 v9, 31, v8
	v_ashrrev_i32_e32 v21, 31, v20
	s_add_u32 s0, s4, 0xd0
	v_lshlrev_b32_e32 v36, 3, v4
	v_add_u32_e32 v38, 0x4000, v1
	v_add_u32_e32 v39, 0x5000, v1
	s_addc_u32 s1, s5, 0
	v_mov_b32_e32 v52, 0xfeffffff
	v_lshlrev_b64 v[14:15], 2, v[2:3]
	v_lshlrev_b32_e32 v40, 2, v0
	v_lshlrev_b64 v[16:17], 2, v[6:7]
	v_mov_b32_e32 v41, s35
	s_mov_b32 s19, 0x3f200000
	s_mov_b32 s24, 0x3fb8aa3b
	;; [unrolled: 1-line block ×4, first 2 shown]
	v_mov_b32_e32 v42, 0xbd5c1c4e
	v_mov_b32_e32 v43, 0x3e088382
	;; [unrolled: 1-line block ×3, first 2 shown]
	v_mbcnt_hi_u32_b32 v13, -1, v18
	s_brev_b32 s27, -2
	v_lshlrev_b64 v[18:19], 2, v[8:9]
	v_lshlrev_b64 v[20:21], 2, v[20:21]
	v_mov_b32_e32 v45, 0x7f800000
	v_mov_b32_e32 v50, 0
	;; [unrolled: 1-line block ×23, first 2 shown]
.LBB61_9:                               ; =>This Inner Loop Header: Depth=1
	s_mul_hi_i32 s9, s6, s18
	s_mul_i32 s8, s6, s18
	s_lshl_b64 s[8:9], s[8:9], 2
	s_add_u32 s8, s10, s8
	s_addc_u32 s9, s11, s9
	v_mov_b32_e32 v0, s9
	v_add_co_u32_e32 v1, vcc, s8, v14
	v_addc_co_u32_e32 v2, vcc, v0, v15, vcc
	v_add_co_u32_e32 v0, vcc, v1, v40
	v_addc_co_u32_e32 v1, vcc, 0, v2, vcc
	v_mov_b32_e32 v2, s9
	v_add_co_u32_e32 v3, vcc, s8, v16
	v_addc_co_u32_e32 v56, vcc, v2, v17, vcc
	v_add_co_u32_e32 v2, vcc, v3, v40
	v_addc_co_u32_e32 v3, vcc, 0, v56, vcc
	global_load_dwordx4 v[60:63], v[0:1], off
	global_load_dwordx4 v[64:67], v[2:3], off
	v_mov_b32_e32 v59, 0
	v_mov_b32_e32 v58, 0
	;; [unrolled: 1-line block ×4, first 2 shown]
	s_waitcnt vmcnt(1)
	ds_write_b128 v31, v[60:63]
	s_waitcnt vmcnt(0)
	ds_write_b128 v33, v[64:67]
	s_waitcnt lgkmcnt(0)
	s_barrier
	ds_read_b128 v[60:63], v34
	ds_read_b128 v[64:67], v23
	ds_read_b128 v[68:71], v23 offset:512
	ds_read_b128 v[72:75], v23 offset:1024
	ds_read_b128 v[76:79], v23 offset:1536
	s_waitcnt lgkmcnt(3)
	;;#ASMSTART
	v_dot2_f32_f16 v59, v60, v64, v59
	;;#ASMEND
	;;#ASMSTART
	v_dot2_f32_f16 v59, v61, v65, v59
	;;#ASMEND
	;;#ASMSTART
	v_dot2_f32_f16 v59, v62, v66, v59
	;;#ASMEND
	;;#ASMSTART
	v_dot2_f32_f16 v59, v63, v67, v59
	;;#ASMEND
	s_waitcnt lgkmcnt(2)
	;;#ASMSTART
	v_dot2_f32_f16 v58, v60, v68, v58
	;;#ASMEND
	;;#ASMSTART
	v_dot2_f32_f16 v58, v61, v69, v58
	;;#ASMEND
	;;#ASMSTART
	v_dot2_f32_f16 v58, v62, v70, v58
	;;#ASMEND
	;;#ASMSTART
	v_dot2_f32_f16 v58, v63, v71, v58
	;;#ASMEND
	s_waitcnt lgkmcnt(1)
	;;#ASMSTART
	v_dot2_f32_f16 v57, v60, v72, v57
	;;#ASMEND
	;;#ASMSTART
	v_dot2_f32_f16 v57, v61, v73, v57
	;;#ASMEND
	;;#ASMSTART
	v_dot2_f32_f16 v57, v62, v74, v57
	;;#ASMEND
	;;#ASMSTART
	v_dot2_f32_f16 v57, v63, v75, v57
	;;#ASMEND
	s_waitcnt lgkmcnt(0)
	;;#ASMSTART
	v_dot2_f32_f16 v56, v60, v76, v56
	;;#ASMEND
	;;#ASMSTART
	v_dot2_f32_f16 v56, v61, v77, v56
	;;#ASMEND
	;;#ASMSTART
	v_dot2_f32_f16 v56, v62, v78, v56
	;;#ASMEND
	;;#ASMSTART
	v_dot2_f32_f16 v56, v63, v79, v56
	;;#ASMEND
	ds_read_b128 v[60:63], v34 offset:16
	ds_read_b128 v[64:67], v23 offset:16
	ds_read_b128 v[68:71], v23 offset:528
	ds_read_b128 v[72:75], v23 offset:1040
	ds_read_b128 v[76:79], v23 offset:1552
	s_waitcnt lgkmcnt(3)
	;;#ASMSTART
	v_dot2_f32_f16 v59, v60, v64, v59
	;;#ASMEND
	;;#ASMSTART
	v_dot2_f32_f16 v59, v61, v65, v59
	;;#ASMEND
	;;#ASMSTART
	v_dot2_f32_f16 v59, v62, v66, v59
	;;#ASMEND
	;;#ASMSTART
	v_dot2_f32_f16 v59, v63, v67, v59
	;;#ASMEND
	s_waitcnt lgkmcnt(2)
	;;#ASMSTART
	v_dot2_f32_f16 v58, v60, v68, v58
	;;#ASMEND
	;;#ASMSTART
	v_dot2_f32_f16 v58, v61, v69, v58
	;;#ASMEND
	;;#ASMSTART
	v_dot2_f32_f16 v58, v62, v70, v58
	;;#ASMEND
	;;#ASMSTART
	v_dot2_f32_f16 v58, v63, v71, v58
	;;#ASMEND
	s_waitcnt lgkmcnt(1)
	;;#ASMSTART
	v_dot2_f32_f16 v57, v60, v72, v57
	;;#ASMEND
	;;#ASMSTART
	v_dot2_f32_f16 v57, v61, v73, v57
	;;#ASMEND
	;;#ASMSTART
	v_dot2_f32_f16 v57, v62, v74, v57
	;;#ASMEND
	;;#ASMSTART
	v_dot2_f32_f16 v57, v63, v75, v57
	;;#ASMEND
	s_waitcnt lgkmcnt(0)
	;;#ASMSTART
	v_dot2_f32_f16 v56, v60, v76, v56
	;;#ASMEND
	;;#ASMSTART
	v_dot2_f32_f16 v56, v61, v77, v56
	;;#ASMEND
	;;#ASMSTART
	v_dot2_f32_f16 v56, v62, v78, v56
	;;#ASMEND
	;;#ASMSTART
	v_dot2_f32_f16 v56, v63, v79, v56
	;;#ASMEND
	ds_read_b128 v[60:63], v34 offset:32
	ds_read_b128 v[64:67], v23 offset:32
	;; [unrolled: 57-line block ×15, first 2 shown]
	ds_read_b128 v[68:71], v23 offset:752
	ds_read_b128 v[72:75], v23 offset:1264
	;; [unrolled: 1-line block ×3, first 2 shown]
	s_waitcnt lgkmcnt(3)
	;;#ASMSTART
	v_dot2_f32_f16 v59, v60, v64, v59
	;;#ASMEND
	;;#ASMSTART
	v_dot2_f32_f16 v59, v61, v65, v59
	;;#ASMEND
	;;#ASMSTART
	v_dot2_f32_f16 v59, v62, v66, v59
	;;#ASMEND
	;;#ASMSTART
	v_dot2_f32_f16 v59, v63, v67, v59
	;;#ASMEND
	s_waitcnt lgkmcnt(2)
	;;#ASMSTART
	v_dot2_f32_f16 v58, v60, v68, v58
	;;#ASMEND
	;;#ASMSTART
	v_dot2_f32_f16 v58, v61, v69, v58
	;;#ASMEND
	;;#ASMSTART
	v_dot2_f32_f16 v58, v62, v70, v58
	;;#ASMEND
	;;#ASMSTART
	v_dot2_f32_f16 v58, v63, v71, v58
	;;#ASMEND
	;; [unrolled: 13-line block ×4, first 2 shown]
	s_barrier
	global_load_dwordx4 v[60:63], v[0:1], off offset:256
	global_load_dwordx4 v[64:67], v[2:3], off offset:256
	s_waitcnt vmcnt(1)
	ds_write_b128 v31, v[60:63]
	s_waitcnt vmcnt(0)
	ds_write_b128 v33, v[64:67]
	s_waitcnt lgkmcnt(0)
	s_barrier
	ds_read_b128 v[0:3], v34
	ds_read_b128 v[60:63], v23 offset:256
	ds_read_b128 v[64:67], v23 offset:768
	ds_read_b128 v[68:71], v23 offset:1280
	ds_read_b128 v[72:75], v23 offset:1792
	s_waitcnt lgkmcnt(3)
	;;#ASMSTART
	v_dot2_f32_f16 v59, v0, v60, v59
	;;#ASMEND
	;;#ASMSTART
	v_dot2_f32_f16 v59, v1, v61, v59
	;;#ASMEND
	;;#ASMSTART
	v_dot2_f32_f16 v59, v2, v62, v59
	;;#ASMEND
	;;#ASMSTART
	v_dot2_f32_f16 v59, v3, v63, v59
	;;#ASMEND
	s_waitcnt lgkmcnt(2)
	;;#ASMSTART
	v_dot2_f32_f16 v58, v0, v64, v58
	;;#ASMEND
	;;#ASMSTART
	v_dot2_f32_f16 v58, v1, v65, v58
	;;#ASMEND
	;;#ASMSTART
	v_dot2_f32_f16 v58, v2, v66, v58
	;;#ASMEND
	;;#ASMSTART
	v_dot2_f32_f16 v58, v3, v67, v58
	;;#ASMEND
	s_waitcnt lgkmcnt(1)
	;;#ASMSTART
	v_dot2_f32_f16 v57, v0, v68, v57
	;;#ASMEND
	;;#ASMSTART
	v_dot2_f32_f16 v57, v1, v69, v57
	;;#ASMEND
	;;#ASMSTART
	v_dot2_f32_f16 v57, v2, v70, v57
	;;#ASMEND
	;;#ASMSTART
	v_dot2_f32_f16 v57, v3, v71, v57
	;;#ASMEND
	s_waitcnt lgkmcnt(0)
	;;#ASMSTART
	v_dot2_f32_f16 v56, v0, v72, v56
	;;#ASMEND
	;;#ASMSTART
	v_dot2_f32_f16 v56, v1, v73, v56
	;;#ASMEND
	;;#ASMSTART
	v_dot2_f32_f16 v56, v2, v74, v56
	;;#ASMEND
	;;#ASMSTART
	v_dot2_f32_f16 v56, v3, v75, v56
	;;#ASMEND
	ds_read_b128 v[0:3], v34 offset:16
	ds_read_b128 v[60:63], v23 offset:272
	ds_read_b128 v[64:67], v23 offset:784
	ds_read_b128 v[68:71], v23 offset:1296
	ds_read_b128 v[72:75], v23 offset:1808
	s_waitcnt lgkmcnt(3)
	;;#ASMSTART
	v_dot2_f32_f16 v59, v0, v60, v59
	;;#ASMEND
	;;#ASMSTART
	v_dot2_f32_f16 v59, v1, v61, v59
	;;#ASMEND
	;;#ASMSTART
	v_dot2_f32_f16 v59, v2, v62, v59
	;;#ASMEND
	;;#ASMSTART
	v_dot2_f32_f16 v59, v3, v63, v59
	;;#ASMEND
	s_waitcnt lgkmcnt(2)
	;;#ASMSTART
	v_dot2_f32_f16 v58, v0, v64, v58
	;;#ASMEND
	;;#ASMSTART
	v_dot2_f32_f16 v58, v1, v65, v58
	;;#ASMEND
	;;#ASMSTART
	v_dot2_f32_f16 v58, v2, v66, v58
	;;#ASMEND
	;;#ASMSTART
	v_dot2_f32_f16 v58, v3, v67, v58
	;;#ASMEND
	s_waitcnt lgkmcnt(1)
	;;#ASMSTART
	v_dot2_f32_f16 v57, v0, v68, v57
	;;#ASMEND
	;;#ASMSTART
	v_dot2_f32_f16 v57, v1, v69, v57
	;;#ASMEND
	;;#ASMSTART
	v_dot2_f32_f16 v57, v2, v70, v57
	;;#ASMEND
	;;#ASMSTART
	v_dot2_f32_f16 v57, v3, v71, v57
	;;#ASMEND
	s_waitcnt lgkmcnt(0)
	;;#ASMSTART
	v_dot2_f32_f16 v56, v0, v72, v56
	;;#ASMEND
	;;#ASMSTART
	v_dot2_f32_f16 v56, v1, v73, v56
	;;#ASMEND
	;;#ASMSTART
	v_dot2_f32_f16 v56, v2, v74, v56
	;;#ASMEND
	;;#ASMSTART
	v_dot2_f32_f16 v56, v3, v75, v56
	;;#ASMEND
	ds_read_b128 v[0:3], v34 offset:32
	;; [unrolled: 57-line block ×15, first 2 shown]
	ds_read_b128 v[60:63], v23 offset:496
	ds_read_b128 v[64:67], v23 offset:1008
	;; [unrolled: 1-line block ×4, first 2 shown]
	s_waitcnt lgkmcnt(3)
	;;#ASMSTART
	v_dot2_f32_f16 v59, v0, v60, v59
	;;#ASMEND
	;;#ASMSTART
	v_dot2_f32_f16 v59, v1, v61, v59
	;;#ASMEND
	;;#ASMSTART
	v_dot2_f32_f16 v59, v2, v62, v59
	;;#ASMEND
	;;#ASMSTART
	v_dot2_f32_f16 v59, v3, v63, v59
	;;#ASMEND
	s_waitcnt lgkmcnt(2)
	;;#ASMSTART
	v_dot2_f32_f16 v58, v0, v64, v58
	;;#ASMEND
	;;#ASMSTART
	v_dot2_f32_f16 v58, v1, v65, v58
	;;#ASMEND
	;;#ASMSTART
	v_dot2_f32_f16 v58, v2, v66, v58
	;;#ASMEND
	;;#ASMSTART
	v_dot2_f32_f16 v58, v3, v67, v58
	;;#ASMEND
	;; [unrolled: 13-line block ×3, first 2 shown]
	s_waitcnt lgkmcnt(0)
	;;#ASMSTART
	v_dot2_f32_f16 v56, v0, v72, v56
	;;#ASMEND
	v_add_u32_e32 v0, s6, v12
	;;#ASMSTART
	v_dot2_f32_f16 v56, v1, v73, v56
	;;#ASMEND
	v_ashrrev_i32_e32 v1, 31, v0
	v_lshlrev_b64 v[0:1], 1, v[0:1]
	v_add_co_u32_e32 v0, vcc, s34, v0
	;;#ASMSTART
	v_dot2_f32_f16 v56, v2, v74, v56
	;;#ASMEND
	v_addc_co_u32_e32 v1, vcc, v41, v1, vcc
	;;#ASMSTART
	v_dot2_f32_f16 v56, v3, v75, v56
	;;#ASMEND
	flat_load_ushort v69, v[0:1]
	v_cmp_nlt_f32_e64 s[8:9], |v59|, s19
                                        ; implicit-def: $vgpr1
	s_and_saveexec_b64 s[36:37], s[8:9]
	s_xor_b64 s[8:9], exec, s[36:37]
	s_cbranch_execz .LBB61_11
; %bb.10:                               ;   in Loop: Header=BB61_9 Depth=1
	v_add_f32_e64 v0, |v59|, |v59|
	v_mul_f32_e32 v1, 0x3fb8aa3b, v0
	v_rndne_f32_e32 v2, v1
	v_sub_f32_e32 v3, v1, v2
	v_fma_f32 v1, v0, s24, -v1
	v_fmac_f32_e32 v1, 0x32a5705f, v0
	v_add_f32_e32 v1, v3, v1
	v_cvt_i32_f32_e32 v2, v2
	v_exp_f32_e32 v1, v1
	v_cmp_ngt_f32_e32 vcc, s25, v0
	v_ldexp_f32 v1, v1, v2
	v_cndmask_b32_e32 v1, 0, v1, vcc
	v_cmp_nlt_f32_e32 vcc, s26, v0
	v_cndmask_b32_e32 v0, v45, v1, vcc
	v_add_f32_e32 v0, 1.0, v0
	v_rcp_f32_e32 v0, v0
	v_fma_f32 v1, v0, -2.0, 1.0
.LBB61_11:                              ;   in Loop: Header=BB61_9 Depth=1
	s_andn2_saveexec_b64 s[8:9], s[8:9]
; %bb.12:                               ;   in Loop: Header=BB61_9 Depth=1
	v_mul_f32_e32 v0, v59, v59
	v_mov_b32_e32 v1, 0x3ca908c9
	v_fmac_f32_e32 v1, 0xbbbac73d, v0
	v_fma_f32 v1, v0, v1, v42
	v_fma_f32 v1, v0, v1, v43
	;; [unrolled: 1-line block ×3, first 2 shown]
	v_mul_f32_e64 v1, |v59|, v1
	v_fma_f32 v1, v0, v1, |v59|
; %bb.13:                               ;   in Loop: Header=BB61_9 Depth=1
	s_or_b64 exec, exec, s[8:9]
	v_and_b32_e32 v0, 0x60, v13
	v_add_u32_e32 v60, 32, v0
	v_xor_b32_e32 v61, 16, v13
	v_bfi_b32 v1, s27, v1, v59
	v_cmp_lt_i32_e32 vcc, v61, v60
	s_waitcnt vmcnt(0) lgkmcnt(0)
	v_fma_mix_f32 v3, v1, s14, v69 op_sel_hi:[0,0,1]
	v_cndmask_b32_e32 v0, v13, v61, vcc
	v_add_f32_e32 v1, 0x40051340, v3
	v_max_f32_e32 v2, v52, v52
	v_lshlrev_b32_e32 v0, 2, v0
	v_max_f32_e32 v1, v2, v1
	ds_bpermute_b32 v2, v0, v1
	v_xor_b32_e32 v63, 8, v13
	v_cmp_lt_i32_e32 vcc, v63, v60
	v_cndmask_b32_e32 v59, v13, v63, vcc
	v_lshlrev_b32_e32 v66, 2, v59
	s_waitcnt lgkmcnt(0)
	v_max_f32_e32 v2, v2, v2
	v_max_f32_e32 v1, v1, v2
	ds_bpermute_b32 v59, v66, v1
	v_xor_b32_e32 v64, 4, v13
	v_cmp_lt_i32_e32 vcc, v64, v60
	v_cndmask_b32_e32 v2, v13, v64, vcc
	v_lshlrev_b32_e32 v2, 2, v2
	s_waitcnt lgkmcnt(0)
	v_max_f32_e32 v59, v59, v59
	;; [unrolled: 8-line block ×4, first 2 shown]
	v_max_f32_e32 v67, v67, v68
	ds_bpermute_b32 v68, v65, v67
	v_cmp_nlt_f32_e64 s[8:9], |v58|, s19
                                        ; implicit-def: $vgpr70
	s_and_saveexec_b64 s[36:37], s[8:9]
	s_xor_b64 s[8:9], exec, s[36:37]
	s_cbranch_execz .LBB61_15
; %bb.14:                               ;   in Loop: Header=BB61_9 Depth=1
	v_add_f32_e64 v70, |v58|, |v58|
	v_mul_f32_e32 v71, 0x3fb8aa3b, v70
	v_rndne_f32_e32 v72, v71
	v_sub_f32_e32 v73, v71, v72
	v_fma_f32 v71, v70, s24, -v71
	v_fmac_f32_e32 v71, 0x32a5705f, v70
	v_add_f32_e32 v71, v73, v71
	v_cvt_i32_f32_e32 v72, v72
	v_exp_f32_e32 v71, v71
	v_cmp_ngt_f32_e32 vcc, s25, v70
	v_ldexp_f32 v71, v71, v72
	v_cndmask_b32_e32 v71, 0, v71, vcc
	v_cmp_nlt_f32_e32 vcc, s26, v70
	v_cndmask_b32_e32 v70, v45, v71, vcc
	v_add_f32_e32 v70, 1.0, v70
	v_rcp_f32_e32 v70, v70
	v_fma_f32 v70, v70, -2.0, 1.0
.LBB61_15:                              ;   in Loop: Header=BB61_9 Depth=1
	s_andn2_saveexec_b64 s[8:9], s[8:9]
; %bb.16:                               ;   in Loop: Header=BB61_9 Depth=1
	v_mul_f32_e32 v70, v58, v58
	v_mov_b32_e32 v71, 0x3ca908c9
	v_fmac_f32_e32 v71, 0xbbbac73d, v70
	v_fma_f32 v71, v70, v71, v42
	v_fma_f32 v71, v70, v71, v43
	;; [unrolled: 1-line block ×3, first 2 shown]
	v_mul_f32_e64 v71, |v58|, v71
	v_fma_f32 v70, v70, v71, |v58|
; %bb.17:                               ;   in Loop: Header=BB61_9 Depth=1
	s_or_b64 exec, exec, s[8:9]
	v_cvt_f32_f16_e32 v69, v69
	v_bfi_b32 v58, s27, v70, v58
	v_max_f32_e32 v71, v53, v53
	v_cmp_nlt_f32_e64 s[8:9], |v57|, s19
	v_fma_f32 v58, s14, v58, v69
	v_add_f32_e32 v70, 0x40051340, v58
	v_max_f32_e32 v70, v71, v70
	ds_bpermute_b32 v71, v0, v70
                                        ; implicit-def: $vgpr72
	s_waitcnt lgkmcnt(0)
	v_max_f32_e32 v71, v71, v71
	v_max_f32_e32 v70, v70, v71
	ds_bpermute_b32 v71, v66, v70
	s_waitcnt lgkmcnt(0)
	v_max_f32_e32 v71, v71, v71
	v_max_f32_e32 v70, v70, v71
	ds_bpermute_b32 v71, v2, v70
	;; [unrolled: 4-line block ×4, first 2 shown]
	s_and_saveexec_b64 s[36:37], s[8:9]
	s_xor_b64 s[8:9], exec, s[36:37]
	s_cbranch_execz .LBB61_19
; %bb.18:                               ;   in Loop: Header=BB61_9 Depth=1
	v_add_f32_e64 v72, |v57|, |v57|
	v_mul_f32_e32 v73, 0x3fb8aa3b, v72
	v_rndne_f32_e32 v74, v73
	v_sub_f32_e32 v75, v73, v74
	v_fma_f32 v73, v72, s24, -v73
	v_fmac_f32_e32 v73, 0x32a5705f, v72
	v_add_f32_e32 v73, v75, v73
	v_cvt_i32_f32_e32 v74, v74
	v_exp_f32_e32 v73, v73
	v_cmp_ngt_f32_e32 vcc, s25, v72
	v_ldexp_f32 v73, v73, v74
	v_cndmask_b32_e32 v73, 0, v73, vcc
	v_cmp_nlt_f32_e32 vcc, s26, v72
	v_cndmask_b32_e32 v72, v45, v73, vcc
	v_add_f32_e32 v72, 1.0, v72
	v_rcp_f32_e32 v72, v72
	v_fma_f32 v72, v72, -2.0, 1.0
.LBB61_19:                              ;   in Loop: Header=BB61_9 Depth=1
	s_andn2_saveexec_b64 s[8:9], s[8:9]
; %bb.20:                               ;   in Loop: Header=BB61_9 Depth=1
	v_mul_f32_e32 v72, v57, v57
	v_mov_b32_e32 v73, 0x3ca908c9
	v_fmac_f32_e32 v73, 0xbbbac73d, v72
	v_fma_f32 v73, v72, v73, v42
	v_fma_f32 v73, v72, v73, v43
	;; [unrolled: 1-line block ×3, first 2 shown]
	v_mul_f32_e64 v73, |v57|, v73
	v_fma_f32 v72, v72, v73, |v57|
; %bb.21:                               ;   in Loop: Header=BB61_9 Depth=1
	s_or_b64 exec, exec, s[8:9]
	v_bfi_b32 v57, s27, v72, v57
	v_fma_f32 v57, s14, v57, v69
	v_add_f32_e32 v72, 0x40051340, v57
	v_max_f32_e32 v73, v54, v54
	v_max_f32_e32 v72, v73, v72
	ds_bpermute_b32 v73, v0, v72
	v_cmp_nlt_f32_e64 s[8:9], |v56|, s19
                                        ; implicit-def: $vgpr74
	s_waitcnt lgkmcnt(0)
	v_max_f32_e32 v73, v73, v73
	v_max_f32_e32 v72, v72, v73
	ds_bpermute_b32 v73, v66, v72
	s_waitcnt lgkmcnt(0)
	v_max_f32_e32 v73, v73, v73
	v_max_f32_e32 v72, v72, v73
	ds_bpermute_b32 v73, v2, v72
	;; [unrolled: 4-line block ×4, first 2 shown]
	s_and_saveexec_b64 s[36:37], s[8:9]
	s_xor_b64 s[8:9], exec, s[36:37]
	s_cbranch_execz .LBB61_23
; %bb.22:                               ;   in Loop: Header=BB61_9 Depth=1
	v_add_f32_e64 v74, |v56|, |v56|
	v_mul_f32_e32 v75, 0x3fb8aa3b, v74
	v_rndne_f32_e32 v76, v75
	v_sub_f32_e32 v77, v75, v76
	v_fma_f32 v75, v74, s24, -v75
	v_fmac_f32_e32 v75, 0x32a5705f, v74
	v_add_f32_e32 v75, v77, v75
	v_cvt_i32_f32_e32 v76, v76
	v_exp_f32_e32 v75, v75
	v_cmp_ngt_f32_e32 vcc, s25, v74
	v_ldexp_f32 v75, v75, v76
	v_cndmask_b32_e32 v75, 0, v75, vcc
	v_cmp_nlt_f32_e32 vcc, s26, v74
	v_cndmask_b32_e32 v74, v45, v75, vcc
	v_add_f32_e32 v74, 1.0, v74
	v_rcp_f32_e32 v74, v74
	v_fma_f32 v74, v74, -2.0, 1.0
.LBB61_23:                              ;   in Loop: Header=BB61_9 Depth=1
	s_andn2_saveexec_b64 s[8:9], s[8:9]
; %bb.24:                               ;   in Loop: Header=BB61_9 Depth=1
	v_mul_f32_e32 v74, v56, v56
	v_mov_b32_e32 v75, 0x3ca908c9
	v_fmac_f32_e32 v75, 0xbbbac73d, v74
	v_fma_f32 v75, v74, v75, v42
	v_fma_f32 v75, v74, v75, v43
	;; [unrolled: 1-line block ×3, first 2 shown]
	v_mul_f32_e64 v75, |v56|, v75
	v_fma_f32 v74, v74, v75, |v56|
; %bb.25:                               ;   in Loop: Header=BB61_9 Depth=1
	s_or_b64 exec, exec, s[8:9]
	v_bfi_b32 v56, s27, v74, v56
	v_fmac_f32_e32 v69, s14, v56
	v_add_f32_e32 v56, 0x40051340, v69
	v_max_f32_e32 v74, v55, v55
	v_max_f32_e32 v56, v74, v56
	ds_bpermute_b32 v0, v0, v56
	s_mul_hi_i32 s9, s6, s15
	s_mul_i32 s8, s6, s15
	s_lshl_b64 s[8:9], s[8:9], 2
	s_add_u32 s8, s12, s8
	s_waitcnt lgkmcnt(0)
	v_max_f32_e32 v0, v0, v0
	v_max_f32_e32 v0, v56, v0
	ds_bpermute_b32 v56, v66, v0
	v_max_f32_e32 v66, v68, v68
	v_max_f32_e32 v68, v70, v70
	;; [unrolled: 1-line block ×3, first 2 shown]
	s_addc_u32 s9, s13, s9
	s_waitcnt lgkmcnt(0)
	v_max_f32_e32 v56, v56, v56
	v_max_f32_e32 v0, v0, v56
	ds_bpermute_b32 v2, v2, v0
	v_max_f32_e32 v56, v67, v67
	v_max_f32_e32 v67, v71, v71
	s_waitcnt lgkmcnt(0)
	s_barrier
	v_max_f32_e32 v2, v2, v2
	v_max_f32_e32 v71, v0, v2
	ds_bpermute_b32 v73, v1, v71
	v_max_f32_e32 v0, v56, v66
	v_max_f32_e32 v1, v68, v67
	v_sub_f32_e32 v67, v3, v0
	v_max_f32_e32 v2, v72, v72
	s_waitcnt lgkmcnt(0)
	v_max_f32_e32 v56, v73, v73
	v_max_f32_e32 v56, v71, v56
	ds_bpermute_b32 v65, v65, v56
	v_max_f32_e32 v2, v2, v70
	v_sub_f32_e32 v66, v57, v2
	v_mul_f32_e32 v57, 0x3fb8aa3b, v67
	v_rndne_f32_e32 v70, v57
	s_waitcnt lgkmcnt(0)
	v_max_f32_e32 v3, v65, v65
	v_max_f32_e32 v3, v56, v3
	v_sub_f32_e32 v56, v69, v3
	v_mul_f32_e32 v65, 0x3fb8aa3b, v56
	v_fma_f32 v68, v56, s24, -v65
	v_rndne_f32_e32 v69, v65
	v_fmac_f32_e32 v68, 0x32a5705f, v56
	v_sub_f32_e32 v65, v65, v69
	v_add_f32_e32 v65, v65, v68
	v_cvt_i32_f32_e32 v69, v69
	v_exp_f32_e32 v65, v65
	v_fma_f32 v68, v67, s24, -v57
	v_fmac_f32_e32 v68, 0x32a5705f, v67
	v_sub_f32_e32 v57, v57, v70
	v_add_f32_e32 v57, v57, v68
	v_ldexp_f32 v65, v65, v69
	v_exp_f32_e32 v68, v57
	v_cvt_i32_f32_e32 v69, v70
	v_sub_f32_e32 v58, v58, v1
	v_cmp_ngt_f32_e32 vcc, s25, v56
	v_cndmask_b32_e32 v57, 0, v65, vcc
	v_mul_f32_e32 v65, 0x3fb8aa3b, v58
	v_cmp_nlt_f32_e32 vcc, s26, v56
	v_ldexp_f32 v56, v68, v69
	v_fma_f32 v68, v58, s24, -v65
	v_rndne_f32_e32 v69, v65
	v_fmac_f32_e32 v68, 0x32a5705f, v58
	v_sub_f32_e32 v65, v65, v69
	v_add_f32_e32 v65, v65, v68
	v_exp_f32_e32 v65, v65
	v_cvt_i32_f32_e32 v68, v69
	v_cndmask_b32_e32 v57, v45, v57, vcc
	v_cmp_ngt_f32_e32 vcc, s25, v67
	v_cndmask_b32_e32 v56, 0, v56, vcc
	v_cmp_nlt_f32_e32 vcc, s26, v67
	v_cndmask_b32_e32 v70, v45, v56, vcc
	v_ldexp_f32 v56, v65, v68
	v_mul_f32_e32 v65, 0x3fb8aa3b, v66
	v_fma_f32 v67, v66, s24, -v65
	v_rndne_f32_e32 v68, v65
	v_fmac_f32_e32 v67, 0x32a5705f, v66
	v_sub_f32_e32 v65, v65, v68
	v_add_f32_e32 v65, v65, v67
	v_exp_f32_e32 v65, v65
	v_cvt_i32_f32_e32 v67, v68
	v_cmp_ngt_f32_e32 vcc, s25, v58
	v_cndmask_b32_e32 v56, 0, v56, vcc
	v_cmp_nlt_f32_e32 vcc, s26, v58
	v_cndmask_b32_e32 v71, v45, v56, vcc
	v_ldexp_f32 v56, v65, v67
	v_cmp_ngt_f32_e32 vcc, s25, v66
	v_cndmask_b32_e32 v56, 0, v56, vcc
	v_cmp_nlt_f32_e32 vcc, s26, v66
	v_cndmask_b32_e32 v56, v45, v56, vcc
	v_sub_f32_e32 v76, v52, v0
	v_sub_f32_e32 v77, v53, v1
	v_mov_b32_e32 v52, s9
	v_add_co_u32_e32 v53, vcc, s8, v18
	v_addc_co_u32_e32 v52, vcc, v52, v19, vcc
	v_add_co_u32_e32 v72, vcc, v53, v37
	v_addc_co_u32_e32 v73, vcc, 0, v52, vcc
	v_mov_b32_e32 v52, s9
	v_add_co_u32_e32 v53, vcc, s8, v20
	v_addc_co_u32_e32 v52, vcc, v52, v21, vcc
	v_add_co_u32_e32 v74, vcc, v53, v37
	v_sub_f32_e32 v58, v55, v3
	v_sub_f32_e32 v65, v54, v2
	v_addc_co_u32_e32 v75, vcc, 0, v52, vcc
	global_load_dwordx4 v[52:55], v[72:73], off
	global_load_dwordx4 v[66:69], v[74:75], off
	v_mul_f32_e32 v72, 0x3fb8aa3b, v77
	v_fma_f32 v73, v77, s24, -v72
	v_rndne_f32_e32 v74, v72
	v_fmac_f32_e32 v73, 0x32a5705f, v77
	v_sub_f32_e32 v72, v72, v74
	v_add_f32_e32 v72, v72, v73
	v_cvt_i32_f32_e32 v73, v74
	v_mul_f32_e32 v74, 0x3fb8aa3b, v76
	v_fma_f32 v75, v76, s24, -v74
	v_rndne_f32_e32 v78, v74
	v_fmac_f32_e32 v75, 0x32a5705f, v76
	v_sub_f32_e32 v74, v74, v78
	v_exp_f32_e32 v72, v72
	v_add_f32_e32 v74, v74, v75
	v_exp_f32_e32 v74, v74
	v_cvt_i32_f32_e32 v75, v78
	v_ldexp_f32 v72, v72, v73
	v_cmp_ngt_f32_e32 vcc, s25, v77
	v_cndmask_b32_e32 v73, 0, v72, vcc
	v_ldexp_f32 v72, v74, v75
	v_cmp_ngt_f32_e32 vcc, s25, v76
	v_cndmask_b32_e32 v72, 0, v72, vcc
	v_cmp_nlt_f32_e32 vcc, s26, v76
	v_mul_f32_e32 v75, 0x3fb8aa3b, v58
	v_cndmask_b32_e32 v72, v45, v72, vcc
	v_cmp_nlt_f32_e32 vcc, s26, v77
	v_fma_f32 v77, v58, s24, -v75
	v_rndne_f32_e32 v82, v75
	v_fmac_f32_e32 v77, 0x32a5705f, v58
	v_sub_f32_e32 v75, v75, v82
	v_cndmask_b32_e32 v73, v45, v73, vcc
	v_add_f32_e32 v75, v75, v77
	v_cvt_f16_f32_e32 v79, v73
	v_exp_f32_e32 v77, v75
	v_mul_f32_e32 v75, 0x3fb8aa3b, v65
	v_fma_f32 v83, v65, s24, -v75
	v_rndne_f32_e32 v84, v75
	v_fmac_f32_e32 v83, 0x32a5705f, v65
	v_sub_f32_e32 v75, v75, v84
	v_add_f32_e32 v75, v75, v83
	v_pk_mul_f16 v80, v79, v28 op_sel_hi:[0,1]
	v_pk_mul_f16 v81, v79, v26 op_sel_hi:[0,1]
	v_cvt_f16_f32_e32 v26, v57
	v_cvt_f16_f32_e32 v28, v56
	v_exp_f32_e32 v83, v75
	v_cvt_i32_f32_e32 v84, v84
	v_cvt_f16_f32_e32 v74, v71
	v_cvt_f16_f32_e32 v76, v70
	v_cvt_i32_f32_e32 v82, v82
	v_pack_b32_f16 v75, v28, v26
	v_ldexp_f32 v28, v83, v84
	v_cmp_ngt_f32_e32 vcc, s25, v65
	v_cndmask_b32_e32 v28, 0, v28, vcc
	v_cmp_nlt_f32_e32 vcc, s26, v65
	v_pack_b32_f16 v74, v76, v74
	v_ldexp_f32 v26, v77, v82
	v_cndmask_b32_e32 v76, v45, v28, vcc
	v_cmp_ngt_f32_e32 vcc, s25, v58
	v_cvt_f16_f32_e32 v65, v76
	v_cndmask_b32_e32 v26, 0, v26, vcc
	v_cmp_nlt_f32_e32 vcc, s26, v58
	v_cndmask_b32_e32 v77, v45, v26, vcc
	v_cvt_f16_f32_e32 v82, v77
	v_pk_mul_f16 v58, v65, v24 op_sel_hi:[0,1]
	v_add_u32_e32 v24, v35, v36
	ds_write_b64 v24, v[74:75]
	s_waitcnt vmcnt(1)
	ds_write_b128 v38, v[52:55]
	s_waitcnt vmcnt(0)
	ds_write_b128 v39, v[66:69]
	v_add_u32_e32 v24, 0x4000, v36
	v_pk_fma_f32 v[6:7], v[6:7], v[76:77], v[56:57]
	v_pk_mul_f16 v56, v82, v29 op_sel_hi:[0,1]
	v_pk_mul_f16 v57, v82, v27 op_sel_hi:[0,1]
	s_waitcnt lgkmcnt(0)
	s_barrier
	ds_read2_b64 v[26:29], v24 offset1:32
	ds_read_b128 v[52:55], v35
	v_cvt_f16_f32_e32 v78, v72
	v_pk_mul_f16 v10, v82, v10 op_sel_hi:[0,1]
	v_pk_mul_f16 v25, v82, v25 op_sel_hi:[0,1]
	;; [unrolled: 1-line block ×3, first 2 shown]
	s_waitcnt lgkmcnt(0)
	v_pk_mul_f16 v82, v26, v52 op_sel_hi:[1,0]
	v_pk_mul_f16 v32, v78, v32 op_sel_hi:[0,1]
	;; [unrolled: 1-line block ×4, first 2 shown]
	v_pk_fma_f16 v50, v78, v50, v82 op_sel_hi:[0,1,1]
	v_pk_mul_f16 v78, v26, v52 op_sel:[0,1]
	v_pk_mul_f16 v47, v65, v47 op_sel_hi:[0,1]
	v_pk_fma_f16 v78, v79, v48, v78 op_sel_hi:[0,1,1]
	v_pk_mul_f16 v48, v26, v53 op_sel_hi:[1,0]
	v_pk_mul_f16 v22, v65, v22 op_sel_hi:[0,1]
	v_pk_fma_f32 v[8:9], v[8:9], v[72:73], v[70:71]
	ds_read_b128 v[66:69], v35 offset:16
	ds_read_b128 v[70:73], v35 offset:32
	;; [unrolled: 1-line block ×3, first 2 shown]
	v_pk_fma_f16 v65, v65, v46, v48 op_sel_hi:[0,1,1]
	v_pk_fma_f16 v26, v26, v53, v56 op_sel:[0,1,0]
	v_pk_fma_f16 v32, v27, v52, v32 op_sel_hi:[1,0,1]
	v_pk_fma_f16 v56, v27, v52, v80 op_sel:[0,1,0]
	;; [unrolled: 2-line block ×4, first 2 shown]
	v_pk_fma_f16 v79, v28, v53, v47 op_sel_hi:[1,0,1]
	ds_read2_b64 v[46:49], v24 offset0:64 offset1:96
	v_pk_fma_f16 v28, v28, v53, v57 op_sel:[0,1,0]
	v_pk_fma_f16 v30, v29, v52, v30 op_sel_hi:[1,0,1]
	v_pk_fma_f16 v52, v29, v52, v81 op_sel:[0,1,0]
	v_pk_fma_f16 v22, v29, v53, v22 op_sel_hi:[1,0,1]
	v_pk_fma_f16 v25, v29, v53, v25 op_sel:[0,1,0]
	s_waitcnt lgkmcnt(0)
	v_pk_fma_f16 v50, v46, v54, v50 op_sel_hi:[1,0,1]
	v_pk_fma_f16 v53, v46, v54, v78 op_sel:[0,1,0]
	v_pk_fma_f16 v57, v46, v55, v65 op_sel_hi:[1,0,1]
	v_pk_fma_f16 v46, v46, v55, v26 op_sel:[0,1,0]
	;; [unrolled: 2-line block ×6, first 2 shown]
	ds_read2_b64 v[26:29], v24 offset0:128 offset1:160
	v_pk_fma_f16 v30, v49, v54, v30 op_sel_hi:[1,0,1]
	v_pk_fma_f16 v52, v49, v54, v52 op_sel:[0,1,0]
	v_pk_fma_f16 v22, v49, v55, v22 op_sel_hi:[1,0,1]
	v_pk_fma_f16 v25, v49, v55, v25 op_sel:[0,1,0]
	s_waitcnt lgkmcnt(0)
	v_pk_fma_f16 v50, v26, v66, v50 op_sel_hi:[1,0,1]
	v_pk_fma_f16 v53, v26, v66, v53 op_sel:[0,1,0]
	v_pk_fma_f16 v54, v26, v67, v57 op_sel_hi:[1,0,1]
	v_pk_fma_f16 v26, v26, v67, v46 op_sel:[0,1,0]
	;; [unrolled: 2-line block ×6, first 2 shown]
	ds_read2_b64 v[46:49], v24 offset0:192 offset1:224
	v_pk_fma_f16 v58, v29, v67, v25 op_sel:[0,1,0]
	v_add_u32_e32 v25, 0x4800, v36
	v_pk_fma_f16 v30, v29, v66, v30 op_sel_hi:[1,0,1]
	v_pk_fma_f16 v52, v29, v66, v52 op_sel:[0,1,0]
	v_pk_fma_f16 v22, v29, v67, v22 op_sel_hi:[1,0,1]
	s_waitcnt lgkmcnt(0)
	v_pk_fma_f16 v50, v46, v68, v50 op_sel_hi:[1,0,1]
	v_pk_fma_f16 v53, v46, v68, v53 op_sel:[0,1,0]
	v_pk_fma_f16 v54, v46, v69, v54 op_sel_hi:[1,0,1]
	v_pk_fma_f16 v46, v46, v69, v26 op_sel:[0,1,0]
	;; [unrolled: 2-line block ×6, first 2 shown]
	ds_read2_b64 v[26:29], v25 offset1:32
	v_pk_fma_f16 v30, v49, v68, v30 op_sel_hi:[1,0,1]
	v_pk_fma_f16 v52, v49, v68, v52 op_sel:[0,1,0]
	v_pk_fma_f16 v22, v49, v69, v22 op_sel_hi:[1,0,1]
	v_pk_fma_f16 v58, v49, v69, v58 op_sel:[0,1,0]
	s_waitcnt lgkmcnt(0)
	v_pk_fma_f16 v50, v26, v70, v50 op_sel_hi:[1,0,1]
	v_pk_fma_f16 v53, v26, v70, v53 op_sel:[0,1,0]
	v_pk_fma_f16 v54, v26, v71, v54 op_sel_hi:[1,0,1]
	v_pk_fma_f16 v26, v26, v71, v46 op_sel:[0,1,0]
	v_pk_fma_f16 v32, v27, v70, v32 op_sel_hi:[1,0,1]
	v_pk_fma_f16 v55, v27, v70, v55 op_sel:[0,1,0]
	v_pk_fma_f16 v56, v27, v71, v56 op_sel_hi:[1,0,1]
	v_pk_fma_f16 v10, v27, v71, v10 op_sel:[0,1,0]
	v_pk_fma_f16 v27, v28, v70, v47 op_sel_hi:[1,0,1]
	v_pk_fma_f16 v51, v28, v70, v51 op_sel:[0,1,0]
	v_pk_fma_f16 v57, v28, v71, v57 op_sel_hi:[1,0,1]
	v_pk_fma_f16 v28, v28, v71, v48 op_sel:[0,1,0]
	ds_read2_b64 v[46:49], v25 offset0:64 offset1:96
	v_pk_fma_f16 v30, v29, v70, v30 op_sel_hi:[1,0,1]
	v_pk_fma_f16 v52, v29, v70, v52 op_sel:[0,1,0]
	v_pk_fma_f16 v22, v29, v71, v22 op_sel_hi:[1,0,1]
	v_pk_fma_f16 v58, v29, v71, v58 op_sel:[0,1,0]
	s_waitcnt lgkmcnt(0)
	v_pk_fma_f16 v50, v46, v72, v50 op_sel_hi:[1,0,1]
	v_pk_fma_f16 v53, v46, v72, v53 op_sel:[0,1,0]
	v_pk_fma_f16 v54, v46, v73, v54 op_sel_hi:[1,0,1]
	v_pk_fma_f16 v46, v46, v73, v26 op_sel:[0,1,0]
	v_pk_fma_f16 v32, v47, v72, v32 op_sel_hi:[1,0,1]
	v_pk_fma_f16 v55, v47, v72, v55 op_sel:[0,1,0]
	v_pk_fma_f16 v56, v47, v73, v56 op_sel_hi:[1,0,1]
	v_pk_fma_f16 v10, v47, v73, v10 op_sel:[0,1,0]
	v_pk_fma_f16 v47, v48, v72, v27 op_sel_hi:[1,0,1]
	v_pk_fma_f16 v51, v48, v72, v51 op_sel:[0,1,0]
	v_pk_fma_f16 v57, v48, v73, v57 op_sel_hi:[1,0,1]
	v_pk_fma_f16 v48, v48, v73, v28 op_sel:[0,1,0]
	ds_read2_b64 v[26:29], v25 offset0:128 offset1:160
	;; [unrolled: 18-line block ×3, first 2 shown]
	v_pk_fma_f16 v30, v29, v74, v30 op_sel_hi:[1,0,1]
	v_pk_fma_f16 v65, v29, v74, v52 op_sel:[0,1,0]
	v_pk_fma_f16 v22, v29, v75, v22 op_sel_hi:[1,0,1]
	v_pk_fma_f16 v58, v29, v75, v58 op_sel:[0,1,0]
	s_waitcnt lgkmcnt(0)
	v_pk_fma_f16 v69, v47, v77, v10 op_sel:[0,1,0]
	v_add_u32_e32 v10, 0x5000, v36
	v_pk_fma_f16 v66, v46, v76, v50 op_sel_hi:[1,0,1]
	v_pk_fma_f16 v67, v46, v76, v53 op_sel:[0,1,0]
	v_pk_fma_f16 v68, v46, v77, v26 op_sel:[0,1,0]
	v_pk_fma_f16 v70, v48, v76, v27 op_sel_hi:[1,0,1]
	v_pk_fma_f16 v71, v48, v76, v51 op_sel:[0,1,0]
	v_pk_fma_f16 v72, v48, v77, v28 op_sel:[0,1,0]
	ds_read2_b64 v[26:29], v10 offset1:32
	ds_read_b128 v[50:53], v35 offset:64
	v_pk_fma_f16 v54, v46, v77, v54 op_sel_hi:[1,0,1]
	v_pk_fma_f16 v32, v47, v76, v32 op_sel_hi:[1,0,1]
	v_pk_fma_f16 v55, v47, v76, v55 op_sel:[0,1,0]
	v_pk_fma_f16 v56, v47, v77, v56 op_sel_hi:[1,0,1]
	v_pk_fma_f16 v57, v48, v77, v57 op_sel_hi:[1,0,1]
	s_waitcnt lgkmcnt(0)
	v_pk_fma_f16 v66, v26, v50, v66 op_sel_hi:[1,0,1]
	v_pk_fma_f16 v67, v26, v50, v67 op_sel:[0,1,0]
	v_pk_fma_f16 v73, v26, v51, v54 op_sel_hi:[1,0,1]
	v_pk_fma_f16 v26, v26, v51, v68 op_sel:[0,1,0]
	;; [unrolled: 2-line block ×5, first 2 shown]
	v_pk_fma_f16 v71, v28, v51, v57 op_sel_hi:[1,0,1]
	ds_read2_b64 v[54:57], v10 offset0:64 offset1:96
	v_pk_fma_f16 v30, v49, v76, v30 op_sel_hi:[1,0,1]
	v_pk_fma_f16 v65, v49, v76, v65 op_sel:[0,1,0]
	v_pk_fma_f16 v22, v49, v77, v22 op_sel_hi:[1,0,1]
	v_pk_fma_f16 v58, v49, v77, v58 op_sel:[0,1,0]
	v_pk_fma_f16 v28, v28, v51, v72 op_sel:[0,1,0]
	ds_read_b128 v[46:49], v35 offset:80
	v_pk_fma_f16 v30, v29, v50, v30 op_sel_hi:[1,0,1]
	v_pk_fma_f16 v50, v29, v50, v65 op_sel:[0,1,0]
	v_pk_fma_f16 v22, v29, v51, v22 op_sel_hi:[1,0,1]
	v_pk_fma_f16 v51, v29, v51, v58 op_sel:[0,1,0]
	s_waitcnt lgkmcnt(1)
	v_pk_fma_f16 v58, v54, v52, v66 op_sel_hi:[1,0,1]
	v_pk_fma_f16 v65, v54, v52, v67 op_sel:[0,1,0]
	v_pk_fma_f16 v66, v54, v53, v73 op_sel_hi:[1,0,1]
	v_pk_fma_f16 v54, v54, v53, v26 op_sel:[0,1,0]
	;; [unrolled: 2-line block ×6, first 2 shown]
	ds_read2_b64 v[26:29], v10 offset0:128 offset1:160
	s_or_b32 s8, s6, 16
	s_mul_hi_i32 s9, s8, s15
	s_mul_i32 s8, s8, s15
	s_lshl_b64 s[8:9], s[8:9], 2
	s_add_u32 s8, s12, s8
	v_pk_fma_f16 v30, v57, v52, v30 op_sel_hi:[1,0,1]
	v_pk_fma_f16 v72, v57, v52, v50 op_sel:[0,1,0]
	v_pk_fma_f16 v22, v57, v53, v22 op_sel_hi:[1,0,1]
	v_pk_fma_f16 v57, v57, v53, v51 op_sel:[0,1,0]
	s_addc_u32 s9, s13, s9
	s_waitcnt lgkmcnt(0)
	v_pk_fma_f16 v58, v26, v46, v58 op_sel_hi:[1,0,1]
	v_pk_fma_f16 v65, v26, v46, v65 op_sel:[0,1,0]
	v_pk_fma_f16 v92, v26, v47, v66 op_sel_hi:[1,0,1]
	v_pk_fma_f16 v93, v26, v47, v54 op_sel:[0,1,0]
	;; [unrolled: 2-line block ×8, first 2 shown]
	v_mov_b32_e32 v46, s9
	v_add_co_u32_e32 v47, vcc, s8, v18
	v_addc_co_u32_e32 v82, vcc, v46, v19, vcc
	v_add_co_u32_e32 v46, vcc, v47, v37
	v_addc_co_u32_e32 v47, vcc, 0, v82, vcc
	v_mov_b32_e32 v82, s9
	v_add_co_u32_e32 v83, vcc, s8, v20
	v_addc_co_u32_e32 v82, vcc, v82, v21, vcc
	v_add_u32_e32 v22, 0x5800, v36
	v_add_co_u32_e32 v90, vcc, v83, v37
	ds_read2_b64 v[50:53], v10 offset0:192 offset1:224
	ds_read2_b64 v[26:29], v22 offset1:32
	ds_read2_b64 v[54:57], v22 offset0:64 offset1:96
	ds_read2_b64 v[66:69], v22 offset0:128 offset1:160
	ds_read_b128 v[70:73], v35 offset:96
	ds_read_b128 v[74:77], v35 offset:112
	ds_read2_b64 v[78:81], v22 offset0:192 offset1:224
	s_waitcnt lgkmcnt(0)
	s_barrier
	v_addc_co_u32_e32 v91, vcc, 0, v82, vcc
	global_load_dwordx4 v[82:85], v[46:47], off
	global_load_dwordx4 v[86:89], v[90:91], off
	v_pk_fma_f16 v58, v50, v48, v58 op_sel_hi:[1,0,1]
	v_pk_fma_f16 v46, v50, v48, v65 op_sel:[0,1,0]
	v_pk_fma_f16 v47, v50, v49, v92 op_sel_hi:[1,0,1]
	v_pk_fma_f16 v50, v50, v49, v93 op_sel:[0,1,0]
	;; [unrolled: 2-line block ×39, first 2 shown]
	s_waitcnt vmcnt(1)
	ds_write_b128 v38, v[82:85]
	s_waitcnt vmcnt(0)
	ds_write_b128 v39, v[86:89]
	s_waitcnt lgkmcnt(0)
	s_barrier
	ds_read2_b64 v[26:29], v24 offset1:32
	ds_read_b128 v[46:49], v35 offset:128
	v_pk_fma_f16 v90, v81, v77, v52 op_sel_hi:[1,0,1]
	v_pk_fma_f16 v77, v81, v77, v56 op_sel:[0,1,0]
	ds_read_b128 v[50:53], v35 offset:144
	ds_read_b128 v[54:57], v35 offset:160
	;; [unrolled: 1-line block ×3, first 2 shown]
	s_waitcnt lgkmcnt(3)
	v_pk_fma_f16 v58, v26, v46, v58 op_sel_hi:[1,0,1]
	v_pk_fma_f16 v65, v26, v46, v65 op_sel:[0,1,0]
	v_pk_fma_f16 v81, v26, v47, v70 op_sel_hi:[1,0,1]
	v_pk_fma_f16 v26, v26, v47, v71 op_sel:[0,1,0]
	v_pk_fma_f16 v82, v27, v46, v72 op_sel:[0,1,0]
	v_pk_fma_f16 v83, v27, v47, v73 op_sel_hi:[1,0,1]
	ds_read2_b64 v[70:73], v24 offset0:64 offset1:96
	v_pk_fma_f16 v32, v27, v46, v32 op_sel_hi:[1,0,1]
	v_pk_fma_f16 v27, v27, v47, v74 op_sel:[0,1,0]
	v_pk_fma_f16 v74, v28, v46, v75 op_sel_hi:[1,0,1]
	v_pk_fma_f16 v75, v28, v46, v78 op_sel:[0,1,0]
	;; [unrolled: 2-line block ×5, first 2 shown]
	s_waitcnt lgkmcnt(0)
	v_pk_fma_f16 v58, v70, v48, v58 op_sel_hi:[1,0,1]
	v_pk_fma_f16 v65, v70, v48, v65 op_sel:[0,1,0]
	v_pk_fma_f16 v77, v70, v49, v81 op_sel_hi:[1,0,1]
	v_pk_fma_f16 v70, v70, v49, v26 op_sel:[0,1,0]
	;; [unrolled: 2-line block ×6, first 2 shown]
	ds_read2_b64 v[26:29], v24 offset0:128 offset1:160
	v_pk_fma_f16 v30, v73, v48, v30 op_sel_hi:[1,0,1]
	v_pk_fma_f16 v81, v73, v48, v46 op_sel:[0,1,0]
	v_pk_fma_f16 v76, v73, v49, v76 op_sel_hi:[1,0,1]
	v_pk_fma_f16 v73, v73, v49, v47 op_sel:[0,1,0]
	ds_read2_b64 v[46:49], v24 offset0:192 offset1:224
	s_waitcnt lgkmcnt(1)
	v_pk_fma_f16 v58, v26, v50, v58 op_sel_hi:[1,0,1]
	v_pk_fma_f16 v65, v26, v50, v65 op_sel:[0,1,0]
	v_pk_fma_f16 v77, v26, v51, v77 op_sel_hi:[1,0,1]
	v_pk_fma_f16 v26, v26, v51, v70 op_sel:[0,1,0]
	;; [unrolled: 2-line block ×8, first 2 shown]
	s_waitcnt lgkmcnt(0)
	v_pk_fma_f16 v58, v46, v52, v58 op_sel_hi:[1,0,1]
	v_pk_fma_f16 v65, v46, v52, v65 op_sel:[0,1,0]
	v_pk_fma_f16 v72, v46, v53, v77 op_sel_hi:[1,0,1]
	v_pk_fma_f16 v46, v46, v53, v26 op_sel:[0,1,0]
	;; [unrolled: 2-line block ×6, first 2 shown]
	ds_read2_b64 v[26:29], v25 offset1:32
	v_pk_fma_f16 v24, v49, v52, v24 op_sel_hi:[1,0,1]
	v_pk_fma_f16 v30, v49, v52, v30 op_sel:[0,1,0]
	v_pk_fma_f16 v50, v49, v53, v50 op_sel_hi:[1,0,1]
	v_pk_fma_f16 v51, v49, v53, v51 op_sel:[0,1,0]
	s_waitcnt lgkmcnt(0)
	v_pk_fma_f16 v52, v26, v54, v58 op_sel_hi:[1,0,1]
	v_pk_fma_f16 v53, v26, v54, v65 op_sel:[0,1,0]
	v_pk_fma_f16 v58, v26, v55, v72 op_sel_hi:[1,0,1]
	v_pk_fma_f16 v26, v26, v55, v46 op_sel:[0,1,0]
	;; [unrolled: 2-line block ×6, first 2 shown]
	ds_read2_b64 v[46:49], v25 offset0:64 offset1:96
	v_pk_fma_f16 v24, v29, v54, v24 op_sel_hi:[1,0,1]
	v_pk_fma_f16 v30, v29, v54, v30 op_sel:[0,1,0]
	v_pk_fma_f16 v50, v29, v55, v50 op_sel_hi:[1,0,1]
	v_pk_fma_f16 v51, v29, v55, v51 op_sel:[0,1,0]
	s_waitcnt lgkmcnt(0)
	v_pk_fma_f16 v52, v46, v56, v52 op_sel_hi:[1,0,1]
	v_pk_fma_f16 v53, v46, v56, v53 op_sel:[0,1,0]
	v_pk_fma_f16 v54, v46, v57, v58 op_sel_hi:[1,0,1]
	v_pk_fma_f16 v46, v46, v57, v26 op_sel:[0,1,0]
	;; [unrolled: 2-line block ×6, first 2 shown]
	ds_read2_b64 v[26:29], v25 offset0:128 offset1:160
	v_pk_fma_f16 v72, v49, v56, v24 op_sel_hi:[1,0,1]
	v_pk_fma_f16 v30, v49, v56, v30 op_sel:[0,1,0]
	v_pk_fma_f16 v50, v49, v57, v50 op_sel_hi:[1,0,1]
	v_pk_fma_f16 v49, v49, v57, v51 op_sel:[0,1,0]
	s_waitcnt lgkmcnt(0)
	v_pk_fma_f16 v51, v26, v66, v52 op_sel_hi:[1,0,1]
	v_pk_fma_f16 v52, v26, v66, v53 op_sel:[0,1,0]
	v_pk_fma_f16 v53, v26, v67, v54 op_sel_hi:[1,0,1]
	v_pk_fma_f16 v46, v26, v67, v46 op_sel:[0,1,0]
	v_pk_fma_f16 v32, v27, v66, v32 op_sel_hi:[1,0,1]
	v_pk_fma_f16 v54, v27, v66, v55 op_sel:[0,1,0]
	v_pk_fma_f16 v55, v27, v67, v58 op_sel_hi:[1,0,1]
	v_pk_fma_f16 v47, v27, v67, v47 op_sel:[0,1,0]
	ds_read2_b64 v[24:27], v25 offset0:192 offset1:224
	v_pk_fma_f16 v56, v28, v66, v65 op_sel_hi:[1,0,1]
	v_pk_fma_f16 v57, v28, v66, v70 op_sel:[0,1,0]
	v_pk_fma_f16 v58, v28, v67, v71 op_sel_hi:[1,0,1]
	v_pk_fma_f16 v28, v28, v67, v48 op_sel:[0,1,0]
	v_pk_fma_f16 v48, v29, v66, v72 op_sel_hi:[1,0,1]
	v_pk_fma_f16 v30, v29, v66, v30 op_sel:[0,1,0]
	v_pk_fma_f16 v65, v29, v67, v50 op_sel_hi:[1,0,1]
	v_pk_fma_f16 v29, v29, v67, v49 op_sel:[0,1,0]
	s_waitcnt lgkmcnt(0)
	v_pk_fma_f16 v66, v24, v68, v51 op_sel_hi:[1,0,1]
	v_pk_fma_f16 v67, v24, v68, v52 op_sel:[0,1,0]
	v_pk_fma_f16 v70, v24, v69, v53 op_sel_hi:[1,0,1]
	v_pk_fma_f16 v71, v24, v69, v46 op_sel:[0,1,0]
	v_pk_fma_f16 v72, v25, v69, v47 op_sel:[0,1,0]
	v_pk_fma_f16 v73, v27, v68, v48 op_sel_hi:[1,0,1]
	ds_read2_b64 v[46:49], v10 offset1:32
	ds_read_b128 v[50:53], v35 offset:192
	v_pk_fma_f16 v32, v25, v68, v32 op_sel_hi:[1,0,1]
	v_pk_fma_f16 v54, v25, v68, v54 op_sel:[0,1,0]
	v_pk_fma_f16 v55, v25, v69, v55 op_sel_hi:[1,0,1]
	v_pk_fma_f16 v56, v26, v68, v56 op_sel_hi:[1,0,1]
	v_pk_fma_f16 v57, v26, v68, v57 op_sel:[0,1,0]
	v_pk_fma_f16 v58, v26, v69, v58 op_sel_hi:[1,0,1]
	v_pk_fma_f16 v28, v26, v69, v28 op_sel:[0,1,0]
	v_pk_fma_f16 v30, v27, v68, v30 op_sel:[0,1,0]
	v_pk_fma_f16 v65, v27, v69, v65 op_sel_hi:[1,0,1]
	v_pk_fma_f16 v29, v27, v69, v29 op_sel:[0,1,0]
	s_waitcnt lgkmcnt(0)
	v_pk_fma_f16 v66, v46, v50, v66 op_sel_hi:[1,0,1]
	v_pk_fma_f16 v67, v46, v50, v67 op_sel:[0,1,0]
	v_pk_fma_f16 v68, v46, v51, v70 op_sel_hi:[1,0,1]
	v_pk_fma_f16 v46, v46, v51, v71 op_sel:[0,1,0]
	;; [unrolled: 2-line block ×5, first 2 shown]
	ds_read2_b64 v[54:57], v10 offset0:64 offset1:96
	ds_read_b128 v[24:27], v35 offset:208
	v_pk_fma_f16 v58, v48, v51, v58 op_sel_hi:[1,0,1]
	v_pk_fma_f16 v28, v48, v51, v28 op_sel:[0,1,0]
	v_pk_fma_f16 v73, v49, v50, v73 op_sel_hi:[1,0,1]
	v_pk_fma_f16 v30, v49, v50, v30 op_sel:[0,1,0]
	;; [unrolled: 2-line block ×3, first 2 shown]
	s_waitcnt lgkmcnt(1)
	v_pk_fma_f16 v51, v54, v52, v66 op_sel_hi:[1,0,1]
	v_pk_fma_f16 v65, v54, v52, v67 op_sel:[0,1,0]
	v_pk_fma_f16 v66, v54, v53, v68 op_sel_hi:[1,0,1]
	v_pk_fma_f16 v54, v54, v53, v46 op_sel:[0,1,0]
	;; [unrolled: 2-line block ×4, first 2 shown]
	ds_read2_b64 v[46:49], v10 offset0:128 offset1:160
	v_pk_fma_f16 v69, v56, v52, v71 op_sel_hi:[1,0,1]
	v_pk_fma_f16 v70, v56, v52, v72 op_sel:[0,1,0]
	v_pk_fma_f16 v58, v56, v53, v58 op_sel_hi:[1,0,1]
	v_pk_fma_f16 v28, v56, v53, v28 op_sel:[0,1,0]
	;; [unrolled: 2-line block ×4, first 2 shown]
	s_waitcnt lgkmcnt(0)
	v_pk_fma_f16 v57, v46, v24, v51 op_sel_hi:[1,0,1]
	ds_read2_b64 v[50:53], v10 offset0:192 offset1:224
	v_pk_fma_f16 v65, v46, v24, v65 op_sel:[0,1,0]
	v_pk_fma_f16 v66, v46, v25, v66 op_sel_hi:[1,0,1]
	v_pk_fma_f16 v46, v46, v25, v54 op_sel:[0,1,0]
	v_pk_fma_f16 v32, v47, v24, v32 op_sel_hi:[1,0,1]
	;; [unrolled: 2-line block ×7, first 2 shown]
	v_pk_fma_f16 v25, v49, v25, v29 op_sel:[0,1,0]
	s_waitcnt lgkmcnt(0)
	v_pk_fma_f16 v29, v50, v26, v57 op_sel_hi:[1,0,1]
	v_pk_fma_f16 v69, v50, v27, v46 op_sel:[0,1,0]
	v_pk_fma_f16 v70, v51, v26, v54 op_sel:[0,1,0]
	;; [unrolled: 1-line block ×3, first 2 shown]
	v_pk_fma_f16 v72, v52, v26, v55 op_sel_hi:[1,0,1]
	ds_read2_b64 v[46:49], v22 offset1:32
	ds_read_b128 v[54:57], v35 offset:224
	v_pk_fma_f16 v65, v50, v26, v65 op_sel:[0,1,0]
	v_pk_fma_f16 v66, v50, v27, v66 op_sel_hi:[1,0,1]
	v_pk_fma_f16 v32, v51, v26, v32 op_sel_hi:[1,0,1]
	;; [unrolled: 1-line block ×3, first 2 shown]
	v_pk_fma_f16 v68, v52, v26, v68 op_sel:[0,1,0]
	v_pk_fma_f16 v58, v52, v27, v58 op_sel_hi:[1,0,1]
	v_pk_fma_f16 v28, v52, v27, v28 op_sel:[0,1,0]
	v_pk_fma_f16 v10, v53, v26, v10 op_sel_hi:[1,0,1]
	;; [unrolled: 2-line block ×3, first 2 shown]
	v_pk_fma_f16 v74, v53, v27, v25 op_sel:[0,1,0]
	ds_read2_b64 v[24:27], v22 offset0:64 offset1:96
	s_waitcnt lgkmcnt(1)
	v_pk_fma_f16 v29, v46, v54, v29 op_sel_hi:[1,0,1]
	v_pk_fma_f16 v65, v46, v54, v65 op_sel:[0,1,0]
	v_pk_fma_f16 v66, v46, v55, v66 op_sel_hi:[1,0,1]
	v_pk_fma_f16 v46, v46, v55, v69 op_sel:[0,1,0]
	;; [unrolled: 2-line block ×8, first 2 shown]
	ds_read_b128 v[50:53], v35 offset:240
	s_waitcnt lgkmcnt(1)
	v_pk_fma_f16 v29, v24, v56, v29 op_sel_hi:[1,0,1]
	v_pk_fma_f16 v65, v24, v56, v65 op_sel:[0,1,0]
	v_pk_fma_f16 v66, v24, v57, v66 op_sel_hi:[1,0,1]
	v_pk_fma_f16 v24, v24, v57, v46 op_sel:[0,1,0]
	;; [unrolled: 2-line block ×6, first 2 shown]
	ds_read2_b64 v[46:49], v22 offset0:128 offset1:160
	v_pk_fma_f16 v10, v27, v56, v10 op_sel_hi:[1,0,1]
	v_pk_fma_f16 v28, v27, v56, v54 op_sel:[0,1,0]
	v_pk_fma_f16 v30, v27, v57, v30 op_sel_hi:[1,0,1]
	v_pk_fma_f16 v27, v27, v57, v55 op_sel:[0,1,0]
	ds_read2_b64 v[54:57], v22 offset0:192 offset1:224
	s_waitcnt lgkmcnt(0)
	s_barrier
	s_load_dword s8, s[0:1], 0x4
	v_pk_fma_f16 v29, v46, v50, v29 op_sel_hi:[1,0,1]
	v_pk_fma_f16 v65, v46, v50, v65 op_sel:[0,1,0]
	v_pk_fma_f16 v66, v46, v51, v66 op_sel_hi:[1,0,1]
	v_pk_fma_f16 v24, v46, v51, v24 op_sel:[0,1,0]
	s_waitcnt lgkmcnt(0)
	s_lshl_b32 s8, s8, 5
	v_pk_fma_f16 v32, v47, v50, v32 op_sel_hi:[1,0,1]
	v_pk_fma_f16 v69, v47, v50, v69 op_sel:[0,1,0]
	v_pk_fma_f16 v67, v47, v51, v67 op_sel_hi:[1,0,1]
	v_pk_fma_f16 v25, v47, v51, v25 op_sel:[0,1,0]
	;; [unrolled: 2-line block ×6, first 2 shown]
	s_add_i32 s6, s8, s6
	v_pk_fma_f16 v50, v54, v52, v29 op_sel_hi:[1,0,1]
	v_pk_fma_f16 v48, v54, v52, v65 op_sel:[0,1,0]
	v_pk_fma_f16 v46, v54, v53, v66 op_sel_hi:[1,0,1]
	v_pk_fma_f16 v29, v54, v53, v24 op_sel:[0,1,0]
	;; [unrolled: 2-line block ×7, first 2 shown]
	v_pk_fma_f16 v22, v57, v53, v71 op_sel_hi:[1,0,1]
	s_cmp_ge_i32 s6, s30
	v_pk_fma_f16 v25, v57, v53, v72 op_sel:[0,1,0]
	s_cbranch_scc1 .LBB61_27
; %bb.26:                               ;   in Loop: Header=BB61_9 Depth=1
	v_mov_b32_e32 v52, v0
	v_mov_b32_e32 v53, v1
	;; [unrolled: 1-line block ×4, first 2 shown]
	s_branch .LBB61_9
.LBB61_27:
	v_cmp_lt_i32_e32 vcc, v61, v60
	v_cndmask_b32_e32 v12, v13, v61, vcc
	v_cmp_lt_i32_e32 vcc, v63, v60
	v_cndmask_b32_e32 v14, v13, v63, vcc
	v_cmp_lt_i32_e32 vcc, v64, v60
	v_lshlrev_b32_e32 v12, 2, v12
	v_lshlrev_b32_e32 v18, 2, v14
	v_cndmask_b32_e32 v14, v13, v64, vcc
	v_lshlrev_b32_e32 v19, 2, v14
	ds_bpermute_b32 v14, v12, v8
	ds_bpermute_b32 v15, v12, v9
	;; [unrolled: 1-line block ×4, first 2 shown]
	v_cmp_lt_i32_e32 vcc, v62, v60
	v_cndmask_b32_e32 v12, v13, v62, vcc
	s_waitcnt lgkmcnt(2)
	v_pk_add_f32 v[8:9], v[8:9], v[14:15]
	ds_bpermute_b32 v14, v18, v8
	s_waitcnt lgkmcnt(1)
	v_pk_add_f32 v[6:7], v[6:7], v[16:17]
	ds_bpermute_b32 v15, v18, v9
	ds_bpermute_b32 v16, v18, v6
	;; [unrolled: 1-line block ×3, first 2 shown]
	v_lshlrev_b32_e32 v18, 2, v12
	v_cmp_lt_i32_e32 vcc, v59, v60
	s_waitcnt lgkmcnt(2)
	v_pk_add_f32 v[8:9], v[8:9], v[14:15]
	ds_bpermute_b32 v14, v19, v8
	s_waitcnt lgkmcnt(1)
	v_pk_add_f32 v[6:7], v[6:7], v[16:17]
	ds_bpermute_b32 v15, v19, v9
	ds_bpermute_b32 v16, v19, v6
	ds_bpermute_b32 v17, v19, v7
	v_cndmask_b32_e32 v19, v13, v59, vcc
	s_cmp_lg_u64 s[16:17], 0
	s_waitcnt lgkmcnt(2)
	v_pk_add_f32 v[8:9], v[8:9], v[14:15]
	ds_bpermute_b32 v12, v18, v8
	s_waitcnt lgkmcnt(1)
	v_pk_add_f32 v[6:7], v[6:7], v[16:17]
	ds_bpermute_b32 v13, v18, v9
	ds_bpermute_b32 v14, v18, v6
	;; [unrolled: 1-line block ×3, first 2 shown]
	v_lshlrev_b32_e32 v16, 2, v19
	s_cselect_b64 s[0:1], -1, 0
	s_waitcnt lgkmcnt(2)
	v_pk_add_f32 v[8:9], v[8:9], v[12:13]
	ds_bpermute_b32 v12, v16, v8
	s_waitcnt lgkmcnt(1)
	v_pk_add_f32 v[6:7], v[6:7], v[14:15]
	ds_bpermute_b32 v13, v16, v9
	ds_bpermute_b32 v14, v16, v6
	;; [unrolled: 1-line block ×3, first 2 shown]
	s_cmp_eq_u32 s7, 0
	s_cselect_b64 s[8:9], -1, 0
	s_and_b64 s[0:1], s[8:9], s[0:1]
	s_waitcnt lgkmcnt(2)
	v_pk_add_f32 v[8:9], v[8:9], v[12:13]
	s_waitcnt lgkmcnt(0)
	v_pk_add_f32 v[6:7], v[6:7], v[14:15]
	s_and_b64 vcc, exec, s[0:1]
	s_cbranch_vccz .LBB61_29
; %bb.28:
	s_ashr_i32 s29, s28, 31
	s_lshl_b64 s[0:1], s[28:29], 2
	s_add_u32 s0, s16, s0
	s_addc_u32 s1, s17, s1
	v_mov_b32_e32 v12, 0
	global_load_dwordx4 v[12:15], v12, s[0:1]
	v_max_f32_e32 v16, v1, v1
	v_max_f32_e32 v18, v0, v0
	;; [unrolled: 1-line block ×4, first 2 shown]
	s_mov_b32 s6, 0x3fb8aa3b
	s_mov_b32 s0, 0xc2ce8ed0
	;; [unrolled: 1-line block ×3, first 2 shown]
	v_mov_b32_e32 v20, 0x7f800000
	s_waitcnt vmcnt(0)
	v_max_f32_e32 v17, v13, v13
	v_max_f32_e32 v23, v12, v12
	;; [unrolled: 1-line block ×6, first 2 shown]
	v_pk_add_f32 v[0:1], v[0:1], v[16:17] neg_lo:[0,1] neg_hi:[0,1]
	v_max_f32_e32 v19, v19, v31
	v_max_f32_e32 v18, v21, v33
	v_mul_f32_e32 v21, 0x3fb8aa3b, v1
	v_pk_add_f32 v[2:3], v[2:3], v[18:19] neg_lo:[0,1] neg_hi:[0,1]
	v_mul_f32_e32 v23, 0x3fb8aa3b, v0
	v_fma_f32 v35, v1, s6, -v21
	v_rndne_f32_e32 v36, v21
	v_mul_f32_e32 v31, 0x3fb8aa3b, v3
	v_fma_f32 v37, v0, s6, -v23
	v_rndne_f32_e32 v38, v23
	v_fmac_f32_e32 v35, 0x32a5705f, v1
	v_sub_f32_e32 v21, v21, v36
	v_mul_f32_e32 v33, 0x3fb8aa3b, v2
	v_fma_f32 v39, v3, s6, -v31
	v_rndne_f32_e32 v40, v31
	v_fmac_f32_e32 v37, 0x32a5705f, v0
	v_sub_f32_e32 v23, v23, v38
	v_add_f32_e32 v21, v21, v35
	v_fma_f32 v41, v2, s6, -v33
	v_rndne_f32_e32 v42, v33
	v_cvt_i32_f32_e32 v36, v36
	v_fmac_f32_e32 v39, 0x32a5705f, v3
	v_sub_f32_e32 v31, v31, v40
	v_add_f32_e32 v23, v23, v37
	v_exp_f32_e32 v21, v21
	v_cvt_i32_f32_e32 v38, v38
	v_fmac_f32_e32 v41, 0x32a5705f, v2
	v_sub_f32_e32 v33, v33, v42
	v_add_f32_e32 v31, v31, v39
	v_exp_f32_e32 v23, v23
	v_cvt_i32_f32_e32 v40, v40
	v_add_f32_e32 v33, v33, v41
	v_exp_f32_e32 v31, v31
	v_cvt_i32_f32_e32 v42, v42
	v_exp_f32_e32 v33, v33
	v_ldexp_f32 v21, v21, v36
	v_cmp_ngt_f32_e32 vcc, s0, v1
	v_ldexp_f32 v23, v23, v38
	v_cndmask_b32_e32 v21, 0, v21, vcc
	v_cmp_ngt_f32_e32 vcc, s0, v0
	v_ldexp_f32 v31, v31, v40
	v_cndmask_b32_e32 v23, 0, v23, vcc
	;; [unrolled: 3-line block ×3, first 2 shown]
	v_cmp_ngt_f32_e32 vcc, s0, v2
	v_cndmask_b32_e32 v33, 0, v33, vcc
	v_cmp_nlt_f32_e32 vcc, s1, v1
	v_cndmask_b32_e32 v1, v20, v21, vcc
	v_cmp_nlt_f32_e32 vcc, s1, v0
	v_cndmask_b32_e32 v0, v20, v23, vcc
	v_cmp_nlt_f32_e32 vcc, s1, v3
	v_cndmask_b32_e32 v3, v20, v31, vcc
	v_cmp_nlt_f32_e32 vcc, s1, v2
	v_cndmask_b32_e32 v2, v20, v33, vcc
	v_cvt_f16_f32_e32 v23, v1
	v_pk_add_f32 v[14:15], v[14:15], v[18:19] neg_lo:[0,1] neg_hi:[0,1]
	v_cvt_f16_f32_e32 v31, v2
	v_cvt_f16_f32_e32 v33, v3
	v_mul_f32_e32 v34, 0x3fb8aa3b, v15
	v_fma_f32 v43, v15, s6, -v34
	v_rndne_f32_e32 v44, v34
	v_fmac_f32_e32 v43, 0x32a5705f, v15
	v_sub_f32_e32 v34, v34, v44
	v_pk_mul_f16 v48, v23, v48 op_sel_hi:[0,1]
	v_pk_mul_f16 v28, v23, v28 op_sel_hi:[0,1]
	;; [unrolled: 1-line block ×4, first 2 shown]
	v_mul_f32_e32 v23, 0x3fb8aa3b, v14
	v_add_f32_e32 v34, v34, v43
	v_pk_mul_f16 v46, v31, v46 op_sel_hi:[0,1]
	v_pk_mul_f16 v24, v31, v24 op_sel_hi:[0,1]
	;; [unrolled: 1-line block ×8, first 2 shown]
	v_fma_f32 v31, v14, s6, -v23
	v_rndne_f32_e32 v33, v23
	v_cvt_i32_f32_e32 v44, v44
	v_exp_f32_e32 v34, v34
	v_cvt_f16_f32_e32 v21, v0
	v_fmac_f32_e32 v31, 0x32a5705f, v14
	v_sub_f32_e32 v23, v23, v33
	v_add_f32_e32 v23, v23, v31
	v_exp_f32_e32 v23, v23
	v_cvt_i32_f32_e32 v31, v33
	v_pk_mul_f16 v50, v21, v50 op_sel_hi:[0,1]
	v_pk_mul_f16 v32, v21, v32 op_sel_hi:[0,1]
	;; [unrolled: 1-line block ×4, first 2 shown]
	v_ldexp_f32 v21, v34, v44
	v_cmp_ngt_f32_e32 vcc, s0, v15
	v_pk_add_f32 v[12:13], v[12:13], v[16:17] neg_lo:[0,1] neg_hi:[0,1]
	v_cndmask_b32_e32 v21, 0, v21, vcc
	v_cmp_nlt_f32_e32 vcc, s1, v15
	v_cndmask_b32_e32 v15, v20, v21, vcc
	v_ldexp_f32 v21, v23, v31
	v_mul_f32_e32 v23, 0x3fb8aa3b, v13
	v_fma_f32 v31, v13, s6, -v23
	v_rndne_f32_e32 v33, v23
	v_fmac_f32_e32 v31, 0x32a5705f, v13
	v_sub_f32_e32 v23, v23, v33
	v_add_f32_e32 v23, v23, v31
	v_exp_f32_e32 v23, v23
	v_cvt_i32_f32_e32 v31, v33
	v_cmp_ngt_f32_e32 vcc, s0, v14
	v_cndmask_b32_e32 v21, 0, v21, vcc
	v_cmp_nlt_f32_e32 vcc, s1, v14
	v_cndmask_b32_e32 v14, v20, v21, vcc
	v_ldexp_f32 v21, v23, v31
	v_mul_f32_e32 v23, 0x3fb8aa3b, v12
	v_fma_f32 v31, v12, s6, -v23
	v_rndne_f32_e32 v33, v23
	v_fmac_f32_e32 v31, 0x32a5705f, v12
	v_sub_f32_e32 v23, v23, v33
	v_add_f32_e32 v23, v23, v31
	v_exp_f32_e32 v23, v23
	v_cvt_i32_f32_e32 v31, v33
	v_cmp_ngt_f32_e32 vcc, s0, v13
	v_cndmask_b32_e32 v21, 0, v21, vcc
	v_cmp_nlt_f32_e32 vcc, s1, v13
	v_cndmask_b32_e32 v13, v20, v21, vcc
	v_ldexp_f32 v21, v23, v31
	v_cmp_ngt_f32_e32 vcc, s0, v12
	v_cndmask_b32_e32 v21, 0, v21, vcc
	v_cmp_nlt_f32_e32 vcc, s1, v12
	v_cndmask_b32_e32 v12, v20, v21, vcc
	v_pk_fma_f32 v[6:7], v[6:7], v[2:3], v[14:15]
	v_pk_fma_f32 v[8:9], v[8:9], v[0:1], v[12:13]
	v_pk_mov_b32 v[0:1], v[16:17], v[16:17] op_sel:[0,1]
	v_pk_mov_b32 v[2:3], v[18:19], v[18:19] op_sel:[0,1]
.LBB61_29:
	v_cmp_gt_i32_e32 vcc, s2, v5
	s_and_saveexec_b64 s[0:1], vcc
	s_cbranch_execz .LBB61_46
; %bb.30:
	s_load_dword s6, s[4:5], 0xd4
	v_mov_b32_e32 v12, 1.0
	s_waitcnt lgkmcnt(0)
	s_cmp_lg_u32 s6, 1
	s_cselect_b64 s[0:1], -1, 0
	s_cmp_eq_u32 s6, 1
	s_cselect_b64 s[4:5], -1, 0
	s_and_b64 vcc, exec, s[0:1]
	s_cbranch_vccnz .LBB61_32
; %bb.31:
	v_div_scale_f32 v12, s[8:9], v8, v8, 1.0
	v_rcp_f32_e32 v13, v12
	v_div_scale_f32 v14, vcc, 1.0, v8, 1.0
	v_fma_f32 v15, -v12, v13, 1.0
	v_fmac_f32_e32 v13, v15, v13
	v_mul_f32_e32 v15, v14, v13
	v_fma_f32 v16, -v12, v15, v14
	v_fmac_f32_e32 v15, v16, v13
	v_fma_f32 v12, -v12, v15, v14
	v_div_fmas_f32 v12, v12, v13, v15
	v_div_fixup_f32 v12, v12, v8, 1.0
.LBB61_32:
	s_mul_i32 s33, s33, s2
	v_add_u32_e32 v5, s33, v5
	v_mul_lo_u32 v5, v5, s3
	v_add_u32_e32 v5, s28, v5
	v_cmp_eq_u32_e32 vcc, 0, v4
	v_mul_lo_u32 v4, s6, v5
	v_add_u32_e32 v4, s7, v4
	v_cvt_f32_f16_sdwa v17, v50 dst_sel:DWORD dst_unused:UNUSED_PAD src0_sel:WORD_1
	v_cvt_f32_f16_e32 v16, v50
	v_cvt_f32_f16_sdwa v21, v32 dst_sel:DWORD dst_unused:UNUSED_PAD src0_sel:WORD_1
	v_cvt_f32_f16_e32 v20, v32
	v_lshl_add_u32 v18, v4, 8, v11
	v_mov_b32_e32 v19, 0
	v_lshlrev_b64 v[14:15], 2, v[18:19]
	s_and_b64 s[2:3], vcc, s[0:1]
	v_mov_b32_e32 v5, s21
	v_add_co_u32_e32 v32, vcc, s20, v14
	v_addc_co_u32_e32 v33, vcc, v5, v15, vcc
	v_pk_mul_f32 v[14:15], v[12:13], v[16:17] op_sel_hi:[0,1]
	v_pk_mul_f32 v[16:17], v[12:13], v[20:21] op_sel_hi:[0,1]
	v_add_u32_e32 v18, 0x80, v18
	global_store_dwordx4 v[32:33], v[14:17], off
	s_nop 0
	v_lshlrev_b64 v[14:15], 2, v[18:19]
	v_cvt_f32_f16_sdwa v17, v51 dst_sel:DWORD dst_unused:UNUSED_PAD src0_sel:WORD_1
	v_cvt_f32_f16_e32 v16, v51
	v_cvt_f32_f16_sdwa v19, v30 dst_sel:DWORD dst_unused:UNUSED_PAD src0_sel:WORD_1
	v_cvt_f32_f16_e32 v18, v30
	v_add_co_u32_e32 v20, vcc, s20, v14
	v_addc_co_u32_e32 v21, vcc, v5, v15, vcc
	v_pk_mul_f32 v[14:15], v[12:13], v[16:17] op_sel_hi:[0,1]
	v_pk_mul_f32 v[16:17], v[12:13], v[18:19] op_sel_hi:[0,1]
	global_store_dwordx4 v[20:21], v[14:17], off
	s_and_saveexec_b64 s[0:1], s[2:3]
	s_cbranch_execz .LBB61_34
; %bb.33:
	v_ashrrev_i32_e32 v5, 31, v4
	v_lshlrev_b64 v[12:13], 3, v[4:5]
	v_mov_b32_e32 v5, s23
	v_add_co_u32_e32 v12, vcc, s22, v12
	v_addc_co_u32_e32 v13, vcc, v5, v13, vcc
	v_mov_b32_e32 v14, v0
	v_mov_b32_e32 v15, v8
	global_store_dwordx2 v[12:13], v[14:15], off
.LBB61_34:
	s_or_b64 exec, exec, s[0:1]
	v_cndmask_b32_e64 v0, 0, 1, s[4:5]
	v_cmp_ne_u32_e64 s[0:1], 1, v0
	s_andn2_b64 vcc, exec, s[4:5]
	v_mov_b32_e32 v0, 1.0
	s_cbranch_vccnz .LBB61_36
; %bb.35:
	v_div_scale_f32 v0, s[4:5], v9, v9, 1.0
	v_rcp_f32_e32 v5, v0
	v_div_scale_f32 v8, vcc, 1.0, v9, 1.0
	v_fma_f32 v12, -v0, v5, 1.0
	v_fmac_f32_e32 v5, v12, v5
	v_mul_f32_e32 v12, v8, v5
	v_fma_f32 v13, -v0, v12, v8
	v_fmac_f32_e32 v12, v13, v5
	v_fma_f32 v0, -v0, v12, v8
	v_div_fmas_f32 v0, v0, v5, v12
	v_div_fixup_f32 v0, v0, v9, 1.0
.LBB61_36:
	v_add_u32_e32 v4, s6, v4
	v_cvt_f32_f16_sdwa v15, v48 dst_sel:DWORD dst_unused:UNUSED_PAD src0_sel:WORD_1
	v_cvt_f32_f16_e32 v14, v48
	v_cvt_f32_f16_sdwa v19, v28 dst_sel:DWORD dst_unused:UNUSED_PAD src0_sel:WORD_1
	v_cvt_f32_f16_e32 v18, v28
	v_lshl_add_u32 v16, v4, 8, v11
	v_mov_b32_e32 v17, 0
	v_lshlrev_b64 v[12:13], 2, v[16:17]
	v_mov_b32_e32 v5, s21
	v_add_co_u32_e32 v20, vcc, s20, v12
	v_addc_co_u32_e32 v21, vcc, v5, v13, vcc
	v_pk_mul_f32 v[12:13], v[0:1], v[14:15] op_sel_hi:[0,1]
	v_pk_mul_f32 v[14:15], v[0:1], v[18:19] op_sel_hi:[0,1]
	v_add_u32_e32 v16, 0x80, v16
	global_store_dwordx4 v[20:21], v[12:15], off
	s_nop 0
	v_lshlrev_b64 v[12:13], 2, v[16:17]
	v_cvt_f32_f16_sdwa v15, v49 dst_sel:DWORD dst_unused:UNUSED_PAD src0_sel:WORD_1
	v_cvt_f32_f16_e32 v14, v49
	v_cvt_f32_f16_sdwa v17, v26 dst_sel:DWORD dst_unused:UNUSED_PAD src0_sel:WORD_1
	v_cvt_f32_f16_e32 v16, v26
	v_add_co_u32_e32 v18, vcc, s20, v12
	v_addc_co_u32_e32 v19, vcc, v5, v13, vcc
	v_pk_mul_f32 v[12:13], v[0:1], v[14:15] op_sel_hi:[0,1]
	v_pk_mul_f32 v[14:15], v[0:1], v[16:17] op_sel_hi:[0,1]
	global_store_dwordx4 v[18:19], v[12:15], off
	s_and_saveexec_b64 s[4:5], s[2:3]
	s_cbranch_execz .LBB61_38
; %bb.37:
	v_ashrrev_i32_e32 v5, 31, v4
	v_lshlrev_b64 v[12:13], 3, v[4:5]
	v_mov_b32_e32 v0, s23
	v_add_co_u32_e32 v12, vcc, s22, v12
	v_addc_co_u32_e32 v13, vcc, v0, v13, vcc
	v_mov_b32_e32 v8, v1
	global_store_dwordx2 v[12:13], v[8:9], off
.LBB61_38:
	s_or_b64 exec, exec, s[4:5]
	s_and_b64 vcc, exec, s[0:1]
	v_mov_b32_e32 v8, 1.0
	s_cbranch_vccnz .LBB61_40
; %bb.39:
	v_div_scale_f32 v0, s[4:5], v6, v6, 1.0
	v_rcp_f32_e32 v1, v0
	v_div_scale_f32 v5, vcc, 1.0, v6, 1.0
	v_fma_f32 v8, -v0, v1, 1.0
	v_fmac_f32_e32 v1, v8, v1
	v_mul_f32_e32 v8, v5, v1
	v_fma_f32 v9, -v0, v8, v5
	v_fmac_f32_e32 v8, v9, v1
	v_fma_f32 v0, -v0, v8, v5
	v_div_fmas_f32 v0, v0, v1, v8
	v_div_fixup_f32 v8, v0, v6, 1.0
.LBB61_40:
	v_add_u32_e32 v0, s6, v4
	v_cvt_f32_f16_sdwa v15, v46 dst_sel:DWORD dst_unused:UNUSED_PAD src0_sel:WORD_1
	v_cvt_f32_f16_e32 v14, v46
	v_cvt_f32_f16_sdwa v17, v24 dst_sel:DWORD dst_unused:UNUSED_PAD src0_sel:WORD_1
	v_cvt_f32_f16_e32 v16, v24
	v_lshl_add_u32 v4, v0, 8, v11
	v_mov_b32_e32 v5, 0
	v_lshlrev_b64 v[12:13], 2, v[4:5]
	v_mov_b32_e32 v1, s21
	v_add_co_u32_e32 v18, vcc, s20, v12
	v_addc_co_u32_e32 v19, vcc, v1, v13, vcc
	v_pk_mul_f32 v[12:13], v[8:9], v[14:15] op_sel_hi:[0,1]
	v_pk_mul_f32 v[14:15], v[8:9], v[16:17] op_sel_hi:[0,1]
	global_store_dwordx4 v[18:19], v[12:15], off
	v_add_u32_e32 v4, 0x80, v4
	v_cvt_f32_f16_sdwa v13, v47 dst_sel:DWORD dst_unused:UNUSED_PAD src0_sel:WORD_1
	v_cvt_f32_f16_e32 v12, v47
	v_cvt_f32_f16_sdwa v15, v22 dst_sel:DWORD dst_unused:UNUSED_PAD src0_sel:WORD_1
	v_cvt_f32_f16_e32 v14, v22
	v_lshlrev_b64 v[4:5], 2, v[4:5]
	v_add_co_u32_e32 v4, vcc, s20, v4
	v_addc_co_u32_e32 v5, vcc, v1, v5, vcc
	v_pk_mul_f32 v[12:13], v[8:9], v[12:13] op_sel_hi:[0,1]
	v_pk_mul_f32 v[14:15], v[8:9], v[14:15] op_sel_hi:[0,1]
	global_store_dwordx4 v[4:5], v[12:15], off
	s_and_saveexec_b64 s[4:5], s[2:3]
	s_cbranch_execz .LBB61_42
; %bb.41:
	v_ashrrev_i32_e32 v1, 31, v0
	v_lshlrev_b64 v[4:5], 3, v[0:1]
	v_mov_b32_e32 v1, s23
	v_add_co_u32_e32 v4, vcc, s22, v4
	v_addc_co_u32_e32 v5, vcc, v1, v5, vcc
	v_mov_b32_e32 v8, v2
	v_mov_b32_e32 v9, v6
	global_store_dwordx2 v[4:5], v[8:9], off
.LBB61_42:
	s_or_b64 exec, exec, s[4:5]
	s_and_b64 vcc, exec, s[0:1]
	v_mov_b32_e32 v2, 1.0
	s_cbranch_vccnz .LBB61_44
; %bb.43:
	v_div_scale_f32 v1, s[0:1], v7, v7, 1.0
	v_rcp_f32_e32 v2, v1
	v_div_scale_f32 v4, vcc, 1.0, v7, 1.0
	v_fma_f32 v5, -v1, v2, 1.0
	v_fmac_f32_e32 v2, v5, v2
	v_mul_f32_e32 v5, v4, v2
	v_fma_f32 v6, -v1, v5, v4
	v_fmac_f32_e32 v5, v6, v2
	v_fma_f32 v1, -v1, v5, v4
	v_div_fmas_f32 v1, v1, v2, v5
	v_div_fixup_f32 v2, v1, v7, 1.0
.LBB61_44:
	v_add_u32_e32 v0, s6, v0
	v_lshl_add_u32 v4, v0, 8, v11
	v_cvt_f32_f16_sdwa v13, v29 dst_sel:DWORD dst_unused:UNUSED_PAD src0_sel:WORD_1
	v_cvt_f32_f16_e32 v12, v29
	v_cvt_f32_f16_sdwa v11, v10 dst_sel:DWORD dst_unused:UNUSED_PAD src0_sel:WORD_1
	v_cvt_f32_f16_e32 v10, v10
	v_mov_b32_e32 v5, 0
	v_lshlrev_b64 v[8:9], 2, v[4:5]
	v_mov_b32_e32 v1, s21
	v_add_co_u32_e32 v14, vcc, s20, v8
	v_addc_co_u32_e32 v15, vcc, v1, v9, vcc
	v_pk_mul_f32 v[8:9], v[2:3], v[12:13] op_sel_hi:[0,1]
	v_pk_mul_f32 v[10:11], v[2:3], v[10:11] op_sel_hi:[0,1]
	global_store_dwordx4 v[14:15], v[8:11], off
	v_add_u32_e32 v4, 0x80, v4
	v_cvt_f32_f16_sdwa v9, v27 dst_sel:DWORD dst_unused:UNUSED_PAD src0_sel:WORD_1
	v_cvt_f32_f16_e32 v8, v27
	v_cvt_f32_f16_sdwa v11, v25 dst_sel:DWORD dst_unused:UNUSED_PAD src0_sel:WORD_1
	v_cvt_f32_f16_e32 v10, v25
	v_lshlrev_b64 v[4:5], 2, v[4:5]
	v_add_co_u32_e32 v4, vcc, s20, v4
	v_addc_co_u32_e32 v5, vcc, v1, v5, vcc
	v_pk_mul_f32 v[8:9], v[2:3], v[8:9] op_sel_hi:[0,1]
	v_pk_mul_f32 v[10:11], v[2:3], v[10:11] op_sel_hi:[0,1]
	global_store_dwordx4 v[4:5], v[8:11], off
	s_and_b64 exec, exec, s[2:3]
	s_cbranch_execz .LBB61_46
; %bb.45:
	v_ashrrev_i32_e32 v1, 31, v0
	v_lshlrev_b64 v[0:1], 3, v[0:1]
	v_mov_b32_e32 v2, s23
	v_add_co_u32_e32 v0, vcc, s22, v0
	v_addc_co_u32_e32 v1, vcc, v2, v1, vcc
	v_mov_b32_e32 v6, v3
	global_store_dwordx2 v[0:1], v[6:7], off
.LBB61_46:
	s_endpgm
	.section	.rodata,"a",@progbits
	.p2align	6, 0x0
	.amdhsa_kernel _ZL15flash_attn_tileILi256ELi256ELi8ELi4ELb1EEvPKcS1_S1_S1_S1_PKiPfP15HIP_vector_typeIfLj2EEffffjfiS5_IjLj3EEiiiiiiiiiiiliiliiiiil
		.amdhsa_group_segment_fixed_size 27136
		.amdhsa_private_segment_fixed_size 0
		.amdhsa_kernarg_size 464
		.amdhsa_user_sgpr_count 6
		.amdhsa_user_sgpr_private_segment_buffer 1
		.amdhsa_user_sgpr_dispatch_ptr 0
		.amdhsa_user_sgpr_queue_ptr 0
		.amdhsa_user_sgpr_kernarg_segment_ptr 1
		.amdhsa_user_sgpr_dispatch_id 0
		.amdhsa_user_sgpr_flat_scratch_init 0
		.amdhsa_user_sgpr_kernarg_preload_length 0
		.amdhsa_user_sgpr_kernarg_preload_offset 0
		.amdhsa_user_sgpr_private_segment_size 0
		.amdhsa_uses_dynamic_stack 0
		.amdhsa_system_sgpr_private_segment_wavefront_offset 0
		.amdhsa_system_sgpr_workgroup_id_x 1
		.amdhsa_system_sgpr_workgroup_id_y 1
		.amdhsa_system_sgpr_workgroup_id_z 1
		.amdhsa_system_sgpr_workgroup_info 0
		.amdhsa_system_vgpr_workitem_id 1
		.amdhsa_next_free_vgpr 104
		.amdhsa_next_free_sgpr 39
		.amdhsa_accum_offset 104
		.amdhsa_reserve_vcc 1
		.amdhsa_reserve_flat_scratch 0
		.amdhsa_float_round_mode_32 0
		.amdhsa_float_round_mode_16_64 0
		.amdhsa_float_denorm_mode_32 3
		.amdhsa_float_denorm_mode_16_64 3
		.amdhsa_dx10_clamp 1
		.amdhsa_ieee_mode 1
		.amdhsa_fp16_overflow 0
		.amdhsa_tg_split 0
		.amdhsa_exception_fp_ieee_invalid_op 0
		.amdhsa_exception_fp_denorm_src 0
		.amdhsa_exception_fp_ieee_div_zero 0
		.amdhsa_exception_fp_ieee_overflow 0
		.amdhsa_exception_fp_ieee_underflow 0
		.amdhsa_exception_fp_ieee_inexact 0
		.amdhsa_exception_int_div_zero 0
	.end_amdhsa_kernel
	.section	.text._ZL15flash_attn_tileILi256ELi256ELi8ELi4ELb1EEvPKcS1_S1_S1_S1_PKiPfP15HIP_vector_typeIfLj2EEffffjfiS5_IjLj3EEiiiiiiiiiiiliiliiiiil,"axG",@progbits,_ZL15flash_attn_tileILi256ELi256ELi8ELi4ELb1EEvPKcS1_S1_S1_S1_PKiPfP15HIP_vector_typeIfLj2EEffffjfiS5_IjLj3EEiiiiiiiiiiiliiliiiiil,comdat
.Lfunc_end61:
	.size	_ZL15flash_attn_tileILi256ELi256ELi8ELi4ELb1EEvPKcS1_S1_S1_S1_PKiPfP15HIP_vector_typeIfLj2EEffffjfiS5_IjLj3EEiiiiiiiiiiiliiliiiiil, .Lfunc_end61-_ZL15flash_attn_tileILi256ELi256ELi8ELi4ELb1EEvPKcS1_S1_S1_S1_PKiPfP15HIP_vector_typeIfLj2EEffffjfiS5_IjLj3EEiiiiiiiiiiiliiliiiiil
                                        ; -- End function
	.section	.AMDGPU.csdata,"",@progbits
; Kernel info:
; codeLenInByte = 17744
; NumSgprs: 43
; NumVgprs: 104
; NumAgprs: 0
; TotalNumVgprs: 104
; ScratchSize: 0
; MemoryBound: 0
; FloatMode: 240
; IeeeMode: 1
; LDSByteSize: 27136 bytes/workgroup (compile time only)
; SGPRBlocks: 5
; VGPRBlocks: 12
; NumSGPRsForWavesPerEU: 43
; NumVGPRsForWavesPerEU: 104
; AccumOffset: 104
; Occupancy: 2
; WaveLimiterHint : 1
; COMPUTE_PGM_RSRC2:SCRATCH_EN: 0
; COMPUTE_PGM_RSRC2:USER_SGPR: 6
; COMPUTE_PGM_RSRC2:TRAP_HANDLER: 0
; COMPUTE_PGM_RSRC2:TGID_X_EN: 1
; COMPUTE_PGM_RSRC2:TGID_Y_EN: 1
; COMPUTE_PGM_RSRC2:TGID_Z_EN: 1
; COMPUTE_PGM_RSRC2:TIDIG_COMP_CNT: 1
; COMPUTE_PGM_RSRC3_GFX90A:ACCUM_OFFSET: 25
; COMPUTE_PGM_RSRC3_GFX90A:TG_SPLIT: 0
	.section	.text._ZL15flash_attn_tileILi256ELi256ELi4ELi4ELb1EEvPKcS1_S1_S1_S1_PKiPfP15HIP_vector_typeIfLj2EEffffjfiS5_IjLj3EEiiiiiiiiiiiliiliiiiil,"axG",@progbits,_ZL15flash_attn_tileILi256ELi256ELi4ELi4ELb1EEvPKcS1_S1_S1_S1_PKiPfP15HIP_vector_typeIfLj2EEffffjfiS5_IjLj3EEiiiiiiiiiiiliiliiiiil,comdat
	.globl	_ZL15flash_attn_tileILi256ELi256ELi4ELi4ELb1EEvPKcS1_S1_S1_S1_PKiPfP15HIP_vector_typeIfLj2EEffffjfiS5_IjLj3EEiiiiiiiiiiiliiliiiiil ; -- Begin function _ZL15flash_attn_tileILi256ELi256ELi4ELi4ELb1EEvPKcS1_S1_S1_S1_PKiPfP15HIP_vector_typeIfLj2EEffffjfiS5_IjLj3EEiiiiiiiiiiiliiliiiiil
	.p2align	8
	.type	_ZL15flash_attn_tileILi256ELi256ELi4ELi4ELb1EEvPKcS1_S1_S1_S1_PKiPfP15HIP_vector_typeIfLj2EEffffjfiS5_IjLj3EEiiiiiiiiiiiliiliiiiil,@function
_ZL15flash_attn_tileILi256ELi256ELi4ELi4ELb1EEvPKcS1_S1_S1_S1_PKiPfP15HIP_vector_typeIfLj2EEffffjfiS5_IjLj3EEiiiiiiiiiiiliiliiiiil: ; @_ZL15flash_attn_tileILi256ELi256ELi4ELi4ELb1EEvPKcS1_S1_S1_S1_PKiPfP15HIP_vector_typeIfLj2EEffffjfiS5_IjLj3EEiiiiiiiiiiiliiliiiiil
; %bb.0:
	s_load_dwordx4 s[0:3], s[4:5], 0x5c
	s_load_dwordx2 s[28:29], s[4:5], 0x80
	s_load_dwordx2 s[34:35], s[4:5], 0xb8
	s_mov_b64 s[30:31], 0
	s_waitcnt lgkmcnt(0)
	s_ashr_i32 s9, s3, 31
	s_lshr_b32 s9, s9, 30
	s_add_i32 s9, s3, s9
	s_ashr_i32 s9, s9, 2
	v_cvt_f32_u32_e32 v1, s9
	s_sub_i32 s10, 0, s9
	v_rcp_iflag_f32_e32 v1, v1
	v_mul_f32_e32 v1, 0x4f7ffffe, v1
	v_cvt_u32_f32_e32 v1, v1
	v_readfirstlane_b32 s11, v1
	s_mul_i32 s10, s10, s11
	s_mul_hi_u32 s10, s11, s10
	s_add_i32 s11, s11, s10
	s_mul_hi_u32 s10, s8, s11
	s_mul_i32 s11, s10, s9
	s_sub_i32 s11, s8, s11
	s_add_i32 s12, s10, 1
	s_sub_i32 s13, s11, s9
	s_cmp_ge_u32 s11, s9
	s_cselect_b32 s10, s12, s10
	s_cselect_b32 s11, s13, s11
	s_add_i32 s12, s10, 1
	s_cmp_ge_u32 s11, s9
	s_cselect_b32 s33, s12, s10
	s_abs_i32 s9, s29
	v_cvt_f32_u32_e32 v1, s9
	s_lshl_b32 s8, s8, 2
	s_mul_i32 s12, s33, s3
	s_xor_b32 s10, s3, s29
	v_rcp_iflag_f32_e32 v1, v1
	s_sub_i32 s13, 0, s9
	s_sub_i32 s29, s8, s12
	s_abs_i32 s11, s3
	v_mul_f32_e32 v1, 0x4f7ffffe, v1
	v_cvt_u32_f32_e32 v1, v1
	s_ashr_i32 s10, s10, 31
	v_readfirstlane_b32 s8, v1
	s_mul_i32 s13, s13, s8
	s_mul_hi_u32 s12, s8, s13
	s_add_i32 s8, s8, s12
	s_mul_hi_u32 s8, s11, s8
	s_mul_i32 s12, s8, s9
	s_sub_i32 s11, s11, s12
	s_add_i32 s13, s8, 1
	s_sub_i32 s12, s11, s9
	s_cmp_ge_u32 s11, s9
	s_cselect_b32 s8, s13, s8
	s_cselect_b32 s11, s12, s11
	s_add_i32 s12, s8, 1
	s_cmp_ge_u32 s11, s9
	s_cselect_b32 s8, s12, s8
	s_xor_b32 s8, s8, s10
	s_sub_i32 s37, s8, s10
	s_abs_i32 s36, s37
	v_cvt_f32_u32_e32 v1, s36
	s_load_dwordx16 s[8:23], s[4:5], 0x0
	v_rcp_iflag_f32_e32 v1, v1
	s_waitcnt lgkmcnt(0)
	s_cmp_eq_u64 s[14:15], 0
	v_mul_f32_e32 v1, 0x4f7ffffe, v1
	v_cvt_u32_f32_e32 v1, v1
	v_readfirstlane_b32 s38, v1
	s_cbranch_scc1 .LBB62_2
; %bb.1:
	s_abs_i32 s26, s34
	v_cvt_f32_u32_e32 v1, s26
	s_sub_i32 s31, 0, s26
	s_abs_i32 s30, s33
	s_ashr_i32 s27, s33, 31
	v_rcp_iflag_f32_e32 v1, v1
	s_load_dwordx2 s[24:25], s[4:5], 0xc8
	v_mul_f32_e32 v1, 0x4f7ffffe, v1
	v_cvt_u32_f32_e32 v1, v1
	v_readfirstlane_b32 s34, v1
	s_mul_i32 s31, s31, s34
	s_mul_hi_u32 s31, s34, s31
	s_add_i32 s34, s34, s31
	s_mul_hi_u32 s31, s30, s34
	s_mul_i32 s31, s31, s26
	s_sub_i32 s30, s30, s31
	s_sub_i32 s31, s30, s26
	s_cmp_ge_u32 s30, s26
	s_cselect_b32 s30, s31, s30
	s_sub_i32 s31, s30, s26
	s_cmp_ge_u32 s30, s26
	s_cselect_b32 s26, s31, s30
	s_xor_b32 s26, s26, s27
	s_sub_i32 s26, s26, s27
	s_ashr_i32 s27, s26, 31
	s_waitcnt lgkmcnt(0)
	s_mul_i32 s25, s26, s25
	s_mul_hi_u32 s30, s26, s24
	s_add_i32 s25, s30, s25
	s_mul_i32 s27, s27, s24
	s_add_i32 s25, s25, s27
	s_mul_i32 s26, s26, s24
	s_add_u32 s30, s14, s26
	s_addc_u32 s31, s15, s25
.LBB62_2:
	s_load_dwordx4 s[24:27], s[4:5], 0x70
	v_bfe_u32 v4, v0, 10, 10
	v_lshrrev_b32_e32 v1, 1, v4
	v_lshl_add_u32 v9, s6, 2, v1
	v_mul_hi_u32 v1, s0, v9
	s_waitcnt lgkmcnt(0)
	s_mul_i32 s14, s33, s26
	s_ashr_i32 s26, s14, 31
	s_mul_i32 s15, s29, s25
	s_add_u32 s8, s8, s14
	v_add_u32_e32 v1, v9, v1
	s_addc_u32 s9, s9, s26
	s_ashr_i32 s14, s15, 31
	v_lshrrev_b32_e32 v1, s1, v1
	s_add_u32 s8, s8, s15
	v_mul_lo_u32 v1, v1, s2
	s_addc_u32 s9, s9, s14
	v_sub_u32_e32 v5, v9, v1
	s_ashr_i32 s15, s24, 31
	v_mov_b32_e32 v1, s24
	v_alignbit_b32 v1, s15, v1, 2
	v_mad_u64_u32 v[2:3], s[0:1], v1, v5, 0
	v_mov_b32_e32 v8, v3
	s_lshr_b32 s0, s15, 2
	v_mad_u64_u32 v[10:11], s[0:1], s0, v5, v[8:9]
	v_mov_b32_e32 v3, v10
	v_and_b32_e32 v8, 0x3ff, v0
	v_lshlrev_b64 v[0:1], 2, v[2:3]
	v_mov_b32_e32 v2, s9
	v_add_co_u32_e32 v0, vcc, s8, v0
	v_addc_co_u32_e32 v1, vcc, v2, v1, vcc
	v_lshlrev_b32_e32 v2, 4, v8
	v_lshlrev_b32_e32 v6, 1, v4
	s_ashr_i32 s14, s25, 31
	v_add_co_u32_e32 v7, vcc, v0, v2
	v_mov_b32_e32 v0, s25
	v_and_b32_e32 v25, 2, v6
	s_lshr_b32 s8, s14, 2
	v_alignbit_b32 v16, s14, v0, 2
	v_addc_co_u32_e32 v18, vcc, 0, v1, vcc
	v_mul_lo_u32 v2, s8, v25
	v_mad_u64_u32 v[0:1], s[0:1], v16, v25, 0
	v_or_b32_e32 v1, v1, v2
	v_lshlrev_b64 v[0:1], 2, v[0:1]
	v_add_co_u32_e32 v14, vcc, v7, v0
	v_or_b32_e32 v24, 1, v6
	v_addc_co_u32_e32 v15, vcc, v18, v1, vcc
	v_and_b32_e32 v17, 3, v24
	global_load_dwordx4 v[0:3], v[14:15], off
	global_load_dwordx4 v[10:13], v[14:15], off offset:512
	v_mad_u64_u32 v[14:15], s[0:1], v16, v17, 0
	v_mov_b32_e32 v16, v15
	v_mad_u64_u32 v[16:17], s[0:1], s8, v17, v[16:17]
	v_mov_b32_e32 v15, v16
	v_lshlrev_b64 v[14:15], 2, v[14:15]
	v_add_co_u32_e32 v22, vcc, v7, v14
	v_addc_co_u32_e32 v23, vcc, v18, v15, vcc
	global_load_dwordx4 v[14:17], v[22:23], off
	global_load_dwordx4 v[18:21], v[22:23], off offset:512
	s_load_dword s0, s[4:5], 0x40
	s_mov_b32 s1, 0
	v_lshlrev_b32_e32 v23, 7, v24
	v_lshlrev_b32_e32 v7, 1, v8
	;; [unrolled: 1-line block ×3, first 2 shown]
	v_add_lshl_u32 v22, v22, v7, 2
	v_add_u32_e32 v22, 0x2000, v22
	v_add_lshl_u32 v23, v23, v7, 2
	s_cmp_eq_u64 s[18:19], 0
	s_waitcnt vmcnt(3) lgkmcnt(0)
	v_pk_mul_f32 v[0:1], v[0:1], s[0:1] op_sel_hi:[1,0]
	v_pk_mul_f32 v[2:3], v[2:3], s[0:1] op_sel_hi:[1,0]
	s_waitcnt vmcnt(2)
	v_pk_mul_f32 v[10:11], v[10:11], s[0:1] op_sel_hi:[1,0]
	v_pk_mul_f32 v[12:13], v[12:13], s[0:1] op_sel_hi:[1,0]
	v_cvt_f16_f32_e32 v24, v1
	v_cvt_f16_f32_e32 v0, v0
	;; [unrolled: 1-line block ×8, first 2 shown]
	s_waitcnt vmcnt(1)
	v_pk_mul_f32 v[14:15], v[14:15], s[0:1] op_sel_hi:[1,0]
	v_pk_mul_f32 v[16:17], v[16:17], s[0:1] op_sel_hi:[1,0]
	s_waitcnt vmcnt(0)
	v_pk_mul_f32 v[18:19], v[18:19], s[0:1] op_sel_hi:[1,0]
	v_pk_mul_f32 v[20:21], v[20:21], s[0:1] op_sel_hi:[1,0]
	v_pack_b32_f16 v1, v2, v1
	v_pack_b32_f16 v0, v0, v24
	;; [unrolled: 1-line block ×4, first 2 shown]
	v_cvt_f16_f32_e32 v13, v15
	v_cvt_f16_f32_e32 v14, v14
	;; [unrolled: 1-line block ×7, first 2 shown]
	ds_write2_b64 v22, v[0:1], v[2:3] offset0:64 offset1:96
	v_cvt_f16_f32_e32 v2, v18
	v_pack_b32_f16 v1, v16, v15
	v_pack_b32_f16 v0, v14, v13
	;; [unrolled: 1-line block ×4, first 2 shown]
	v_add_u32_e32 v10, 0x2000, v23
	ds_write2_b64 v10, v[0:1], v[2:3] offset0:64 offset1:96
	s_waitcnt lgkmcnt(0)
	s_barrier
	s_cbranch_scc1 .LBB62_4
; %bb.3:
	s_load_dword s0, s[4:5], 0xd0
	s_waitcnt lgkmcnt(0)
	s_mul_i32 s0, s0, s33
	s_add_i32 s0, s0, s6
	s_lshl_b64 s[0:1], s[0:1], 2
	s_add_u32 s0, s18, s0
	s_addc_u32 s1, s19, s1
	s_load_dword s28, s[0:1], 0x0
.LBB62_4:
	s_lshl_b32 s6, s7, 5
	v_lshlrev_b32_e32 v26, 2, v8
	s_waitcnt lgkmcnt(0)
	s_cmp_lt_i32 s6, s28
	v_mbcnt_lo_u32_b32 v20, -1, 0
	s_cbranch_scc1 .LBB62_6
; %bb.5:
	v_mbcnt_hi_u32_b32 v15, -1, v20
	v_and_b32_e32 v0, 0x60, v15
	s_mov_b32 s0, 0xfeffffff
	s_mov_b32 s14, 0
	v_add_u32_e32 v48, 32, v0
	v_xor_b32_e32 v49, 16, v15
	v_xor_b32_e32 v47, 8, v15
	;; [unrolled: 1-line block ×5, first 2 shown]
	s_mov_b32 s1, s0
	s_mov_b64 s[8:9], 0
	s_branch .LBB62_7
.LBB62_6:
	s_mov_b64 s[8:9], -1
                                        ; implicit-def: $sgpr14
                                        ; implicit-def: $sgpr0_sgpr1
                                        ; implicit-def: $vgpr15
                                        ; implicit-def: $vgpr48
                                        ; implicit-def: $vgpr49
                                        ; implicit-def: $vgpr47
                                        ; implicit-def: $vgpr50
                                        ; implicit-def: $vgpr51
                                        ; implicit-def: $vgpr52
.LBB62_7:
	s_andn2_b64 vcc, exec, s[8:9]
	v_mov_b32_e32 v13, s14
	v_mov_b32_e32 v45, s14
	v_pk_mov_b32 v[10:11], s[0:1], s[0:1] op_sel:[0,1]
	v_mov_b32_e32 v44, s14
	v_mov_b32_e32 v12, s14
	;; [unrolled: 1-line block ×8, first 2 shown]
	s_cbranch_vccnz .LBB62_18
; %bb.8:
	s_sub_i32 s0, 0, s36
	s_mul_i32 s0, s0, s38
	s_mul_hi_u32 s0, s38, s0
	s_add_i32 s38, s38, s0
	s_load_dwordx4 s[24:27], s[4:5], 0x98
	s_load_dword s14, s[4:5], 0x54
	s_load_dwordx2 s[0:1], s[4:5], 0x8c
	s_abs_i32 s19, s29
	s_mul_hi_u32 s34, s19, s38
	s_waitcnt lgkmcnt(0)
	s_ashr_i32 s15, s26, 2
	s_ashr_i32 s26, s35, 1
	;; [unrolled: 1-line block ×4, first 2 shown]
	s_mul_i32 s25, s33, s25
	s_mul_hi_u32 s35, s33, s24
	s_add_i32 s25, s35, s25
	s_mul_i32 s35, s0, s24
	s_ashr_i32 s38, s29, 31
	s_ashr_i32 s37, s37, 31
	s_add_i32 s25, s25, s35
	s_mul_i32 s24, s33, s24
	s_add_u32 s10, s10, s24
	s_addc_u32 s11, s11, s25
	s_mul_i32 s25, s34, s36
	s_sub_i32 s19, s19, s25
	s_xor_b32 s24, s38, s37
	s_add_i32 s25, s34, 1
	s_sub_i32 s35, s19, s36
	s_cmp_ge_u32 s19, s36
	s_cselect_b32 s25, s25, s34
	s_cselect_b32 s19, s35, s19
	s_add_i32 s34, s25, 1
	s_cmp_ge_u32 s19, s36
	s_load_dwordx2 s[8:9], s[4:5], 0xa8
	s_cselect_b32 s19, s34, s25
	s_xor_b32 s19, s19, s24
	s_sub_i32 s19, s19, s24
	s_mul_i32 s1, s19, s1
	s_ashr_i32 s24, s1, 31
	s_add_u32 s10, s10, s1
	s_waitcnt lgkmcnt(0)
	s_mul_i32 s1, s33, s9
	s_mul_hi_u32 s9, s33, s8
	s_addc_u32 s11, s11, s24
	s_add_i32 s1, s9, s1
	s_mul_i32 s0, s0, s8
	s_add_i32 s1, s1, s0
	s_mul_i32 s0, s33, s8
	s_add_u32 s0, s12, s0
	s_mul_i32 s19, s19, s27
	v_lshrrev_b32_e32 v0, 4, v8
	s_addc_u32 s1, s13, s1
	s_ashr_i32 s8, s19, 31
	v_add_u32_e32 v2, v0, v6
	v_and_b32_e32 v0, 60, v26
	s_add_u32 s12, s0, s19
	v_lshlrev_b32_e32 v3, 2, v0
	s_movk_i32 s0, 0x110
	s_addc_u32 s13, s1, s8
	v_mad_u32_u24 v27, v2, s0, v3
	v_mov_b32_e32 v6, 0x2200
	v_mad_u64_u32 v[14:15], s[0:1], v5, s26, v[8:9]
	v_mov_b32_e32 v5, 0x4200
	v_lshlrev_b32_e32 v33, 2, v26
	v_mul_lo_u32 v2, s18, v2
	v_lshl_add_u32 v30, v4, 10, v6
	v_lshl_add_u32 v31, v4, 7, v5
	;; [unrolled: 1-line block ×3, first 2 shown]
	v_mul_lo_u32 v4, s15, v4
	v_lshl_add_u32 v12, s18, 4, v2
	v_lshl_add_u32 v22, s15, 3, v4
	v_mov_b32_e32 v1, 0
	v_ashrrev_i32_e32 v3, 31, v2
	v_ashrrev_i32_e32 v13, 31, v12
	;; [unrolled: 1-line block ×4, first 2 shown]
	s_add_u32 s0, s4, 0xd0
	v_mov_b32_e32 v10, 0xfeffffff
	v_add_u32_e32 v28, 0x1100, v27
	v_mul_u32_u24_e32 v29, 0x110, v8
	v_lshl_add_u32 v32, v7, 1, v31
	v_add_u32_e32 v35, 0x1000, v34
	v_lshlrev_b32_e32 v36, 2, v7
	s_addc_u32 s1, s5, 0
	v_lshlrev_b64 v[16:17], 2, v[2:3]
	v_lshlrev_b32_e32 v37, 2, v0
	v_lshlrev_b64 v[18:19], 2, v[12:13]
	v_mov_b32_e32 v38, s31
	s_mov_b32 s19, 0x3f200000
	s_mov_b32 s24, 0x3fb8aa3b
	;; [unrolled: 1-line block ×4, first 2 shown]
	v_mov_b32_e32 v39, 0xbd5c1c4e
	v_mov_b32_e32 v40, 0x3e088382
	;; [unrolled: 1-line block ×3, first 2 shown]
	v_mbcnt_hi_u32_b32 v15, -1, v20
	s_brev_b32 s27, -2
	v_lshlrev_b64 v[20:21], 2, v[4:5]
	v_lshlrev_b64 v[22:23], 2, v[22:23]
	v_mov_b32_e32 v42, 0x7f800000
	v_mov_b32_e32 v44, 0
	;; [unrolled: 1-line block ×11, first 2 shown]
	s_branch .LBB62_10
.LBB62_9:                               ;   in Loop: Header=BB62_10 Depth=1
	s_or_b64 exec, exec, s[8:9]
	v_cvt_f32_f16_e32 v5, v5
	v_bfi_b32 v46, s27, v58, v46
	v_max_f32_e32 v58, v11, v11
	s_mul_hi_i32 s9, s6, s15
	v_fmac_f32_e32 v5, s14, v46
	v_add_f32_e32 v46, 0x40051340, v5
	v_max_f32_e32 v46, v58, v46
	ds_bpermute_b32 v57, v57, v46
	s_mul_i32 s8, s6, s15
	s_lshl_b64 s[8:9], s[8:9], 2
	s_add_u32 s8, s12, s8
	s_addc_u32 s9, s13, s9
	s_waitcnt lgkmcnt(0)
	v_max_f32_e32 v57, v57, v57
	v_max_f32_e32 v46, v46, v57
	ds_bpermute_b32 v55, v55, v46
	v_mov_b32_e32 v57, s9
	s_waitcnt lgkmcnt(0)
	s_barrier
	v_max_f32_e32 v55, v55, v55
	v_max_f32_e32 v46, v46, v55
	ds_bpermute_b32 v53, v53, v46
	v_add_co_u32_e32 v55, vcc, s8, v20
	v_addc_co_u32_e32 v57, vcc, v57, v21, vcc
	s_waitcnt lgkmcnt(0)
	v_max_f32_e32 v53, v53, v53
	v_max_f32_e32 v46, v46, v53
	ds_bpermute_b32 v53, v54, v46
	v_add_co_u32_e32 v62, vcc, v55, v33
	v_addc_co_u32_e32 v63, vcc, 0, v57, vcc
	v_mov_b32_e32 v54, s9
	v_add_co_u32_e32 v55, vcc, s8, v22
	s_waitcnt lgkmcnt(0)
	v_max_f32_e32 v53, v53, v53
	v_addc_co_u32_e32 v54, vcc, v54, v23, vcc
	v_max_f32_e32 v46, v46, v53
	v_add_co_u32_e32 v64, vcc, v55, v33
	ds_bpermute_b32 v53, v56, v46
	v_addc_co_u32_e32 v65, vcc, 0, v54, vcc
	global_load_dwordx4 v[54:57], v[62:63], off
	global_load_dwordx4 v[58:61], v[64:65], off
	v_mov_b32_e32 v62, v10
	s_waitcnt lgkmcnt(0)
	v_max_f32_e32 v10, v53, v53
	v_max_f32_e32 v7, v7, v7
	;; [unrolled: 1-line block ×3, first 2 shown]
	v_mov_b32_e32 v63, v11
	v_max_f32_e32 v11, v46, v10
	v_max_f32_e32 v10, v6, v7
	v_pk_add_f32 v[4:5], v[4:5], v[10:11] neg_lo:[0,1] neg_hi:[0,1]
	v_mul_f32_e32 v6, 0x3fb8aa3b, v5
	v_fma_f32 v7, v5, s24, -v6
	v_rndne_f32_e32 v46, v6
	v_fmac_f32_e32 v7, 0x32a5705f, v5
	v_sub_f32_e32 v6, v6, v46
	v_add_f32_e32 v6, v6, v7
	v_exp_f32_e32 v6, v6
	v_cvt_i32_f32_e32 v7, v46
	v_cmp_ngt_f32_e32 vcc, s25, v5
	v_add_u32_e32 v106, 0x800, v36
	s_or_b32 s8, s6, 16
	v_ldexp_f32 v6, v6, v7
	v_mul_f32_e32 v7, 0x3fb8aa3b, v4
	v_fma_f32 v46, v4, s24, -v7
	v_rndne_f32_e32 v53, v7
	v_fmac_f32_e32 v46, 0x32a5705f, v4
	v_sub_f32_e32 v7, v7, v53
	v_add_f32_e32 v7, v7, v46
	v_exp_f32_e32 v7, v7
	v_cvt_i32_f32_e32 v46, v53
	v_cndmask_b32_e32 v6, 0, v6, vcc
	v_cmp_nlt_f32_e32 vcc, s26, v5
	v_cndmask_b32_e32 v5, v42, v6, vcc
	v_ldexp_f32 v6, v7, v46
	v_cmp_ngt_f32_e32 vcc, s25, v4
	v_cndmask_b32_e32 v6, 0, v6, vcc
	v_cmp_nlt_f32_e32 vcc, s26, v4
	v_cndmask_b32_e32 v4, v42, v6, vcc
	v_cvt_f16_f32_e32 v6, v5
	v_cvt_f16_f32_e32 v7, v4
	s_mul_hi_i32 s9, s8, s15
	s_mul_i32 s8, s8, s15
	s_lshl_b64 s[8:9], s[8:9], 2
	v_pack_b32_f16 v46, v7, v6
	v_pk_add_f32 v[6:7], v[62:63], v[10:11] neg_lo:[0,1] neg_hi:[0,1]
	v_mul_f32_e32 v53, 0x3fb8aa3b, v7
	v_fma_f32 v62, v7, s24, -v53
	v_rndne_f32_e32 v63, v53
	v_fmac_f32_e32 v62, 0x32a5705f, v7
	v_sub_f32_e32 v53, v53, v63
	v_add_f32_e32 v53, v53, v62
	v_cvt_i32_f32_e32 v62, v63
	v_mul_f32_e32 v63, 0x3fb8aa3b, v6
	v_fma_f32 v64, v6, s24, -v63
	v_rndne_f32_e32 v65, v63
	v_fmac_f32_e32 v64, 0x32a5705f, v6
	v_sub_f32_e32 v63, v63, v65
	v_exp_f32_e32 v53, v53
	v_add_f32_e32 v63, v63, v64
	v_exp_f32_e32 v63, v63
	v_cvt_i32_f32_e32 v64, v65
	v_ldexp_f32 v53, v53, v62
	v_cmp_ngt_f32_e32 vcc, s25, v7
	v_cndmask_b32_e32 v53, 0, v53, vcc
	v_ldexp_f32 v62, v63, v64
	v_cmp_ngt_f32_e32 vcc, s25, v6
	v_cndmask_b32_e32 v62, 0, v62, vcc
	v_cmp_nlt_f32_e32 vcc, s26, v6
	v_cndmask_b32_e32 v6, v42, v62, vcc
	v_cmp_nlt_f32_e32 vcc, s26, v7
	v_cndmask_b32_e32 v7, v42, v53, vcc
	ds_write_b32 v32, v46
	s_waitcnt vmcnt(1)
	ds_write_b128 v34, v[54:57]
	s_waitcnt vmcnt(0)
	ds_write_b128 v35, v[58:61]
	s_waitcnt lgkmcnt(0)
	s_barrier
	ds_read2_b64 v[54:57], v36 offset1:32
	ds_read_b128 v[58:61], v31
	v_cvt_f16_f32_e32 v53, v7
	v_cvt_f16_f32_e32 v66, v6
	v_pk_fma_f32 v[12:13], v[12:13], v[6:7], v[4:5]
	s_add_u32 s8, s12, s8
	s_waitcnt lgkmcnt(0)
	v_pk_mul_f16 v68, v54, v58 op_sel_hi:[1,0]
	v_pk_mul_f16 v54, v54, v58 op_sel:[0,1]
	v_pk_mul_f16 v67, v53, v0 op_sel_hi:[0,1]
	v_pk_mul_f16 v71, v53, v3 op_sel_hi:[0,1]
	;; [unrolled: 1-line block ×3, first 2 shown]
	v_pk_fma_f16 v43, v53, v43, v54 op_sel_hi:[0,1,1]
	v_pk_mul_f16 v53, v55, v58 op_sel_hi:[1,0]
	v_pk_mul_f16 v45, v66, v45 op_sel_hi:[0,1]
	;; [unrolled: 1-line block ×3, first 2 shown]
	ds_read_b128 v[62:65], v31 offset:16
	ds_read_b128 v[4:7], v31 offset:32
	;; [unrolled: 1-line block ×3, first 2 shown]
	v_pk_fma_f16 v44, v66, v44, v68 op_sel_hi:[0,1,1]
	v_pk_fma_f16 v24, v66, v24, v53 op_sel_hi:[0,1,1]
	v_pk_fma_f16 v53, v55, v58, v67 op_sel:[0,1,0]
	ds_read2_b64 v[66:69], v36 offset0:64 offset1:96
	v_pk_fma_f16 v45, v56, v58, v45 op_sel_hi:[1,0,1]
	v_pk_fma_f16 v71, v56, v58, v71 op_sel:[0,1,0]
	v_pk_fma_f16 v70, v57, v58, v70 op_sel_hi:[1,0,1]
	v_pk_fma_f16 v46, v57, v58, v46 op_sel:[0,1,0]
	ds_read2_b64 v[54:57], v36 offset0:128 offset1:160
	s_waitcnt lgkmcnt(1)
	v_pk_fma_f16 v44, v66, v59, v44 op_sel_hi:[1,0,1]
	v_pk_fma_f16 v43, v66, v59, v43 op_sel:[0,1,0]
	v_pk_fma_f16 v24, v67, v59, v24 op_sel_hi:[1,0,1]
	v_pk_fma_f16 v53, v67, v59, v53 op_sel:[0,1,0]
	;; [unrolled: 2-line block ×4, first 2 shown]
	ds_read2_b64 v[66:69], v36 offset0:192 offset1:224
	s_waitcnt lgkmcnt(1)
	v_pk_fma_f16 v44, v54, v60, v44 op_sel_hi:[1,0,1]
	v_pk_fma_f16 v43, v54, v60, v43 op_sel:[0,1,0]
	v_pk_fma_f16 v24, v55, v60, v24 op_sel_hi:[1,0,1]
	v_pk_fma_f16 v53, v55, v60, v53 op_sel:[0,1,0]
	;; [unrolled: 2-line block ×4, first 2 shown]
	ds_read2_b64 v[54:57], v106 offset1:32
	s_waitcnt lgkmcnt(1)
	v_pk_fma_f16 v44, v66, v61, v44 op_sel_hi:[1,0,1]
	v_pk_fma_f16 v43, v66, v61, v43 op_sel:[0,1,0]
	v_pk_fma_f16 v24, v67, v61, v24 op_sel_hi:[1,0,1]
	v_pk_fma_f16 v53, v67, v61, v53 op_sel:[0,1,0]
	;; [unrolled: 2-line block ×4, first 2 shown]
	ds_read2_b64 v[58:61], v106 offset0:64 offset1:96
	s_waitcnt lgkmcnt(1)
	v_pk_fma_f16 v44, v54, v62, v44 op_sel_hi:[1,0,1]
	v_pk_fma_f16 v43, v54, v62, v43 op_sel:[0,1,0]
	v_pk_fma_f16 v24, v55, v62, v24 op_sel_hi:[1,0,1]
	v_pk_fma_f16 v53, v55, v62, v53 op_sel:[0,1,0]
	;; [unrolled: 2-line block ×4, first 2 shown]
	ds_read2_b64 v[54:57], v106 offset0:128 offset1:160
	s_waitcnt lgkmcnt(1)
	v_pk_fma_f16 v44, v58, v63, v44 op_sel_hi:[1,0,1]
	s_addc_u32 s9, s13, s9
	v_pk_fma_f16 v107, v60, v63, v45 op_sel_hi:[1,0,1]
	v_add_co_u32_e32 v45, vcc, s8, v20
	s_waitcnt lgkmcnt(0)
	v_pk_fma_f16 v110, v54, v64, v44 op_sel_hi:[1,0,1]
	v_mov_b32_e32 v44, s9
	v_addc_co_u32_e32 v62, vcc, v44, v21, vcc
	v_add_co_u32_e32 v44, vcc, v45, v33
	v_addc_co_u32_e32 v45, vcc, 0, v62, vcc
	v_pk_fma_f16 v43, v58, v63, v43 op_sel:[0,1,0]
	v_pk_fma_f16 v24, v59, v63, v24 op_sel_hi:[1,0,1]
	v_pk_fma_f16 v53, v59, v63, v53 op_sel:[0,1,0]
	v_pk_fma_f16 v108, v60, v63, v66 op_sel:[0,1,0]
	v_pk_fma_f16 v109, v61, v63, v67 op_sel_hi:[1,0,1]
	v_pk_fma_f16 v46, v61, v63, v46 op_sel:[0,1,0]
	v_mov_b32_e32 v62, s9
	v_add_co_u32_e32 v63, vcc, s8, v22
	v_addc_co_u32_e32 v98, vcc, v62, v23, vcc
	v_add_u32_e32 v111, 0x1000, v36
	v_add_u32_e32 v112, 0x1800, v36
	v_add_co_u32_e32 v62, vcc, v63, v33
	ds_read2_b64 v[58:61], v106 offset0:192 offset1:224
	ds_read2_b64 v[66:69], v111 offset1:32
	ds_read2_b64 v[70:73], v111 offset0:64 offset1:96
	ds_read2_b64 v[74:77], v111 offset0:128 offset1:160
	;; [unrolled: 1-line block ×3, first 2 shown]
	ds_read2_b64 v[82:85], v112 offset1:32
	ds_read2_b64 v[86:89], v112 offset0:64 offset1:96
	ds_read2_b64 v[90:93], v112 offset0:128 offset1:160
	;; [unrolled: 1-line block ×3, first 2 shown]
	s_waitcnt lgkmcnt(0)
	s_barrier
	v_addc_co_u32_e32 v63, vcc, 0, v98, vcc
	global_load_dwordx4 v[98:101], v[44:45], off
	global_load_dwordx4 v[102:105], v[62:63], off
	v_pk_fma_f16 v43, v54, v64, v43 op_sel:[0,1,0]
	v_pk_fma_f16 v24, v55, v64, v24 op_sel_hi:[1,0,1]
	v_pk_fma_f16 v44, v55, v64, v53 op_sel:[0,1,0]
	v_pk_fma_f16 v45, v56, v64, v107 op_sel_hi:[1,0,1]
	;; [unrolled: 2-line block ×35, first 2 shown]
	v_pk_fma_f16 v0, v93, v2, v0 op_sel:[0,1,0]
	v_pk_fma_f16 v45, v94, v3, v4 op_sel:[0,1,0]
	v_pk_fma_f16 v46, v95, v3, v5 op_sel_hi:[1,0,1]
	v_pk_fma_f16 v53, v95, v3, v6 op_sel:[0,1,0]
	v_pk_fma_f16 v70, v96, v3, v7 op_sel_hi:[1,0,1]
	s_waitcnt vmcnt(1)
	ds_write_b128 v34, v[98:101]
	s_waitcnt vmcnt(0)
	ds_write_b128 v35, v[102:105]
	s_waitcnt lgkmcnt(0)
	s_barrier
	ds_read2_b64 v[4:7], v36 offset1:32
	ds_read_b128 v[54:57], v31 offset:64
	v_pk_fma_f16 v44, v94, v3, v1 op_sel_hi:[1,0,1]
	v_pk_fma_f16 v24, v96, v3, v24 op_sel:[0,1,0]
	v_pk_fma_f16 v43, v97, v3, v43 op_sel_hi:[1,0,1]
	v_pk_fma_f16 v71, v97, v3, v0 op_sel:[0,1,0]
	ds_read_b128 v[0:3], v31 offset:80
	ds_read_b128 v[58:61], v31 offset:96
	;; [unrolled: 1-line block ×3, first 2 shown]
	ds_read2_b64 v[66:69], v36 offset0:64 offset1:96
	s_waitcnt lgkmcnt(4)
	v_pk_fma_f16 v44, v4, v54, v44 op_sel_hi:[1,0,1]
	v_pk_fma_f16 v4, v4, v54, v45 op_sel:[0,1,0]
	v_pk_fma_f16 v45, v5, v54, v46 op_sel_hi:[1,0,1]
	v_pk_fma_f16 v5, v5, v54, v53 op_sel:[0,1,0]
	;; [unrolled: 2-line block ×4, first 2 shown]
	s_waitcnt lgkmcnt(0)
	v_pk_fma_f16 v44, v66, v55, v44 op_sel_hi:[1,0,1]
	v_pk_fma_f16 v54, v66, v55, v4 op_sel:[0,1,0]
	v_pk_fma_f16 v66, v67, v55, v5 op_sel:[0,1,0]
	ds_read2_b64 v[4:7], v36 offset0:128 offset1:160
	v_pk_fma_f16 v45, v67, v55, v45 op_sel_hi:[1,0,1]
	v_pk_fma_f16 v46, v68, v55, v46 op_sel_hi:[1,0,1]
	v_pk_fma_f16 v24, v68, v55, v24 op_sel:[0,1,0]
	v_pk_fma_f16 v43, v69, v55, v43 op_sel_hi:[1,0,1]
	v_pk_fma_f16 v53, v69, v55, v53 op_sel:[0,1,0]
	s_waitcnt lgkmcnt(0)
	v_pk_fma_f16 v45, v5, v56, v45 op_sel_hi:[1,0,1]
	v_pk_fma_f16 v5, v5, v56, v66 op_sel:[0,1,0]
	ds_read2_b64 v[66:69], v36 offset0:192 offset1:224
	v_pk_fma_f16 v44, v4, v56, v44 op_sel_hi:[1,0,1]
	v_pk_fma_f16 v4, v4, v56, v54 op_sel:[0,1,0]
	v_pk_fma_f16 v46, v6, v56, v46 op_sel_hi:[1,0,1]
	v_pk_fma_f16 v24, v6, v56, v24 op_sel:[0,1,0]
	;; [unrolled: 2-line block ×3, first 2 shown]
	s_waitcnt lgkmcnt(0)
	v_pk_fma_f16 v54, v66, v57, v4 op_sel:[0,1,0]
	v_pk_fma_f16 v55, v67, v57, v5 op_sel:[0,1,0]
	ds_read2_b64 v[4:7], v106 offset1:32
	v_pk_fma_f16 v44, v66, v57, v44 op_sel_hi:[1,0,1]
	v_pk_fma_f16 v45, v67, v57, v45 op_sel_hi:[1,0,1]
	v_pk_fma_f16 v46, v68, v57, v46 op_sel_hi:[1,0,1]
	v_pk_fma_f16 v24, v68, v57, v24 op_sel:[0,1,0]
	v_pk_fma_f16 v43, v69, v57, v43 op_sel_hi:[1,0,1]
	v_pk_fma_f16 v53, v69, v57, v53 op_sel:[0,1,0]
	s_waitcnt lgkmcnt(0)
	v_pk_fma_f16 v44, v4, v0, v44 op_sel_hi:[1,0,1]
	v_pk_fma_f16 v4, v4, v0, v54 op_sel:[0,1,0]
	v_pk_fma_f16 v45, v5, v0, v45 op_sel_hi:[1,0,1]
	v_pk_fma_f16 v5, v5, v0, v55 op_sel:[0,1,0]
	ds_read2_b64 v[54:57], v106 offset0:64 offset1:96
	v_pk_fma_f16 v46, v6, v0, v46 op_sel_hi:[1,0,1]
	v_pk_fma_f16 v24, v6, v0, v24 op_sel:[0,1,0]
	v_pk_fma_f16 v43, v7, v0, v43 op_sel_hi:[1,0,1]
	v_pk_fma_f16 v0, v7, v0, v53 op_sel:[0,1,0]
	s_waitcnt lgkmcnt(0)
	v_pk_fma_f16 v44, v54, v1, v44 op_sel_hi:[1,0,1]
	v_pk_fma_f16 v53, v54, v1, v4 op_sel:[0,1,0]
	v_pk_fma_f16 v54, v55, v1, v5 op_sel:[0,1,0]
	ds_read2_b64 v[4:7], v106 offset0:128 offset1:160
	v_pk_fma_f16 v45, v55, v1, v45 op_sel_hi:[1,0,1]
	v_pk_fma_f16 v46, v56, v1, v46 op_sel_hi:[1,0,1]
	v_pk_fma_f16 v24, v56, v1, v24 op_sel:[0,1,0]
	v_pk_fma_f16 v43, v57, v1, v43 op_sel_hi:[1,0,1]
	v_pk_fma_f16 v0, v57, v1, v0 op_sel:[0,1,0]
	s_waitcnt lgkmcnt(0)
	v_pk_fma_f16 v1, v4, v2, v44 op_sel_hi:[1,0,1]
	v_pk_fma_f16 v44, v5, v2, v45 op_sel_hi:[1,0,1]
	v_pk_fma_f16 v5, v5, v2, v54 op_sel:[0,1,0]
	ds_read2_b64 v[54:57], v106 offset0:192 offset1:224
	v_pk_fma_f16 v4, v4, v2, v53 op_sel:[0,1,0]
	v_pk_fma_f16 v45, v6, v2, v46 op_sel_hi:[1,0,1]
	v_pk_fma_f16 v24, v6, v2, v24 op_sel:[0,1,0]
	v_pk_fma_f16 v43, v7, v2, v43 op_sel_hi:[1,0,1]
	v_pk_fma_f16 v0, v7, v2, v0 op_sel:[0,1,0]
	s_waitcnt lgkmcnt(0)
	v_pk_fma_f16 v2, v54, v3, v4 op_sel:[0,1,0]
	v_pk_fma_f16 v46, v55, v3, v5 op_sel:[0,1,0]
	ds_read2_b64 v[4:7], v111 offset1:32
	v_pk_fma_f16 v1, v54, v3, v1 op_sel_hi:[1,0,1]
	v_pk_fma_f16 v44, v55, v3, v44 op_sel_hi:[1,0,1]
	v_pk_fma_f16 v45, v56, v3, v45 op_sel_hi:[1,0,1]
	v_pk_fma_f16 v24, v56, v3, v24 op_sel:[0,1,0]
	v_pk_fma_f16 v43, v57, v3, v43 op_sel_hi:[1,0,1]
	v_pk_fma_f16 v53, v57, v3, v0 op_sel:[0,1,0]
	s_waitcnt lgkmcnt(0)
	v_pk_fma_f16 v54, v4, v58, v1 op_sel_hi:[1,0,1]
	v_pk_fma_f16 v4, v4, v58, v2 op_sel:[0,1,0]
	ds_read2_b64 v[0:3], v111 offset0:64 offset1:96
	v_pk_fma_f16 v44, v5, v58, v44 op_sel_hi:[1,0,1]
	v_pk_fma_f16 v5, v5, v58, v46 op_sel:[0,1,0]
	v_pk_fma_f16 v45, v6, v58, v45 op_sel_hi:[1,0,1]
	v_pk_fma_f16 v24, v6, v58, v24 op_sel:[0,1,0]
	;; [unrolled: 2-line block ×3, first 2 shown]
	s_waitcnt lgkmcnt(0)
	v_pk_fma_f16 v53, v0, v59, v54 op_sel_hi:[1,0,1]
	v_pk_fma_f16 v0, v0, v59, v4 op_sel:[0,1,0]
	v_pk_fma_f16 v44, v1, v59, v44 op_sel_hi:[1,0,1]
	v_pk_fma_f16 v1, v1, v59, v5 op_sel:[0,1,0]
	ds_read2_b64 v[4:7], v111 offset0:128 offset1:160
	v_pk_fma_f16 v45, v2, v59, v45 op_sel_hi:[1,0,1]
	v_pk_fma_f16 v24, v2, v59, v24 op_sel:[0,1,0]
	v_pk_fma_f16 v43, v3, v59, v43 op_sel_hi:[1,0,1]
	v_pk_fma_f16 v46, v3, v59, v46 op_sel:[0,1,0]
	s_waitcnt lgkmcnt(0)
	v_pk_fma_f16 v53, v4, v60, v53 op_sel_hi:[1,0,1]
	v_pk_fma_f16 v4, v4, v60, v0 op_sel:[0,1,0]
	v_pk_fma_f16 v44, v5, v60, v44 op_sel_hi:[1,0,1]
	v_pk_fma_f16 v5, v5, v60, v1 op_sel:[0,1,0]
	ds_read2_b64 v[0:3], v111 offset0:192 offset1:224
	v_pk_fma_f16 v45, v6, v60, v45 op_sel_hi:[1,0,1]
	v_pk_fma_f16 v24, v6, v60, v24 op_sel:[0,1,0]
	v_pk_fma_f16 v43, v7, v60, v43 op_sel_hi:[1,0,1]
	v_pk_fma_f16 v46, v7, v60, v46 op_sel:[0,1,0]
	s_waitcnt lgkmcnt(0)
	v_pk_fma_f16 v53, v0, v61, v53 op_sel_hi:[1,0,1]
	v_pk_fma_f16 v0, v0, v61, v4 op_sel:[0,1,0]
	v_pk_fma_f16 v44, v1, v61, v44 op_sel_hi:[1,0,1]
	v_pk_fma_f16 v1, v1, v61, v5 op_sel:[0,1,0]
	ds_read2_b64 v[4:7], v112 offset1:32
	v_pk_fma_f16 v45, v2, v61, v45 op_sel_hi:[1,0,1]
	v_pk_fma_f16 v24, v2, v61, v24 op_sel:[0,1,0]
	v_pk_fma_f16 v43, v3, v61, v43 op_sel_hi:[1,0,1]
	v_pk_fma_f16 v46, v3, v61, v46 op_sel:[0,1,0]
	s_waitcnt lgkmcnt(0)
	v_pk_fma_f16 v53, v4, v62, v53 op_sel_hi:[1,0,1]
	v_pk_fma_f16 v4, v4, v62, v0 op_sel:[0,1,0]
	v_pk_fma_f16 v44, v5, v62, v44 op_sel_hi:[1,0,1]
	v_pk_fma_f16 v5, v5, v62, v1 op_sel:[0,1,0]
	ds_read2_b64 v[0:3], v112 offset0:64 offset1:96
	v_pk_fma_f16 v45, v6, v62, v45 op_sel_hi:[1,0,1]
	v_pk_fma_f16 v24, v6, v62, v24 op_sel:[0,1,0]
	v_pk_fma_f16 v43, v7, v62, v43 op_sel_hi:[1,0,1]
	v_pk_fma_f16 v46, v7, v62, v46 op_sel:[0,1,0]
	s_waitcnt lgkmcnt(0)
	v_pk_fma_f16 v53, v0, v63, v53 op_sel_hi:[1,0,1]
	v_pk_fma_f16 v0, v0, v63, v4 op_sel:[0,1,0]
	v_pk_fma_f16 v44, v1, v63, v44 op_sel_hi:[1,0,1]
	v_pk_fma_f16 v1, v1, v63, v5 op_sel:[0,1,0]
	ds_read2_b64 v[4:7], v112 offset0:128 offset1:160
	;; [unrolled: 10-line block ×3, first 2 shown]
	s_waitcnt lgkmcnt(0)
	s_barrier
	s_load_dword s8, s[0:1], 0x4
	v_pk_fma_f16 v45, v6, v64, v45 op_sel_hi:[1,0,1]
	v_pk_fma_f16 v6, v6, v64, v24 op_sel:[0,1,0]
	v_pk_fma_f16 v55, v7, v64, v43 op_sel_hi:[1,0,1]
	v_pk_fma_f16 v7, v7, v64, v46 op_sel:[0,1,0]
	s_waitcnt lgkmcnt(0)
	s_lshl_b32 s8, s8, 5
	s_add_i32 s6, s8, s6
	v_pk_fma_f16 v44, v2, v65, v53 op_sel_hi:[1,0,1]
	v_pk_fma_f16 v43, v2, v65, v0 op_sel:[0,1,0]
	v_pk_fma_f16 v24, v3, v65, v54 op_sel_hi:[1,0,1]
	v_pk_fma_f16 v0, v3, v65, v1 op_sel:[0,1,0]
	;; [unrolled: 2-line block ×3, first 2 shown]
	v_pk_fma_f16 v2, v5, v65, v55 op_sel_hi:[1,0,1]
	s_cmp_ge_i32 s6, s28
	v_pk_fma_f16 v1, v5, v65, v7 op_sel:[0,1,0]
	s_cbranch_scc1 .LBB62_18
.LBB62_10:                              ; =>This Inner Loop Header: Depth=1
	s_mul_hi_i32 s9, s6, s18
	s_mul_i32 s8, s6, s18
	s_lshl_b64 s[8:9], s[8:9], 2
	s_add_u32 s8, s10, s8
	s_addc_u32 s9, s11, s9
	v_mov_b32_e32 v4, s9
	v_add_co_u32_e32 v5, vcc, s8, v16
	v_addc_co_u32_e32 v6, vcc, v4, v17, vcc
	v_add_co_u32_e32 v4, vcc, v5, v37
	v_addc_co_u32_e32 v5, vcc, 0, v6, vcc
	v_mov_b32_e32 v6, s9
	v_add_co_u32_e32 v7, vcc, s8, v18
	v_addc_co_u32_e32 v46, vcc, v6, v19, vcc
	v_add_co_u32_e32 v6, vcc, v7, v37
	v_addc_co_u32_e32 v7, vcc, 0, v46, vcc
	global_load_dwordx4 v[46:49], v[4:5], off
	global_load_dwordx4 v[50:53], v[6:7], off
	s_waitcnt vmcnt(1)
	ds_write_b128 v27, v[46:49]
	s_waitcnt vmcnt(0)
	ds_write_b128 v28, v[50:53]
	s_waitcnt lgkmcnt(0)
	s_barrier
	ds_read_b128 v[48:51], v29
	ds_read_b128 v[52:55], v30
	v_mov_b32_e32 v47, 0
	ds_read_b128 v[56:59], v30 offset:512
	s_waitcnt lgkmcnt(1)
	;;#ASMSTART
	v_dot2_f32_f16 v47, v48, v52, v47
	;;#ASMEND
	;;#ASMSTART
	v_dot2_f32_f16 v47, v49, v53, v47
	;;#ASMEND
	v_mov_b32_e32 v46, 0
	;;#ASMSTART
	v_dot2_f32_f16 v47, v50, v54, v47
	;;#ASMEND
	;;#ASMSTART
	v_dot2_f32_f16 v47, v51, v55, v47
	;;#ASMEND
	s_waitcnt lgkmcnt(0)
	;;#ASMSTART
	v_dot2_f32_f16 v46, v48, v56, v46
	;;#ASMEND
	;;#ASMSTART
	v_dot2_f32_f16 v46, v49, v57, v46
	;;#ASMEND
	;;#ASMSTART
	v_dot2_f32_f16 v46, v50, v58, v46
	;;#ASMEND
	;;#ASMSTART
	v_dot2_f32_f16 v46, v51, v59, v46
	;;#ASMEND
	ds_read_b128 v[48:51], v29 offset:16
	ds_read_b128 v[52:55], v30 offset:16
	ds_read_b128 v[56:59], v30 offset:528
	s_waitcnt lgkmcnt(1)
	;;#ASMSTART
	v_dot2_f32_f16 v47, v48, v52, v47
	;;#ASMEND
	;;#ASMSTART
	v_dot2_f32_f16 v47, v49, v53, v47
	;;#ASMEND
	;;#ASMSTART
	v_dot2_f32_f16 v47, v50, v54, v47
	;;#ASMEND
	;;#ASMSTART
	v_dot2_f32_f16 v47, v51, v55, v47
	;;#ASMEND
	s_waitcnt lgkmcnt(0)
	;;#ASMSTART
	v_dot2_f32_f16 v46, v48, v56, v46
	;;#ASMEND
	;;#ASMSTART
	v_dot2_f32_f16 v46, v49, v57, v46
	;;#ASMEND
	;;#ASMSTART
	v_dot2_f32_f16 v46, v50, v58, v46
	;;#ASMEND
	;;#ASMSTART
	v_dot2_f32_f16 v46, v51, v59, v46
	;;#ASMEND
	ds_read_b128 v[48:51], v29 offset:32
	ds_read_b128 v[52:55], v30 offset:32
	ds_read_b128 v[56:59], v30 offset:544
	s_waitcnt lgkmcnt(1)
	;;#ASMSTART
	v_dot2_f32_f16 v47, v48, v52, v47
	;;#ASMEND
	;;#ASMSTART
	v_dot2_f32_f16 v47, v49, v53, v47
	;;#ASMEND
	;; [unrolled: 29-line block ×15, first 2 shown]
	;;#ASMSTART
	v_dot2_f32_f16 v47, v50, v54, v47
	;;#ASMEND
	;;#ASMSTART
	v_dot2_f32_f16 v47, v51, v55, v47
	;;#ASMEND
	s_waitcnt lgkmcnt(0)
	;;#ASMSTART
	v_dot2_f32_f16 v46, v48, v56, v46
	;;#ASMEND
	;;#ASMSTART
	v_dot2_f32_f16 v46, v49, v57, v46
	;;#ASMEND
	;; [unrolled: 3-line block ×4, first 2 shown]
	s_barrier
	global_load_dwordx4 v[48:51], v[4:5], off offset:256
	global_load_dwordx4 v[52:55], v[6:7], off offset:256
	s_waitcnt vmcnt(1)
	ds_write_b128 v27, v[48:51]
	s_waitcnt vmcnt(0)
	ds_write_b128 v28, v[52:55]
	s_waitcnt lgkmcnt(0)
	s_barrier
	ds_read_b128 v[4:7], v29
	ds_read_b128 v[48:51], v30 offset:256
	ds_read_b128 v[52:55], v30 offset:768
	s_waitcnt lgkmcnt(1)
	;;#ASMSTART
	v_dot2_f32_f16 v47, v4, v48, v47
	;;#ASMEND
	;;#ASMSTART
	v_dot2_f32_f16 v47, v5, v49, v47
	;;#ASMEND
	;;#ASMSTART
	v_dot2_f32_f16 v47, v6, v50, v47
	;;#ASMEND
	;;#ASMSTART
	v_dot2_f32_f16 v47, v7, v51, v47
	;;#ASMEND
	s_waitcnt lgkmcnt(0)
	;;#ASMSTART
	v_dot2_f32_f16 v46, v4, v52, v46
	;;#ASMEND
	;;#ASMSTART
	v_dot2_f32_f16 v46, v5, v53, v46
	;;#ASMEND
	;;#ASMSTART
	v_dot2_f32_f16 v46, v6, v54, v46
	;;#ASMEND
	;;#ASMSTART
	v_dot2_f32_f16 v46, v7, v55, v46
	;;#ASMEND
	ds_read_b128 v[4:7], v29 offset:16
	ds_read_b128 v[48:51], v30 offset:272
	ds_read_b128 v[52:55], v30 offset:784
	s_waitcnt lgkmcnt(1)
	;;#ASMSTART
	v_dot2_f32_f16 v47, v4, v48, v47
	;;#ASMEND
	;;#ASMSTART
	v_dot2_f32_f16 v47, v5, v49, v47
	;;#ASMEND
	;;#ASMSTART
	v_dot2_f32_f16 v47, v6, v50, v47
	;;#ASMEND
	;;#ASMSTART
	v_dot2_f32_f16 v47, v7, v51, v47
	;;#ASMEND
	s_waitcnt lgkmcnt(0)
	;;#ASMSTART
	v_dot2_f32_f16 v46, v4, v52, v46
	;;#ASMEND
	;;#ASMSTART
	v_dot2_f32_f16 v46, v5, v53, v46
	;;#ASMEND
	;;#ASMSTART
	v_dot2_f32_f16 v46, v6, v54, v46
	;;#ASMEND
	;;#ASMSTART
	v_dot2_f32_f16 v46, v7, v55, v46
	;;#ASMEND
	ds_read_b128 v[4:7], v29 offset:32
	;; [unrolled: 29-line block ×14, first 2 shown]
	ds_read_b128 v[48:51], v30 offset:480
	v_add_u32_e32 v52, s6, v14
	v_ashrrev_i32_e32 v53, 31, v52
	v_lshlrev_b64 v[56:57], 1, v[52:53]
	ds_read_b128 v[52:55], v30 offset:992
	s_waitcnt lgkmcnt(1)
	;;#ASMSTART
	v_dot2_f32_f16 v47, v4, v48, v47
	;;#ASMEND
	;;#ASMSTART
	v_dot2_f32_f16 v47, v5, v49, v47
	;;#ASMEND
	;; [unrolled: 3-line block ×4, first 2 shown]
	s_waitcnt lgkmcnt(0)
	;;#ASMSTART
	v_dot2_f32_f16 v46, v4, v52, v46
	;;#ASMEND
	;;#ASMSTART
	v_dot2_f32_f16 v46, v5, v53, v46
	;;#ASMEND
	;; [unrolled: 3-line block ×4, first 2 shown]
	ds_read_b128 v[4:7], v29 offset:240
	ds_read_b128 v[48:51], v30 offset:496
	;; [unrolled: 1-line block ×3, first 2 shown]
	s_waitcnt lgkmcnt(1)
	;;#ASMSTART
	v_dot2_f32_f16 v47, v4, v48, v47
	;;#ASMEND
	;;#ASMSTART
	v_dot2_f32_f16 v47, v5, v49, v47
	;;#ASMEND
	;; [unrolled: 3-line block ×4, first 2 shown]
	s_waitcnt lgkmcnt(0)
	;;#ASMSTART
	v_dot2_f32_f16 v46, v4, v52, v46
	;;#ASMEND
	v_add_co_u32_e32 v56, vcc, s30, v56
	;;#ASMSTART
	v_dot2_f32_f16 v46, v5, v53, v46
	;;#ASMEND
	v_addc_co_u32_e32 v57, vcc, v38, v57, vcc
	;;#ASMSTART
	v_dot2_f32_f16 v46, v6, v54, v46
	;;#ASMEND
	;;#ASMSTART
	v_dot2_f32_f16 v46, v7, v55, v46
	;;#ASMEND
	flat_load_ushort v5, v[56:57]
	v_cmp_nlt_f32_e64 s[8:9], |v47|, s19
                                        ; implicit-def: $vgpr4
	s_and_saveexec_b64 s[34:35], s[8:9]
	s_xor_b64 s[8:9], exec, s[34:35]
	s_cbranch_execz .LBB62_12
; %bb.11:                               ;   in Loop: Header=BB62_10 Depth=1
	v_add_f32_e64 v4, |v47|, |v47|
	v_mul_f32_e32 v6, 0x3fb8aa3b, v4
	v_rndne_f32_e32 v7, v6
	v_sub_f32_e32 v48, v6, v7
	v_fma_f32 v6, v4, s24, -v6
	v_fmac_f32_e32 v6, 0x32a5705f, v4
	v_add_f32_e32 v6, v48, v6
	v_cvt_i32_f32_e32 v7, v7
	v_exp_f32_e32 v6, v6
	v_cmp_ngt_f32_e32 vcc, s25, v4
	v_ldexp_f32 v6, v6, v7
	v_cndmask_b32_e32 v6, 0, v6, vcc
	v_cmp_nlt_f32_e32 vcc, s26, v4
	v_cndmask_b32_e32 v4, v42, v6, vcc
	v_add_f32_e32 v4, 1.0, v4
	v_rcp_f32_e32 v4, v4
	v_fma_f32 v4, v4, -2.0, 1.0
.LBB62_12:                              ;   in Loop: Header=BB62_10 Depth=1
	s_andn2_saveexec_b64 s[8:9], s[8:9]
; %bb.13:                               ;   in Loop: Header=BB62_10 Depth=1
	v_mul_f32_e32 v4, v47, v47
	v_mov_b32_e32 v6, 0x3ca908c9
	v_fmac_f32_e32 v6, 0xbbbac73d, v4
	v_fma_f32 v6, v4, v6, v39
	v_fma_f32 v6, v4, v6, v40
	;; [unrolled: 1-line block ×3, first 2 shown]
	v_mul_f32_e64 v6, |v47|, v6
	v_fma_f32 v4, v4, v6, |v47|
; %bb.14:                               ;   in Loop: Header=BB62_10 Depth=1
	s_or_b64 exec, exec, s[8:9]
	v_and_b32_e32 v6, 0x60, v15
	v_add_u32_e32 v48, 32, v6
	v_xor_b32_e32 v49, 16, v15
	v_cmp_lt_i32_e32 vcc, v49, v48
	v_bfi_b32 v4, s27, v4, v47
	v_cndmask_b32_e32 v6, v15, v49, vcc
	s_waitcnt vmcnt(0) lgkmcnt(0)
	v_fma_mix_f32 v4, v4, s14, v5 op_sel_hi:[0,0,1]
	v_lshlrev_b32_e32 v57, 2, v6
	v_add_f32_e32 v6, 0x40051340, v4
	v_max_f32_e32 v7, v10, v10
	v_max_f32_e32 v6, v7, v6
	ds_bpermute_b32 v7, v57, v6
	v_xor_b32_e32 v47, 8, v15
	v_cmp_lt_i32_e32 vcc, v47, v48
	v_cndmask_b32_e32 v50, v15, v47, vcc
	v_lshlrev_b32_e32 v55, 2, v50
	s_waitcnt lgkmcnt(0)
	v_max_f32_e32 v7, v7, v7
	v_max_f32_e32 v6, v6, v7
	ds_bpermute_b32 v7, v55, v6
	v_xor_b32_e32 v50, 4, v15
	v_cmp_lt_i32_e32 vcc, v50, v48
	v_cndmask_b32_e32 v51, v15, v50, vcc
	v_lshlrev_b32_e32 v53, 2, v51
	s_waitcnt lgkmcnt(0)
	;; [unrolled: 8-line block ×4, first 2 shown]
	v_max_f32_e32 v7, v7, v7
	v_max_f32_e32 v6, v6, v7
	ds_bpermute_b32 v7, v56, v6
	v_cmp_nlt_f32_e64 s[8:9], |v46|, s19
                                        ; implicit-def: $vgpr58
	s_and_saveexec_b64 s[34:35], s[8:9]
	s_xor_b64 s[8:9], exec, s[34:35]
	s_cbranch_execz .LBB62_16
; %bb.15:                               ;   in Loop: Header=BB62_10 Depth=1
	v_add_f32_e64 v58, |v46|, |v46|
	v_mul_f32_e32 v59, 0x3fb8aa3b, v58
	v_rndne_f32_e32 v60, v59
	v_sub_f32_e32 v61, v59, v60
	v_fma_f32 v59, v58, s24, -v59
	v_fmac_f32_e32 v59, 0x32a5705f, v58
	v_add_f32_e32 v59, v61, v59
	v_cvt_i32_f32_e32 v60, v60
	v_exp_f32_e32 v59, v59
	v_cmp_ngt_f32_e32 vcc, s25, v58
	v_ldexp_f32 v59, v59, v60
	v_cndmask_b32_e32 v59, 0, v59, vcc
	v_cmp_nlt_f32_e32 vcc, s26, v58
	v_cndmask_b32_e32 v58, v42, v59, vcc
	v_add_f32_e32 v58, 1.0, v58
	v_rcp_f32_e32 v58, v58
	v_fma_f32 v58, v58, -2.0, 1.0
.LBB62_16:                              ;   in Loop: Header=BB62_10 Depth=1
	s_andn2_saveexec_b64 s[8:9], s[8:9]
	s_cbranch_execz .LBB62_9
; %bb.17:                               ;   in Loop: Header=BB62_10 Depth=1
	v_mul_f32_e32 v58, v46, v46
	v_mov_b32_e32 v59, 0x3ca908c9
	v_fmac_f32_e32 v59, 0xbbbac73d, v58
	v_fma_f32 v59, v58, v59, v39
	v_fma_f32 v59, v58, v59, v40
	;; [unrolled: 1-line block ×3, first 2 shown]
	v_mul_f32_e64 v59, |v46|, v59
	v_fma_f32 v58, v58, v59, |v46|
	s_branch .LBB62_9
.LBB62_18:
	v_cmp_lt_i32_e32 vcc, v49, v48
	v_cndmask_b32_e32 v4, v15, v49, vcc
	v_lshlrev_b32_e32 v5, 2, v4
	ds_bpermute_b32 v4, v5, v12
	ds_bpermute_b32 v5, v5, v13
	v_cmp_lt_i32_e32 vcc, v47, v48
	v_cndmask_b32_e32 v6, v15, v47, vcc
	v_lshlrev_b32_e32 v7, 2, v6
	v_cmp_lt_i32_e32 vcc, v50, v48
	s_waitcnt lgkmcnt(0)
	v_pk_add_f32 v[4:5], v[12:13], v[4:5]
	ds_bpermute_b32 v6, v7, v4
	ds_bpermute_b32 v7, v7, v5
	v_cndmask_b32_e32 v12, v15, v50, vcc
	v_lshlrev_b32_e32 v12, 2, v12
	v_cmp_lt_i32_e32 vcc, v51, v48
	s_cmp_lg_u64 s[16:17], 0
	s_waitcnt lgkmcnt(0)
	v_pk_add_f32 v[4:5], v[4:5], v[6:7]
	ds_bpermute_b32 v6, v12, v4
	ds_bpermute_b32 v7, v12, v5
	v_cndmask_b32_e32 v12, v15, v51, vcc
	v_lshlrev_b32_e32 v12, 2, v12
	v_cmp_lt_i32_e32 vcc, v52, v48
	s_cselect_b64 s[0:1], -1, 0
	s_waitcnt lgkmcnt(0)
	v_pk_add_f32 v[4:5], v[4:5], v[6:7]
	ds_bpermute_b32 v6, v12, v4
	ds_bpermute_b32 v7, v12, v5
	v_cndmask_b32_e32 v12, v15, v52, vcc
	v_lshlrev_b32_e32 v12, 2, v12
	s_cmp_eq_u32 s7, 0
	s_cselect_b64 s[8:9], -1, 0
	s_waitcnt lgkmcnt(0)
	v_pk_add_f32 v[4:5], v[4:5], v[6:7]
	ds_bpermute_b32 v6, v12, v4
	ds_bpermute_b32 v7, v12, v5
	s_and_b64 s[0:1], s[8:9], s[0:1]
	s_and_b64 vcc, exec, s[0:1]
	s_waitcnt lgkmcnt(0)
	v_pk_add_f32 v[4:5], v[4:5], v[6:7]
	s_cbranch_vccz .LBB62_20
; %bb.19:
	v_add_u32_e32 v6, s29, v25
	v_ashrrev_i32_e32 v7, 31, v6
	v_lshlrev_b64 v[6:7], 2, v[6:7]
	v_mov_b32_e32 v12, s17
	v_add_co_u32_e32 v6, vcc, s16, v6
	v_addc_co_u32_e32 v7, vcc, v12, v7, vcc
	global_load_dwordx2 v[6:7], v[6:7], off
	v_max_f32_e32 v12, v11, v11
	v_max_f32_e32 v14, v10, v10
	s_mov_b32 s0, 0x3fb8aa3b
	s_mov_b32 s1, 0xc2ce8ed0
	;; [unrolled: 1-line block ×3, first 2 shown]
	v_mov_b32_e32 v15, 0x7f800000
	s_waitcnt vmcnt(0)
	v_max_f32_e32 v13, v7, v7
	v_max_f32_e32 v16, v6, v6
	;; [unrolled: 1-line block ×4, first 2 shown]
	v_pk_add_f32 v[10:11], v[10:11], v[12:13] neg_lo:[0,1] neg_hi:[0,1]
	v_mul_f32_e32 v14, 0x3fb8aa3b, v11
	v_pk_add_f32 v[6:7], v[6:7], v[12:13] neg_lo:[0,1] neg_hi:[0,1]
	v_mul_f32_e32 v16, 0x3fb8aa3b, v10
	v_fma_f32 v19, v11, s0, -v14
	v_rndne_f32_e32 v20, v14
	v_mul_f32_e32 v17, 0x3fb8aa3b, v7
	v_fma_f32 v21, v10, s0, -v16
	v_rndne_f32_e32 v22, v16
	v_fmac_f32_e32 v19, 0x32a5705f, v11
	v_sub_f32_e32 v14, v14, v20
	v_mul_f32_e32 v18, 0x3fb8aa3b, v6
	v_fma_f32 v23, v7, s0, -v17
	v_rndne_f32_e32 v27, v17
	v_fmac_f32_e32 v21, 0x32a5705f, v10
	v_sub_f32_e32 v16, v16, v22
	v_add_f32_e32 v14, v14, v19
	v_fma_f32 v28, v6, s0, -v18
	v_rndne_f32_e32 v29, v18
	v_cvt_i32_f32_e32 v20, v20
	v_fmac_f32_e32 v23, 0x32a5705f, v7
	v_sub_f32_e32 v17, v17, v27
	v_add_f32_e32 v16, v16, v21
	v_exp_f32_e32 v14, v14
	v_cvt_i32_f32_e32 v22, v22
	v_fmac_f32_e32 v28, 0x32a5705f, v6
	v_sub_f32_e32 v18, v18, v29
	v_add_f32_e32 v17, v17, v23
	v_exp_f32_e32 v16, v16
	v_cvt_i32_f32_e32 v27, v27
	v_add_f32_e32 v18, v18, v28
	v_exp_f32_e32 v17, v17
	v_cvt_i32_f32_e32 v29, v29
	v_exp_f32_e32 v18, v18
	v_ldexp_f32 v14, v14, v20
	v_cmp_ngt_f32_e32 vcc, s1, v11
	v_ldexp_f32 v16, v16, v22
	v_cndmask_b32_e32 v14, 0, v14, vcc
	v_cmp_ngt_f32_e32 vcc, s1, v10
	v_ldexp_f32 v17, v17, v27
	v_cndmask_b32_e32 v16, 0, v16, vcc
	;; [unrolled: 3-line block ×3, first 2 shown]
	v_cmp_ngt_f32_e32 vcc, s1, v6
	v_cndmask_b32_e32 v18, 0, v18, vcc
	v_cmp_nlt_f32_e32 vcc, s6, v11
	v_cndmask_b32_e32 v11, v15, v14, vcc
	v_cmp_nlt_f32_e32 vcc, s6, v10
	;; [unrolled: 2-line block ×4, first 2 shown]
	v_cndmask_b32_e32 v6, v15, v18, vcc
	v_cvt_f16_f32_e32 v14, v10
	v_pk_fma_f32 v[4:5], v[4:5], v[10:11], v[6:7]
	v_cvt_f16_f32_e32 v6, v11
	v_pk_mov_b32 v[10:11], v[12:13], v[12:13] op_sel:[0,1]
	v_pk_mul_f16 v44, v14, v44 op_sel_hi:[0,1]
	v_pk_mul_f16 v24, v14, v24 op_sel_hi:[0,1]
	;; [unrolled: 1-line block ×8, first 2 shown]
.LBB62_20:
	v_cmp_gt_i32_e32 vcc, s2, v9
	s_and_saveexec_b64 s[0:1], vcc
	s_cbranch_execz .LBB62_29
; %bb.21:
	s_load_dword s6, s[4:5], 0xd4
	v_mov_b32_e32 v12, 1.0
	s_waitcnt lgkmcnt(0)
	s_cmp_lg_u32 s6, 1
	s_cselect_b64 s[0:1], -1, 0
	s_cmp_eq_u32 s6, 1
	s_cselect_b64 s[4:5], -1, 0
	s_and_b64 vcc, exec, s[0:1]
	s_cbranch_vccnz .LBB62_23
; %bb.22:
	v_div_scale_f32 v6, s[8:9], v4, v4, 1.0
	v_rcp_f32_e32 v7, v6
	v_div_scale_f32 v12, vcc, 1.0, v4, 1.0
	v_fma_f32 v13, -v6, v7, 1.0
	v_fmac_f32_e32 v7, v13, v7
	v_mul_f32_e32 v13, v12, v7
	v_fma_f32 v14, -v6, v13, v12
	v_fmac_f32_e32 v13, v14, v7
	v_fma_f32 v6, -v6, v13, v12
	v_div_fmas_f32 v6, v6, v7, v13
	v_div_fixup_f32 v12, v6, v4, 1.0
.LBB62_23:
	s_mul_i32 s33, s33, s2
	v_add_u32_e32 v6, s33, v9
	v_mul_lo_u32 v6, v6, s3
	v_add3_u32 v6, s29, v25, v6
	v_mul_lo_u32 v6, s6, v6
	v_add_u32_e32 v6, s7, v6
	v_cvt_f32_f16_sdwa v17, v44 dst_sel:DWORD dst_unused:UNUSED_PAD src0_sel:WORD_1
	v_cvt_f32_f16_e32 v16, v44
	v_cvt_f32_f16_sdwa v19, v24 dst_sel:DWORD dst_unused:UNUSED_PAD src0_sel:WORD_1
	v_cvt_f32_f16_e32 v18, v24
	v_cmp_eq_u32_e32 vcc, 0, v8
	v_lshl_add_u32 v8, v6, 8, v26
	v_mov_b32_e32 v9, 0
	v_lshlrev_b64 v[14:15], 2, v[8:9]
	s_and_b64 s[0:1], vcc, s[0:1]
	v_mov_b32_e32 v7, s21
	v_add_co_u32_e32 v20, vcc, s20, v14
	v_addc_co_u32_e32 v21, vcc, v7, v15, vcc
	v_pk_mul_f32 v[14:15], v[12:13], v[16:17] op_sel_hi:[0,1]
	v_pk_mul_f32 v[16:17], v[12:13], v[18:19] op_sel_hi:[0,1]
	global_store_dwordx4 v[20:21], v[14:17], off
	v_add_u32_e32 v8, 0x80, v8
	v_cvt_f32_f16_sdwa v15, v45 dst_sel:DWORD dst_unused:UNUSED_PAD src0_sel:WORD_1
	v_cvt_f32_f16_e32 v14, v45
	v_cvt_f32_f16_sdwa v17, v2 dst_sel:DWORD dst_unused:UNUSED_PAD src0_sel:WORD_1
	v_cvt_f32_f16_e32 v16, v2
	v_lshlrev_b64 v[8:9], 2, v[8:9]
	v_add_co_u32_e32 v8, vcc, s20, v8
	v_addc_co_u32_e32 v9, vcc, v7, v9, vcc
	v_pk_mul_f32 v[14:15], v[12:13], v[14:15] op_sel_hi:[0,1]
	v_pk_mul_f32 v[16:17], v[12:13], v[16:17] op_sel_hi:[0,1]
	global_store_dwordx4 v[8:9], v[14:17], off
	s_and_saveexec_b64 s[2:3], s[0:1]
	s_cbranch_execz .LBB62_25
; %bb.24:
	v_ashrrev_i32_e32 v7, 31, v6
	v_lshlrev_b64 v[8:9], 3, v[6:7]
	v_mov_b32_e32 v2, s23
	v_add_co_u32_e32 v8, vcc, s22, v8
	v_addc_co_u32_e32 v9, vcc, v2, v9, vcc
	v_mov_b32_e32 v12, v10
	v_mov_b32_e32 v13, v4
	global_store_dwordx2 v[8:9], v[12:13], off
.LBB62_25:
	s_or_b64 exec, exec, s[2:3]
	s_andn2_b64 vcc, exec, s[4:5]
	v_mov_b32_e32 v4, 1.0
	s_cbranch_vccnz .LBB62_27
; %bb.26:
	v_div_scale_f32 v2, s[2:3], v5, v5, 1.0
	v_rcp_f32_e32 v4, v2
	v_div_scale_f32 v7, vcc, 1.0, v5, 1.0
	v_fma_f32 v8, -v2, v4, 1.0
	v_fmac_f32_e32 v4, v8, v4
	v_mul_f32_e32 v8, v7, v4
	v_fma_f32 v9, -v2, v8, v7
	v_fmac_f32_e32 v8, v9, v4
	v_fma_f32 v2, -v2, v8, v7
	v_div_fmas_f32 v2, v2, v4, v8
	v_div_fixup_f32 v4, v2, v5, 1.0
.LBB62_27:
	v_add_u32_e32 v2, s6, v6
	v_cvt_f32_f16_sdwa v9, v43 dst_sel:DWORD dst_unused:UNUSED_PAD src0_sel:WORD_1
	v_cvt_f32_f16_e32 v8, v43
	v_cvt_f32_f16_sdwa v15, v0 dst_sel:DWORD dst_unused:UNUSED_PAD src0_sel:WORD_1
	v_cvt_f32_f16_e32 v14, v0
	v_lshl_add_u32 v12, v2, 8, v26
	v_mov_b32_e32 v13, 0
	v_lshlrev_b64 v[6:7], 2, v[12:13]
	v_mov_b32_e32 v10, s21
	v_add_co_u32_e32 v16, vcc, s20, v6
	v_addc_co_u32_e32 v17, vcc, v10, v7, vcc
	v_pk_mul_f32 v[6:7], v[4:5], v[8:9] op_sel_hi:[0,1]
	v_pk_mul_f32 v[8:9], v[4:5], v[14:15] op_sel_hi:[0,1]
	v_add_u32_e32 v12, 0x80, v12
	global_store_dwordx4 v[16:17], v[6:9], off
	s_nop 0
	v_lshlrev_b64 v[6:7], 2, v[12:13]
	v_cvt_f32_f16_sdwa v9, v3 dst_sel:DWORD dst_unused:UNUSED_PAD src0_sel:WORD_1
	v_cvt_f32_f16_e32 v8, v3
	v_cvt_f32_f16_sdwa v13, v1 dst_sel:DWORD dst_unused:UNUSED_PAD src0_sel:WORD_1
	v_cvt_f32_f16_e32 v12, v1
	v_add_co_u32_e32 v0, vcc, s20, v6
	v_addc_co_u32_e32 v1, vcc, v10, v7, vcc
	v_pk_mul_f32 v[6:7], v[4:5], v[8:9] op_sel_hi:[0,1]
	v_pk_mul_f32 v[8:9], v[4:5], v[12:13] op_sel_hi:[0,1]
	global_store_dwordx4 v[0:1], v[6:9], off
	s_and_b64 exec, exec, s[0:1]
	s_cbranch_execz .LBB62_29
; %bb.28:
	v_ashrrev_i32_e32 v3, 31, v2
	v_lshlrev_b64 v[0:1], 3, v[2:3]
	v_mov_b32_e32 v2, s23
	v_add_co_u32_e32 v0, vcc, s22, v0
	v_addc_co_u32_e32 v1, vcc, v2, v1, vcc
	v_mov_b32_e32 v4, v11
	global_store_dwordx2 v[0:1], v[4:5], off
.LBB62_29:
	s_endpgm
	.section	.rodata,"a",@progbits
	.p2align	6, 0x0
	.amdhsa_kernel _ZL15flash_attn_tileILi256ELi256ELi4ELi4ELb1EEvPKcS1_S1_S1_S1_PKiPfP15HIP_vector_typeIfLj2EEffffjfiS5_IjLj3EEiiiiiiiiiiiliiliiiiil
		.amdhsa_group_segment_fixed_size 17920
		.amdhsa_private_segment_fixed_size 0
		.amdhsa_kernarg_size 464
		.amdhsa_user_sgpr_count 6
		.amdhsa_user_sgpr_private_segment_buffer 1
		.amdhsa_user_sgpr_dispatch_ptr 0
		.amdhsa_user_sgpr_queue_ptr 0
		.amdhsa_user_sgpr_kernarg_segment_ptr 1
		.amdhsa_user_sgpr_dispatch_id 0
		.amdhsa_user_sgpr_flat_scratch_init 0
		.amdhsa_user_sgpr_kernarg_preload_length 0
		.amdhsa_user_sgpr_kernarg_preload_offset 0
		.amdhsa_user_sgpr_private_segment_size 0
		.amdhsa_uses_dynamic_stack 0
		.amdhsa_system_sgpr_private_segment_wavefront_offset 0
		.amdhsa_system_sgpr_workgroup_id_x 1
		.amdhsa_system_sgpr_workgroup_id_y 1
		.amdhsa_system_sgpr_workgroup_id_z 1
		.amdhsa_system_sgpr_workgroup_info 0
		.amdhsa_system_vgpr_workitem_id 1
		.amdhsa_next_free_vgpr 113
		.amdhsa_next_free_sgpr 39
		.amdhsa_accum_offset 116
		.amdhsa_reserve_vcc 1
		.amdhsa_reserve_flat_scratch 0
		.amdhsa_float_round_mode_32 0
		.amdhsa_float_round_mode_16_64 0
		.amdhsa_float_denorm_mode_32 3
		.amdhsa_float_denorm_mode_16_64 3
		.amdhsa_dx10_clamp 1
		.amdhsa_ieee_mode 1
		.amdhsa_fp16_overflow 0
		.amdhsa_tg_split 0
		.amdhsa_exception_fp_ieee_invalid_op 0
		.amdhsa_exception_fp_denorm_src 0
		.amdhsa_exception_fp_ieee_div_zero 0
		.amdhsa_exception_fp_ieee_overflow 0
		.amdhsa_exception_fp_ieee_underflow 0
		.amdhsa_exception_fp_ieee_inexact 0
		.amdhsa_exception_int_div_zero 0
	.end_amdhsa_kernel
	.section	.text._ZL15flash_attn_tileILi256ELi256ELi4ELi4ELb1EEvPKcS1_S1_S1_S1_PKiPfP15HIP_vector_typeIfLj2EEffffjfiS5_IjLj3EEiiiiiiiiiiiliiliiiiil,"axG",@progbits,_ZL15flash_attn_tileILi256ELi256ELi4ELi4ELb1EEvPKcS1_S1_S1_S1_PKiPfP15HIP_vector_typeIfLj2EEffffjfiS5_IjLj3EEiiiiiiiiiiiliiliiiiil,comdat
.Lfunc_end62:
	.size	_ZL15flash_attn_tileILi256ELi256ELi4ELi4ELb1EEvPKcS1_S1_S1_S1_PKiPfP15HIP_vector_typeIfLj2EEffffjfiS5_IjLj3EEiiiiiiiiiiiliiliiiiil, .Lfunc_end62-_ZL15flash_attn_tileILi256ELi256ELi4ELi4ELb1EEvPKcS1_S1_S1_S1_PKiPfP15HIP_vector_typeIfLj2EEffffjfiS5_IjLj3EEiiiiiiiiiiiliiliiiiil
                                        ; -- End function
	.section	.AMDGPU.csdata,"",@progbits
; Kernel info:
; codeLenInByte = 10348
; NumSgprs: 43
; NumVgprs: 113
; NumAgprs: 0
; TotalNumVgprs: 113
; ScratchSize: 0
; MemoryBound: 0
; FloatMode: 240
; IeeeMode: 1
; LDSByteSize: 17920 bytes/workgroup (compile time only)
; SGPRBlocks: 5
; VGPRBlocks: 14
; NumSGPRsForWavesPerEU: 43
; NumVGPRsForWavesPerEU: 113
; AccumOffset: 116
; Occupancy: 3
; WaveLimiterHint : 1
; COMPUTE_PGM_RSRC2:SCRATCH_EN: 0
; COMPUTE_PGM_RSRC2:USER_SGPR: 6
; COMPUTE_PGM_RSRC2:TRAP_HANDLER: 0
; COMPUTE_PGM_RSRC2:TGID_X_EN: 1
; COMPUTE_PGM_RSRC2:TGID_Y_EN: 1
; COMPUTE_PGM_RSRC2:TGID_Z_EN: 1
; COMPUTE_PGM_RSRC2:TIDIG_COMP_CNT: 1
; COMPUTE_PGM_RSRC3_GFX90A:ACCUM_OFFSET: 28
; COMPUTE_PGM_RSRC3_GFX90A:TG_SPLIT: 0
	.section	.text._ZL15flash_attn_tileILi256ELi256ELi2ELi4ELb1EEvPKcS1_S1_S1_S1_PKiPfP15HIP_vector_typeIfLj2EEffffjfiS5_IjLj3EEiiiiiiiiiiiliiliiiiil,"axG",@progbits,_ZL15flash_attn_tileILi256ELi256ELi2ELi4ELb1EEvPKcS1_S1_S1_S1_PKiPfP15HIP_vector_typeIfLj2EEffffjfiS5_IjLj3EEiiiiiiiiiiiliiliiiiil,comdat
	.globl	_ZL15flash_attn_tileILi256ELi256ELi2ELi4ELb1EEvPKcS1_S1_S1_S1_PKiPfP15HIP_vector_typeIfLj2EEffffjfiS5_IjLj3EEiiiiiiiiiiiliiliiiiil ; -- Begin function _ZL15flash_attn_tileILi256ELi256ELi2ELi4ELb1EEvPKcS1_S1_S1_S1_PKiPfP15HIP_vector_typeIfLj2EEffffjfiS5_IjLj3EEiiiiiiiiiiiliiliiiiil
	.p2align	8
	.type	_ZL15flash_attn_tileILi256ELi256ELi2ELi4ELb1EEvPKcS1_S1_S1_S1_PKiPfP15HIP_vector_typeIfLj2EEffffjfiS5_IjLj3EEiiiiiiiiiiiliiliiiiil,@function
_ZL15flash_attn_tileILi256ELi256ELi2ELi4ELb1EEvPKcS1_S1_S1_S1_PKiPfP15HIP_vector_typeIfLj2EEffffjfiS5_IjLj3EEiiiiiiiiiiiliiliiiiil: ; @_ZL15flash_attn_tileILi256ELi256ELi2ELi4ELb1EEvPKcS1_S1_S1_S1_PKiPfP15HIP_vector_typeIfLj2EEffffjfiS5_IjLj3EEiiiiiiiiiiiliiliiiiil
; %bb.0:
	s_load_dwordx4 s[0:3], s[4:5], 0x5c
	s_load_dwordx2 s[28:29], s[4:5], 0x80
	s_load_dwordx2 s[34:35], s[4:5], 0xb8
	s_mov_b64 s[30:31], 0
	s_waitcnt lgkmcnt(0)
	s_ashr_i32 s9, s3, 31
	s_lshr_b32 s9, s9, 30
	s_add_i32 s9, s3, s9
	s_ashr_i32 s9, s9, 2
	v_cvt_f32_u32_e32 v1, s9
	s_sub_i32 s10, 0, s9
	v_rcp_iflag_f32_e32 v1, v1
	v_mul_f32_e32 v1, 0x4f7ffffe, v1
	v_cvt_u32_f32_e32 v1, v1
	v_readfirstlane_b32 s11, v1
	s_mul_i32 s10, s10, s11
	s_mul_hi_u32 s10, s11, s10
	s_add_i32 s11, s11, s10
	s_mul_hi_u32 s10, s8, s11
	s_mul_i32 s11, s10, s9
	s_sub_i32 s11, s8, s11
	s_add_i32 s12, s10, 1
	s_sub_i32 s13, s11, s9
	s_cmp_ge_u32 s11, s9
	s_cselect_b32 s10, s12, s10
	s_cselect_b32 s11, s13, s11
	s_add_i32 s12, s10, 1
	s_cmp_ge_u32 s11, s9
	s_cselect_b32 s33, s12, s10
	s_abs_i32 s9, s29
	v_cvt_f32_u32_e32 v1, s9
	s_lshl_b32 s8, s8, 2
	s_mul_i32 s12, s33, s3
	s_xor_b32 s10, s3, s29
	v_rcp_iflag_f32_e32 v1, v1
	s_sub_i32 s13, 0, s9
	s_sub_i32 s29, s8, s12
	s_abs_i32 s11, s3
	v_mul_f32_e32 v1, 0x4f7ffffe, v1
	v_cvt_u32_f32_e32 v1, v1
	s_ashr_i32 s10, s10, 31
	v_readfirstlane_b32 s8, v1
	s_mul_i32 s13, s13, s8
	s_mul_hi_u32 s12, s8, s13
	s_add_i32 s8, s8, s12
	s_mul_hi_u32 s8, s11, s8
	s_mul_i32 s12, s8, s9
	s_sub_i32 s11, s11, s12
	s_add_i32 s13, s8, 1
	s_sub_i32 s12, s11, s9
	s_cmp_ge_u32 s11, s9
	s_cselect_b32 s8, s13, s8
	s_cselect_b32 s11, s12, s11
	s_add_i32 s12, s8, 1
	s_cmp_ge_u32 s11, s9
	s_cselect_b32 s8, s12, s8
	s_xor_b32 s8, s8, s10
	s_sub_i32 s37, s8, s10
	s_abs_i32 s36, s37
	v_cvt_f32_u32_e32 v1, s36
	s_load_dwordx16 s[8:23], s[4:5], 0x0
	v_rcp_iflag_f32_e32 v1, v1
	s_waitcnt lgkmcnt(0)
	s_cmp_eq_u64 s[14:15], 0
	v_mul_f32_e32 v1, 0x4f7ffffe, v1
	v_cvt_u32_f32_e32 v1, v1
	v_readfirstlane_b32 s24, v1
	s_cbranch_scc1 .LBB63_2
; %bb.1:
	s_abs_i32 s25, s34
	v_cvt_f32_u32_e32 v1, s25
	s_sub_i32 s34, 0, s25
	s_abs_i32 s31, s33
	s_ashr_i32 s30, s33, 31
	v_rcp_iflag_f32_e32 v1, v1
	s_load_dwordx2 s[26:27], s[4:5], 0xc8
	v_mul_f32_e32 v1, 0x4f7ffffe, v1
	v_cvt_u32_f32_e32 v1, v1
	v_readfirstlane_b32 s38, v1
	s_mul_i32 s34, s34, s38
	s_mul_hi_u32 s34, s38, s34
	s_add_i32 s38, s38, s34
	s_mul_hi_u32 s34, s31, s38
	s_mul_i32 s34, s34, s25
	s_sub_i32 s31, s31, s34
	s_sub_i32 s34, s31, s25
	s_cmp_ge_u32 s31, s25
	s_cselect_b32 s31, s34, s31
	s_sub_i32 s34, s31, s25
	s_cmp_ge_u32 s31, s25
	s_cselect_b32 s25, s34, s31
	s_xor_b32 s25, s25, s30
	s_sub_i32 s25, s25, s30
	s_ashr_i32 s30, s25, 31
	s_waitcnt lgkmcnt(0)
	s_mul_i32 s27, s25, s27
	s_mul_hi_u32 s31, s25, s26
	s_add_i32 s27, s31, s27
	s_mul_i32 s30, s30, s26
	s_add_i32 s27, s27, s30
	s_mul_i32 s25, s25, s26
	s_add_u32 s30, s14, s25
	s_addc_u32 s31, s15, s27
.LBB63_2:
	s_load_dwordx4 s[40:43], s[4:5], 0x70
	v_bfe_u32 v1, v0, 10, 10
	v_and_b32_e32 v13, 3, v1
	v_lshrrev_b32_e32 v6, 2, v1
	v_lshl_add_u32 v34, s6, 1, v6
	s_waitcnt lgkmcnt(0)
	s_mul_i32 s14, s33, s42
	s_ashr_i32 s25, s14, 31
	s_mul_i32 s15, s29, s41
	s_add_u32 s8, s8, s14
	s_addc_u32 s9, s9, s25
	s_ashr_i32 s14, s15, 31
	s_add_u32 s15, s8, s15
	s_addc_u32 s14, s9, s14
	s_ashr_i32 s25, s41, 31
	v_mov_b32_e32 v2, s41
	v_alignbit_b32 v2, s25, v2, 2
	v_mad_u64_u32 v[4:5], s[8:9], v2, v13, 0
	v_mov_b32_e32 v2, v5
	s_lshr_b32 s8, s25, 2
	v_mad_u64_u32 v[2:3], s[8:9], s8, v13, v[2:3]
	v_mov_b32_e32 v5, v2
	v_mul_hi_u32 v2, s0, v34
	v_add_u32_e32 v2, v34, v2
	v_lshrrev_b32_e32 v2, s1, v2
	v_mul_lo_u32 v2, v2, s2
	s_ashr_i32 s8, s40, 31
	v_mov_b32_e32 v3, s40
	v_sub_u32_e32 v2, v34, v2
	v_alignbit_b32 v3, s8, v3, 2
	v_mad_u64_u32 v[6:7], s[0:1], v3, v2, 0
	v_mov_b32_e32 v8, v7
	s_lshr_b32 s0, s8, 2
	v_mad_u64_u32 v[8:9], s[0:1], s0, v2, v[8:9]
	v_lshlrev_b64 v[4:5], 2, v[4:5]
	v_mov_b32_e32 v7, v8
	v_and_b32_e32 v12, 0x3ff, v0
	v_mov_b32_e32 v0, s14
	v_add_co_u32_e32 v3, vcc, s15, v4
	v_addc_co_u32_e32 v0, vcc, v0, v5, vcc
	v_lshlrev_b64 v[4:5], 2, v[6:7]
	v_add_co_u32_e32 v3, vcc, v3, v4
	v_addc_co_u32_e32 v0, vcc, v0, v5, vcc
	v_lshlrev_b32_e32 v4, 4, v12
	v_add_co_u32_e32 v14, vcc, v3, v4
	v_addc_co_u32_e32 v15, vcc, 0, v0, vcc
	global_load_dwordx4 v[4:7], v[14:15], off
	global_load_dwordx4 v[8:11], v[14:15], off offset:512
	s_load_dword s0, s[4:5], 0x40
	s_mov_b32 s1, 0
	v_lshlrev_b32_e32 v0, 7, v1
	v_lshlrev_b32_e32 v3, 1, v12
	v_add_lshl_u32 v3, v3, v0, 2
	v_add_u32_e32 v3, 0x4000, v3
	s_cmp_eq_u64 s[18:19], 0
	s_waitcnt vmcnt(1) lgkmcnt(0)
	v_pk_mul_f32 v[4:5], v[4:5], s[0:1] op_sel_hi:[1,0]
	v_pk_mul_f32 v[6:7], v[6:7], s[0:1] op_sel_hi:[1,0]
	s_waitcnt vmcnt(0)
	v_pk_mul_f32 v[8:9], v[8:9], s[0:1] op_sel_hi:[1,0]
	v_pk_mul_f32 v[10:11], v[10:11], s[0:1] op_sel_hi:[1,0]
	v_cvt_f16_f32_e32 v14, v5
	v_cvt_f16_f32_e32 v4, v4
	;; [unrolled: 1-line block ×8, first 2 shown]
	v_pack_b32_f16 v5, v6, v5
	v_pack_b32_f16 v4, v4, v14
	v_pack_b32_f16 v7, v10, v7
	v_pack_b32_f16 v6, v8, v9
	ds_write2_b64 v3, v[4:5], v[6:7] offset0:128 offset1:160
	s_waitcnt lgkmcnt(0)
	s_barrier
	s_cbranch_scc1 .LBB63_4
; %bb.3:
	s_load_dword s0, s[4:5], 0xd0
	s_waitcnt lgkmcnt(0)
	s_mul_i32 s0, s0, s33
	s_add_i32 s0, s0, s6
	s_lshl_b64 s[0:1], s[0:1], 2
	s_add_u32 s0, s18, s0
	s_addc_u32 s1, s19, s1
	s_load_dword s28, s[0:1], 0x0
.LBB63_4:
	s_lshl_b32 s6, s7, 6
	v_lshlrev_b32_e32 v35, 2, v12
	s_waitcnt lgkmcnt(0)
	s_cmp_lt_i32 s6, s28
	v_mbcnt_lo_u32_b32 v3, -1, 0
	s_cbranch_scc1 .LBB63_6
; %bb.5:
	v_mbcnt_hi_u32_b32 v15, -1, v3
	v_and_b32_e32 v4, 0x60, v15
	s_mov_b32 s8, 0
	v_add_u32_e32 v58, 32, v4
	v_xor_b32_e32 v55, 16, v15
	v_xor_b32_e32 v56, 8, v15
	;; [unrolled: 1-line block ×5, first 2 shown]
	s_mov_b64 s[0:1], 0
	s_mov_b32 s9, 0xfeffffff
	s_branch .LBB63_7
.LBB63_6:
	s_mov_b64 s[0:1], -1
                                        ; implicit-def: $sgpr9
                                        ; implicit-def: $sgpr8
                                        ; implicit-def: $vgpr15
                                        ; implicit-def: $vgpr58
                                        ; implicit-def: $vgpr55
                                        ; implicit-def: $vgpr56
                                        ; implicit-def: $vgpr57
                                        ; implicit-def: $vgpr59
                                        ; implicit-def: $vgpr60
.LBB63_7:
	s_andn2_b64 vcc, exec, s[0:1]
	v_mov_b32_e32 v32, s9
	v_mov_b32_e32 v61, s8
	;; [unrolled: 1-line block ×6, first 2 shown]
	s_cbranch_vccnz .LBB63_19
; %bb.8:
	s_sub_i32 s0, 0, s36
	s_mul_i32 s0, s0, s24
	s_mul_hi_u32 s0, s24, s0
	s_abs_i32 s19, s29
	s_add_i32 s24, s24, s0
	s_mul_hi_u32 s34, s19, s24
	s_load_dwordx4 s[24:27], s[4:5], 0x98
	s_load_dword s14, s[4:5], 0x54
	s_load_dwordx2 s[0:1], s[4:5], 0x8c
	s_ashr_i32 s38, s29, 31
	s_ashr_i32 s37, s37, 31
	s_waitcnt lgkmcnt(0)
	s_ashr_i32 s15, s26, 2
	s_ashr_i32 s26, s35, 1
	;; [unrolled: 1-line block ×4, first 2 shown]
	s_mul_i32 s25, s33, s25
	s_mul_hi_u32 s35, s33, s24
	s_add_i32 s25, s35, s25
	s_mul_i32 s35, s0, s24
	s_add_i32 s25, s25, s35
	s_mul_i32 s24, s33, s24
	s_add_u32 s10, s10, s24
	s_addc_u32 s11, s11, s25
	s_mul_i32 s25, s34, s36
	s_sub_i32 s19, s19, s25
	s_xor_b32 s24, s38, s37
	s_add_i32 s25, s34, 1
	s_sub_i32 s35, s19, s36
	s_cmp_ge_u32 s19, s36
	s_cselect_b32 s25, s25, s34
	s_cselect_b32 s19, s35, s19
	s_add_i32 s34, s25, 1
	s_cmp_ge_u32 s19, s36
	s_load_dwordx2 s[8:9], s[4:5], 0xa8
	s_cselect_b32 s19, s34, s25
	s_xor_b32 s19, s19, s24
	s_sub_i32 s19, s19, s24
	s_mul_i32 s1, s19, s1
	s_ashr_i32 s24, s1, 31
	s_add_u32 s10, s10, s1
	s_waitcnt lgkmcnt(0)
	s_mul_i32 s1, s33, s9
	s_mul_hi_u32 s9, s33, s8
	s_addc_u32 s11, s11, s24
	s_add_i32 s1, s9, s1
	s_mul_i32 s0, s0, s8
	s_add_i32 s1, s1, s0
	s_mul_i32 s0, s33, s8
	s_add_u32 s0, s12, s0
	s_mul_i32 s19, s19, s27
	v_lshrrev_b32_e32 v4, 4, v12
	s_addc_u32 s1, s13, s1
	s_ashr_i32 s8, s19, 31
	v_lshl_add_u32 v5, v1, 1, v4
	v_and_b32_e32 v4, 60, v35
	s_add_u32 s12, s0, s19
	v_lshlrev_b32_e32 v6, 2, v4
	s_movk_i32 s0, 0x110
	s_addc_u32 s13, s1, s8
	v_mad_u32_u24 v33, v5, s0, v6
	v_mul_lo_u32 v6, s18, v5
	s_lshl_b32 s0, s18, 4
	v_add_u32_e32 v18, s0, v6
	v_add_u32_e32 v20, s0, v18
	v_add_u32_e32 v22, s0, v20
	v_mad_u64_u32 v[14:15], s[0:1], v2, s26, v[12:13]
	v_add_u32_e32 v41, 0x5400, v0
	v_mul_lo_u32 v0, s15, v1
	s_lshl_b32 s0, s15, 3
	v_add_u32_e32 v26, s0, v0
	v_add_u32_e32 v28, s0, v26
	v_lshlrev_b32_e32 v5, 9, v1
	v_add_u32_e32 v30, s0, v28
	v_ashrrev_i32_e32 v7, 31, v6
	v_ashrrev_i32_e32 v19, 31, v18
	;; [unrolled: 1-line block ×4, first 2 shown]
	v_lshl_add_u32 v43, v35, 2, v5
	v_ashrrev_i32_e32 v1, 31, v0
	v_ashrrev_i32_e32 v27, 31, v26
	;; [unrolled: 1-line block ×4, first 2 shown]
	s_add_u32 s0, s4, 0xd0
	v_mov_b32_e32 v8, 0
	v_add_u32_e32 v36, 0x1100, v33
	v_add_u32_e32 v37, 0x2200, v33
	;; [unrolled: 1-line block ×4, first 2 shown]
	v_mul_u32_u24_e32 v40, 0x110, v12
	v_lshl_add_u32 v42, v12, 1, v41
	v_add_u32_e32 v44, 0x1000, v43
	v_add_u32_e32 v45, 0x2000, v43
	;; [unrolled: 1-line block ×3, first 2 shown]
	v_lshlrev_b32_e32 v47, 3, v12
	s_addc_u32 s1, s5, 0
	v_mov_b32_e32 v11, 0xfeffffff
	v_lshlrev_b64 v[16:17], 2, v[6:7]
	v_lshlrev_b32_e32 v48, 2, v4
	v_lshlrev_b64 v[18:19], 2, v[18:19]
	v_lshlrev_b64 v[20:21], 2, v[20:21]
	;; [unrolled: 1-line block ×3, first 2 shown]
	s_mov_b32 s19, 0x3f200000
	s_mov_b32 s24, 0x3fb8aa3b
	;; [unrolled: 1-line block ×4, first 2 shown]
	v_mov_b32_e32 v49, 0xbd5c1c4e
	v_mov_b32_e32 v50, 0x3e088382
	;; [unrolled: 1-line block ×3, first 2 shown]
	s_brev_b32 s27, -2
	v_mbcnt_hi_u32_b32 v15, -1, v3
	v_lshlrev_b64 v[24:25], 2, v[0:1]
	v_lshlrev_b64 v[26:27], 2, v[26:27]
	;; [unrolled: 1-line block ×4, first 2 shown]
	v_mov_b32_e32 v52, 0x7f800000
	v_mov_b32_e32 v9, 0
	v_mov_b32_e32 v53, 0
	v_mov_b32_e32 v54, 0
	v_mov_b32_e32 v10, 0
.LBB63_9:                               ; =>This Inner Loop Header: Depth=1
	s_mul_hi_i32 s9, s6, s18
	s_mul_i32 s8, s6, s18
	s_lshl_b64 s[8:9], s[8:9], 2
	s_add_u32 s8, s10, s8
	s_addc_u32 s9, s11, s9
	v_mov_b32_e32 v0, s9
	v_add_co_u32_e32 v1, vcc, s8, v16
	v_addc_co_u32_e32 v2, vcc, v0, v17, vcc
	v_add_co_u32_e32 v0, vcc, v1, v48
	v_addc_co_u32_e32 v1, vcc, 0, v2, vcc
	v_mov_b32_e32 v2, s9
	v_add_co_u32_e32 v3, vcc, s8, v18
	v_addc_co_u32_e32 v4, vcc, v2, v19, vcc
	v_add_co_u32_e32 v2, vcc, v3, v48
	v_addc_co_u32_e32 v3, vcc, 0, v4, vcc
	;; [unrolled: 5-line block ×3, first 2 shown]
	v_mov_b32_e32 v6, s9
	v_add_co_u32_e32 v7, vcc, s8, v22
	v_addc_co_u32_e32 v32, vcc, v6, v23, vcc
	v_add_co_u32_e32 v6, vcc, v7, v48
	global_load_dwordx4 v[56:59], v[0:1], off
	global_load_dwordx4 v[60:63], v[2:3], off
	v_addc_co_u32_e32 v7, vcc, 0, v32, vcc
	global_load_dwordx4 v[64:67], v[4:5], off
	global_load_dwordx4 v[68:71], v[6:7], off
	v_mov_b32_e32 v32, 0
	v_mov_b32_e32 v55, 0
	s_waitcnt vmcnt(3)
	ds_write_b128 v33, v[56:59]
	s_waitcnt vmcnt(2)
	ds_write_b128 v36, v[60:63]
	;; [unrolled: 2-line block ×4, first 2 shown]
	s_waitcnt lgkmcnt(0)
	s_barrier
	ds_read_b128 v[56:59], v40
	ds_read_b128 v[60:63], v39
	ds_read_b128 v[64:67], v40 offset:8704
	s_waitcnt lgkmcnt(1)
	;;#ASMSTART
	v_dot2_f32_f16 v32, v56, v60, v32
	;;#ASMEND
	;;#ASMSTART
	v_dot2_f32_f16 v32, v57, v61, v32
	;;#ASMEND
	;;#ASMSTART
	v_dot2_f32_f16 v32, v58, v62, v32
	;;#ASMEND
	;;#ASMSTART
	v_dot2_f32_f16 v32, v59, v63, v32
	;;#ASMEND
	s_waitcnt lgkmcnt(0)
	;;#ASMSTART
	v_dot2_f32_f16 v55, v64, v60, v55
	;;#ASMEND
	;;#ASMSTART
	v_dot2_f32_f16 v55, v65, v61, v55
	;;#ASMEND
	;;#ASMSTART
	v_dot2_f32_f16 v55, v66, v62, v55
	;;#ASMEND
	;;#ASMSTART
	v_dot2_f32_f16 v55, v67, v63, v55
	;;#ASMEND
	ds_read_b128 v[56:59], v40 offset:16
	ds_read_b128 v[60:63], v39 offset:16
	ds_read_b128 v[64:67], v40 offset:8720
	s_waitcnt lgkmcnt(1)
	;;#ASMSTART
	v_dot2_f32_f16 v32, v56, v60, v32
	;;#ASMEND
	;;#ASMSTART
	v_dot2_f32_f16 v32, v57, v61, v32
	;;#ASMEND
	;;#ASMSTART
	v_dot2_f32_f16 v32, v58, v62, v32
	;;#ASMEND
	;;#ASMSTART
	v_dot2_f32_f16 v32, v59, v63, v32
	;;#ASMEND
	s_waitcnt lgkmcnt(0)
	;;#ASMSTART
	v_dot2_f32_f16 v55, v64, v60, v55
	;;#ASMEND
	;;#ASMSTART
	v_dot2_f32_f16 v55, v65, v61, v55
	;;#ASMEND
	;;#ASMSTART
	v_dot2_f32_f16 v55, v66, v62, v55
	;;#ASMEND
	;;#ASMSTART
	v_dot2_f32_f16 v55, v67, v63, v55
	;;#ASMEND
	ds_read_b128 v[56:59], v40 offset:32
	ds_read_b128 v[60:63], v39 offset:32
	;; [unrolled: 29-line block ×15, first 2 shown]
	ds_read_b128 v[64:67], v40 offset:8944
	s_waitcnt lgkmcnt(1)
	;;#ASMSTART
	v_dot2_f32_f16 v32, v56, v60, v32
	;;#ASMEND
	;;#ASMSTART
	v_dot2_f32_f16 v32, v57, v61, v32
	;;#ASMEND
	;; [unrolled: 3-line block ×4, first 2 shown]
	s_waitcnt lgkmcnt(0)
	;;#ASMSTART
	v_dot2_f32_f16 v55, v64, v60, v55
	;;#ASMEND
	;;#ASMSTART
	v_dot2_f32_f16 v55, v65, v61, v55
	;;#ASMEND
	;; [unrolled: 3-line block ×4, first 2 shown]
	s_barrier
	global_load_dwordx4 v[56:59], v[0:1], off offset:256
	global_load_dwordx4 v[60:63], v[2:3], off offset:256
	;; [unrolled: 1-line block ×4, first 2 shown]
	s_waitcnt vmcnt(3)
	ds_write_b128 v33, v[56:59]
	s_waitcnt vmcnt(2)
	ds_write_b128 v36, v[60:63]
	s_waitcnt vmcnt(1)
	ds_write_b128 v37, v[64:67]
	s_waitcnt vmcnt(0)
	ds_write_b128 v38, v[68:71]
	s_waitcnt lgkmcnt(0)
	s_barrier
	ds_read_b128 v[0:3], v40
	ds_read_b128 v[4:7], v39 offset:256
	ds_read_b128 v[56:59], v40 offset:8704
	s_waitcnt lgkmcnt(1)
	;;#ASMSTART
	v_dot2_f32_f16 v32, v0, v4, v32
	;;#ASMEND
	;;#ASMSTART
	v_dot2_f32_f16 v32, v1, v5, v32
	;;#ASMEND
	;;#ASMSTART
	v_dot2_f32_f16 v32, v2, v6, v32
	;;#ASMEND
	;;#ASMSTART
	v_dot2_f32_f16 v32, v3, v7, v32
	;;#ASMEND
	s_waitcnt lgkmcnt(0)
	;;#ASMSTART
	v_dot2_f32_f16 v55, v56, v4, v55
	;;#ASMEND
	;;#ASMSTART
	v_dot2_f32_f16 v55, v57, v5, v55
	;;#ASMEND
	;;#ASMSTART
	v_dot2_f32_f16 v55, v58, v6, v55
	;;#ASMEND
	;;#ASMSTART
	v_dot2_f32_f16 v55, v59, v7, v55
	;;#ASMEND
	ds_read_b128 v[0:3], v40 offset:16
	ds_read_b128 v[4:7], v39 offset:272
	ds_read_b128 v[56:59], v40 offset:8720
	s_waitcnt lgkmcnt(1)
	;;#ASMSTART
	v_dot2_f32_f16 v32, v0, v4, v32
	;;#ASMEND
	;;#ASMSTART
	v_dot2_f32_f16 v32, v1, v5, v32
	;;#ASMEND
	;;#ASMSTART
	v_dot2_f32_f16 v32, v2, v6, v32
	;;#ASMEND
	;;#ASMSTART
	v_dot2_f32_f16 v32, v3, v7, v32
	;;#ASMEND
	s_waitcnt lgkmcnt(0)
	;;#ASMSTART
	v_dot2_f32_f16 v55, v56, v4, v55
	;;#ASMEND
	;;#ASMSTART
	v_dot2_f32_f16 v55, v57, v5, v55
	;;#ASMEND
	;;#ASMSTART
	v_dot2_f32_f16 v55, v58, v6, v55
	;;#ASMEND
	;;#ASMSTART
	v_dot2_f32_f16 v55, v59, v7, v55
	;;#ASMEND
	ds_read_b128 v[0:3], v40 offset:32
	;; [unrolled: 29-line block ×15, first 2 shown]
	ds_read_b128 v[4:7], v39 offset:496
	ds_read_b128 v[56:59], v40 offset:8944
	s_waitcnt lgkmcnt(1)
	;;#ASMSTART
	v_dot2_f32_f16 v32, v0, v4, v32
	;;#ASMEND
	;;#ASMSTART
	v_dot2_f32_f16 v32, v1, v5, v32
	;;#ASMEND
	;; [unrolled: 3-line block ×4, first 2 shown]
	s_waitcnt lgkmcnt(0)
	;;#ASMSTART
	v_dot2_f32_f16 v55, v56, v4, v55
	;;#ASMEND
	;;#ASMSTART
	v_dot2_f32_f16 v55, v57, v5, v55
	;;#ASMEND
	;; [unrolled: 3-line block ×3, first 2 shown]
	v_cmp_nlt_f32_e64 s[8:9], |v32|, s19
	;;#ASMSTART
	v_dot2_f32_f16 v55, v59, v7, v55
	;;#ASMEND
                                        ; implicit-def: $vgpr3
	s_and_saveexec_b64 s[34:35], s[8:9]
	s_xor_b64 s[8:9], exec, s[34:35]
	s_cbranch_execz .LBB63_11
; %bb.10:                               ;   in Loop: Header=BB63_9 Depth=1
	v_add_f32_e64 v0, |v32|, |v32|
	v_mul_f32_e32 v1, 0x3fb8aa3b, v0
	v_rndne_f32_e32 v2, v1
	v_sub_f32_e32 v3, v1, v2
	v_fma_f32 v1, v0, s24, -v1
	v_fmac_f32_e32 v1, 0x32a5705f, v0
	v_add_f32_e32 v1, v3, v1
	v_cvt_i32_f32_e32 v2, v2
	v_exp_f32_e32 v1, v1
	v_cmp_ngt_f32_e32 vcc, s25, v0
	v_ldexp_f32 v1, v1, v2
	v_cndmask_b32_e32 v1, 0, v1, vcc
	v_cmp_nlt_f32_e32 vcc, s26, v0
	v_cndmask_b32_e32 v0, v52, v1, vcc
	v_add_f32_e32 v0, 1.0, v0
	v_rcp_f32_e32 v0, v0
	v_fma_f32 v3, v0, -2.0, 1.0
.LBB63_11:                              ;   in Loop: Header=BB63_9 Depth=1
	s_andn2_saveexec_b64 s[8:9], s[8:9]
; %bb.12:                               ;   in Loop: Header=BB63_9 Depth=1
	v_mul_f32_e32 v0, v32, v32
	v_mov_b32_e32 v1, 0x3ca908c9
	v_fmac_f32_e32 v1, 0xbbbac73d, v0
	v_fma_f32 v1, v0, v1, v49
	v_fma_f32 v1, v0, v1, v50
	;; [unrolled: 1-line block ×3, first 2 shown]
	v_mul_f32_e64 v1, |v32|, v1
	v_fma_f32 v3, v0, v1, |v32|
; %bb.13:                               ;   in Loop: Header=BB63_9 Depth=1
	s_or_b64 exec, exec, s[8:9]
	v_add_u32_e32 v0, s6, v14
	v_ashrrev_i32_e32 v1, 31, v0
	v_lshlrev_b64 v[0:1], 1, v[0:1]
	v_mov_b32_e32 v2, s31
	v_add_co_u32_e32 v0, vcc, s30, v0
	v_addc_co_u32_e32 v1, vcc, v2, v1, vcc
	flat_load_ushort v2, v[0:1]
	v_cmp_nlt_f32_e64 s[8:9], |v55|, s19
                                        ; implicit-def: $vgpr4
	s_and_saveexec_b64 s[34:35], s[8:9]
	s_xor_b64 s[8:9], exec, s[34:35]
	s_cbranch_execz .LBB63_15
; %bb.14:                               ;   in Loop: Header=BB63_9 Depth=1
	v_add_f32_e64 v4, |v55|, |v55|
	v_mul_f32_e32 v5, 0x3fb8aa3b, v4
	v_rndne_f32_e32 v6, v5
	v_sub_f32_e32 v7, v5, v6
	v_fma_f32 v5, v4, s24, -v5
	v_fmac_f32_e32 v5, 0x32a5705f, v4
	v_add_f32_e32 v5, v7, v5
	v_cvt_i32_f32_e32 v6, v6
	v_exp_f32_e32 v5, v5
	v_cmp_ngt_f32_e32 vcc, s25, v4
	v_ldexp_f32 v5, v5, v6
	v_cndmask_b32_e32 v5, 0, v5, vcc
	v_cmp_nlt_f32_e32 vcc, s26, v4
	v_cndmask_b32_e32 v4, v52, v5, vcc
	v_add_f32_e32 v4, 1.0, v4
	v_rcp_f32_e32 v4, v4
	v_fma_f32 v4, v4, -2.0, 1.0
.LBB63_15:                              ;   in Loop: Header=BB63_9 Depth=1
	s_andn2_saveexec_b64 s[8:9], s[8:9]
; %bb.16:                               ;   in Loop: Header=BB63_9 Depth=1
	v_mul_f32_e32 v4, v55, v55
	v_mov_b32_e32 v5, 0x3ca908c9
	v_fmac_f32_e32 v5, 0xbbbac73d, v4
	v_fma_f32 v5, v4, v5, v49
	v_fma_f32 v5, v4, v5, v50
	;; [unrolled: 1-line block ×3, first 2 shown]
	v_mul_f32_e64 v5, |v55|, v5
	v_fma_f32 v4, v4, v5, |v55|
; %bb.17:                               ;   in Loop: Header=BB63_9 Depth=1
	s_or_b64 exec, exec, s[8:9]
	flat_load_ushort v0, v[0:1] offset:64
	v_bfi_b32 v1, s27, v3, v32
	v_bfi_b32 v3, s27, v4, v55
	v_and_b32_e32 v4, 0x60, v15
	v_xor_b32_e32 v55, 16, v15
	s_mul_hi_i32 s9, s6, s15
	s_mul_i32 s8, s6, s15
	v_add_u32_e32 v58, 32, v4
	v_xor_b32_e32 v56, 8, v15
	s_lshl_b64 s[8:9], s[8:9], 2
	v_cmp_lt_i32_e32 vcc, v55, v58
	s_waitcnt vmcnt(0) lgkmcnt(0)
	v_fma_mix_f32 v74, v1, s14, v2 op_sel_hi:[0,0,1]
	v_cndmask_b32_e32 v2, v15, v55, vcc
	v_cmp_lt_i32_e32 vcc, v56, v58
	s_add_u32 s8, s12, s8
	v_cndmask_b32_e32 v4, v15, v56, vcc
	s_addc_u32 s9, s13, s9
	v_lshlrev_b32_e32 v32, 2, v4
	v_mov_b32_e32 v4, s9
	v_add_co_u32_e32 v59, vcc, s8, v24
	v_addc_co_u32_e32 v4, vcc, v4, v25, vcc
	v_mov_b32_e32 v5, s9
	v_add_co_u32_e32 v62, vcc, s8, v26
	v_addc_co_u32_e32 v5, vcc, v5, v27, vcc
	;; [unrolled: 3-line block ×3, first 2 shown]
	v_mov_b32_e32 v7, s9
	v_add_co_u32_e32 v65, vcc, s8, v30
	v_lshlrev_b32_e32 v150, 2, v35
	v_addc_co_u32_e32 v7, vcc, v7, v31, vcc
	v_add_co_u32_e32 v60, vcc, v59, v150
	v_addc_co_u32_e32 v61, vcc, 0, v4, vcc
	v_add_f32_e32 v1, 0x40051340, v74
	v_add_co_u32_e32 v62, vcc, v62, v150
	v_lshlrev_b32_e32 v2, 2, v2
	v_addc_co_u32_e32 v63, vcc, 0, v5, vcc
	v_add_co_u32_e32 v70, vcc, v64, v150
	v_addc_co_u32_e32 v71, vcc, 0, v6, vcc
	v_add_co_u32_e32 v72, vcc, v65, v150
	s_barrier
	v_addc_co_u32_e32 v73, vcc, 0, v7, vcc
	v_xor_b32_e32 v57, 4, v15
	v_cmp_lt_i32_e32 vcc, v57, v58
	v_add_u32_e32 v158, 0x800, v47
	v_add_u32_e32 v159, 0x1000, v47
	;; [unrolled: 1-line block ×3, first 2 shown]
	s_or_b32 s8, s6, 32
	s_mul_hi_i32 s9, s8, s15
	s_mul_i32 s8, s8, s15
	s_lshl_b64 s[8:9], s[8:9], 2
	s_add_u32 s8, s12, s8
	s_addc_u32 s9, s13, s9
	v_add_u32_e32 v162, 0x2000, v47
	v_add_u32_e32 v163, 0x2800, v47
	;; [unrolled: 1-line block ×4, first 2 shown]
	v_fma_mix_f32 v75, v3, s14, v0 op_sel_hi:[0,0,1]
	v_add_f32_e32 v0, 0x40051340, v75
	v_max3_f32 v59, v11, v1, v0
	ds_bpermute_b32 v64, v2, v59
	global_load_dwordx4 v[0:3], v[60:61], off
	global_load_dwordx4 v[4:7], v[62:63], off
	s_waitcnt lgkmcnt(0)
	v_max_f32_e32 v60, v64, v64
	global_load_dwordx4 v[62:65], v[70:71], off
	global_load_dwordx4 v[66:69], v[72:73], off
	v_max_f32_e32 v59, v59, v60
	ds_bpermute_b32 v32, v32, v59
	v_cndmask_b32_e32 v60, v15, v57, vcc
	v_lshlrev_b32_e32 v60, 2, v60
	s_waitcnt lgkmcnt(0)
	v_max_f32_e32 v32, v32, v32
	v_max_f32_e32 v32, v59, v32
	ds_bpermute_b32 v60, v60, v32
	v_xor_b32_e32 v59, 2, v15
	v_cmp_lt_i32_e32 vcc, v59, v58
	v_cndmask_b32_e32 v61, v15, v59, vcc
	v_lshlrev_b32_e32 v61, 2, v61
	s_waitcnt lgkmcnt(0)
	v_max_f32_e32 v60, v60, v60
	v_max_f32_e32 v32, v32, v60
	ds_bpermute_b32 v61, v61, v32
	v_xor_b32_e32 v60, 1, v15
	v_cmp_lt_i32_e32 vcc, v60, v58
	v_cndmask_b32_e32 v70, v15, v60, vcc
	v_lshlrev_b32_e32 v70, 2, v70
	s_waitcnt lgkmcnt(0)
	v_max_f32_e32 v61, v61, v61
	v_max_f32_e32 v32, v32, v61
	ds_bpermute_b32 v61, v70, v32
	s_waitcnt lgkmcnt(0)
	v_max_f32_e32 v61, v61, v61
	v_max_f32_e32 v32, v32, v61
	v_sub_f32_e32 v61, v74, v32
	v_sub_f32_e32 v70, v75, v32
	v_mul_f32_e32 v71, 0x3fb8aa3b, v61
	v_mul_f32_e32 v72, 0x3fb8aa3b, v70
	v_fma_f32 v74, v61, s24, -v71
	v_rndne_f32_e32 v75, v71
	v_fma_f32 v76, v70, s24, -v72
	v_rndne_f32_e32 v77, v72
	v_fmac_f32_e32 v74, 0x32a5705f, v61
	v_sub_f32_e32 v71, v71, v75
	v_fmac_f32_e32 v76, 0x32a5705f, v70
	v_sub_f32_e32 v72, v72, v77
	v_add_f32_e32 v71, v71, v74
	v_cvt_i32_f32_e32 v75, v75
	v_add_f32_e32 v72, v72, v76
	v_exp_f32_e32 v71, v71
	v_cvt_i32_f32_e32 v77, v77
	v_exp_f32_e32 v72, v72
	v_sub_f32_e32 v11, v11, v32
	v_mul_f32_e32 v73, 0x3fb8aa3b, v11
	v_fma_f32 v78, v11, s24, -v73
	v_rndne_f32_e32 v79, v73
	v_ldexp_f32 v71, v71, v75
	v_cmp_ngt_f32_e32 vcc, s25, v61
	v_fmac_f32_e32 v78, 0x32a5705f, v11
	v_sub_f32_e32 v73, v73, v79
	v_ldexp_f32 v72, v72, v77
	v_cndmask_b32_e32 v71, 0, v71, vcc
	v_cmp_ngt_f32_e32 vcc, s25, v70
	v_add_f32_e32 v73, v73, v78
	v_cndmask_b32_e32 v72, 0, v72, vcc
	v_cmp_nlt_f32_e32 vcc, s26, v61
	v_cvt_i32_f32_e32 v79, v79
	v_exp_f32_e32 v73, v73
	v_cndmask_b32_e32 v61, v52, v71, vcc
	v_cmp_nlt_f32_e32 vcc, s26, v70
	v_cvt_f16_f32_e32 v71, v61
	v_cndmask_b32_e32 v70, v52, v72, vcc
	v_add_f32_e32 v61, v61, v70
	v_cvt_f16_f32_e32 v70, v70
	v_ldexp_f32 v72, v73, v79
	v_cmp_ngt_f32_e32 vcc, s25, v11
	v_cndmask_b32_e32 v72, 0, v72, vcc
	v_cmp_nlt_f32_e32 vcc, s26, v11
	v_cndmask_b32_e32 v11, v52, v72, vcc
	v_cvt_f16_f32_e32 v74, v11
	v_fmac_f32_e32 v61, v10, v11
	ds_write_b16 v42, v71
	ds_write_b16 v42, v70 offset:64
	s_waitcnt vmcnt(3)
	ds_write_b128 v43, v[0:3]
	s_waitcnt vmcnt(2)
	ds_write_b128 v44, v[4:7]
	;; [unrolled: 2-line block ×4, first 2 shown]
	s_waitcnt lgkmcnt(0)
	s_barrier
	ds_read2_b64 v[62:65], v47 offset1:32
	ds_read_b128 v[66:69], v41
	v_pk_mul_f16 v75, v74, v9 op_sel_hi:[0,1]
	v_pk_mul_f16 v76, v74, v8 op_sel_hi:[0,1]
	ds_read_b128 v[8:11], v41 offset:16
	ds_read_b128 v[4:7], v41 offset:32
	;; [unrolled: 1-line block ×3, first 2 shown]
	ds_read2_b64 v[70:73], v47 offset0:64 offset1:96
	s_waitcnt lgkmcnt(4)
	v_pk_mul_f16 v62, v62, v66 op_sel_hi:[1,0]
	v_pk_fma_f16 v54, v54, v74, v62 op_sel_hi:[1,0,1]
	v_pk_mul_f16 v62, v63, v66 op_sel_hi:[1,0]
	v_pk_fma_f16 v53, v53, v74, v62 op_sel_hi:[1,0,1]
	v_pk_fma_f16 v74, v64, v66, v75 op_sel_hi:[1,0,1]
	;; [unrolled: 1-line block ×3, first 2 shown]
	ds_read2_b64 v[62:65], v47 offset0:128 offset1:160
	s_waitcnt lgkmcnt(1)
	v_pk_fma_f16 v54, v70, v66, v54 op_sel:[0,1,0]
	v_pk_fma_f16 v53, v71, v66, v53 op_sel:[0,1,0]
	;; [unrolled: 1-line block ×4, first 2 shown]
	ds_read2_b64 v[70:73], v47 offset0:192 offset1:224
	s_waitcnt lgkmcnt(1)
	v_pk_fma_f16 v54, v62, v67, v54 op_sel_hi:[1,0,1]
	v_pk_fma_f16 v53, v63, v67, v53 op_sel_hi:[1,0,1]
	;; [unrolled: 1-line block ×4, first 2 shown]
	ds_read2_b64 v[62:65], v158 offset1:32
	s_waitcnt lgkmcnt(1)
	v_pk_fma_f16 v54, v70, v67, v54 op_sel:[0,1,0]
	v_pk_fma_f16 v53, v71, v67, v53 op_sel:[0,1,0]
	;; [unrolled: 1-line block ×4, first 2 shown]
	ds_read2_b64 v[70:73], v158 offset0:64 offset1:96
	s_waitcnt lgkmcnt(1)
	v_pk_fma_f16 v54, v62, v68, v54 op_sel_hi:[1,0,1]
	v_pk_fma_f16 v53, v63, v68, v53 op_sel_hi:[1,0,1]
	;; [unrolled: 1-line block ×4, first 2 shown]
	ds_read2_b64 v[62:65], v158 offset0:128 offset1:160
	s_waitcnt lgkmcnt(1)
	v_pk_fma_f16 v54, v70, v68, v54 op_sel:[0,1,0]
	v_pk_fma_f16 v53, v71, v68, v53 op_sel:[0,1,0]
	;; [unrolled: 1-line block ×4, first 2 shown]
	ds_read2_b64 v[70:73], v158 offset0:192 offset1:224
	s_waitcnt lgkmcnt(1)
	v_pk_fma_f16 v54, v62, v69, v54 op_sel_hi:[1,0,1]
	v_pk_fma_f16 v53, v63, v69, v53 op_sel_hi:[1,0,1]
	;; [unrolled: 1-line block ×4, first 2 shown]
	ds_read2_b64 v[62:65], v159 offset1:32
	s_waitcnt lgkmcnt(1)
	v_pk_fma_f16 v54, v70, v69, v54 op_sel:[0,1,0]
	v_pk_fma_f16 v53, v71, v69, v53 op_sel:[0,1,0]
	;; [unrolled: 1-line block ×4, first 2 shown]
	ds_read2_b64 v[66:69], v159 offset0:64 offset1:96
	s_waitcnt lgkmcnt(1)
	v_pk_fma_f16 v54, v62, v8, v54 op_sel_hi:[1,0,1]
	v_pk_fma_f16 v53, v63, v8, v53 op_sel_hi:[1,0,1]
	v_pk_fma_f16 v70, v64, v8, v70 op_sel_hi:[1,0,1]
	v_pk_fma_f16 v71, v65, v8, v71 op_sel_hi:[1,0,1]
	ds_read2_b64 v[62:65], v159 offset0:128 offset1:160
	s_waitcnt lgkmcnt(1)
	v_pk_fma_f16 v54, v66, v8, v54 op_sel:[0,1,0]
	v_pk_fma_f16 v53, v67, v8, v53 op_sel:[0,1,0]
	;; [unrolled: 1-line block ×4, first 2 shown]
	ds_read2_b64 v[66:69], v159 offset0:192 offset1:224
	s_waitcnt lgkmcnt(1)
	v_pk_fma_f16 v54, v62, v9, v54 op_sel_hi:[1,0,1]
	v_pk_fma_f16 v53, v63, v9, v53 op_sel_hi:[1,0,1]
	;; [unrolled: 1-line block ×4, first 2 shown]
	ds_read2_b64 v[62:65], v160 offset1:32
	s_waitcnt lgkmcnt(1)
	v_pk_fma_f16 v54, v66, v9, v54 op_sel:[0,1,0]
	v_pk_fma_f16 v53, v67, v9, v53 op_sel:[0,1,0]
	;; [unrolled: 1-line block ×4, first 2 shown]
	v_mov_b32_e32 v8, s9
	v_add_co_u32_e32 v9, vcc, s8, v24
	s_waitcnt lgkmcnt(0)
	v_pk_fma_f16 v54, v62, v10, v54 op_sel_hi:[1,0,1]
	v_addc_co_u32_e32 v62, vcc, v8, v25, vcc
	v_add_co_u32_e32 v8, vcc, v9, v150
	v_addc_co_u32_e32 v9, vcc, 0, v62, vcc
	v_pk_fma_f16 v53, v63, v10, v53 op_sel_hi:[1,0,1]
	v_mov_b32_e32 v62, s9
	v_add_co_u32_e32 v63, vcc, s8, v26
	v_addc_co_u32_e32 v142, vcc, v62, v27, vcc
	v_add_co_u32_e32 v62, vcc, v63, v150
	v_addc_co_u32_e32 v63, vcc, 0, v142, vcc
	v_pk_fma_f16 v64, v64, v10, v66 op_sel_hi:[1,0,1]
	ds_read2_b64 v[66:69], v160 offset0:64 offset1:96
	ds_read2_b64 v[70:73], v160 offset0:128 offset1:160
	ds_read2_b64 v[74:77], v160 offset0:192 offset1:224
	ds_read2_b64 v[78:81], v162 offset1:32
	ds_read2_b64 v[82:85], v162 offset0:64 offset1:96
	ds_read2_b64 v[86:89], v162 offset0:128 offset1:160
	ds_read2_b64 v[90:93], v162 offset0:192 offset1:224
	ds_read2_b64 v[94:97], v163 offset1:32
	;; [unrolled: 4-line block ×4, first 2 shown]
	ds_read2_b64 v[130:133], v165 offset0:64 offset1:96
	ds_read2_b64 v[134:137], v165 offset0:128 offset1:160
	ds_read2_b64 v[138:141], v165 offset0:192 offset1:224
	s_waitcnt lgkmcnt(0)
	s_barrier
	global_load_dwordx4 v[142:145], v[8:9], off
	global_load_dwordx4 v[146:149], v[62:63], off
	v_mov_b32_e32 v8, s9
	v_add_co_u32_e32 v9, vcc, s8, v28
	v_addc_co_u32_e32 v62, vcc, v8, v29, vcc
	v_add_co_u32_e32 v8, vcc, v9, v150
	v_addc_co_u32_e32 v9, vcc, 0, v62, vcc
	v_mov_b32_e32 v62, s9
	v_add_co_u32_e32 v63, vcc, s8, v30
	v_addc_co_u32_e32 v151, vcc, v62, v31, vcc
	v_add_co_u32_e32 v62, vcc, v63, v150
	v_addc_co_u32_e32 v63, vcc, 0, v151, vcc
	global_load_dwordx4 v[150:153], v[8:9], off
	global_load_dwordx4 v[154:157], v[62:63], off
	v_pk_fma_f16 v8, v65, v10, v161 op_sel_hi:[1,0,1]
	v_pk_fma_f16 v9, v66, v10, v54 op_sel:[0,1,0]
	v_pk_fma_f16 v53, v67, v10, v53 op_sel:[0,1,0]
	v_pk_fma_f16 v54, v68, v10, v64 op_sel:[0,1,0]
	v_pk_fma_f16 v8, v69, v10, v8 op_sel:[0,1,0]
	v_pk_fma_f16 v9, v70, v11, v9 op_sel_hi:[1,0,1]
	v_pk_fma_f16 v10, v71, v11, v53 op_sel_hi:[1,0,1]
	v_pk_fma_f16 v53, v72, v11, v54 op_sel_hi:[1,0,1]
	v_pk_fma_f16 v8, v73, v11, v8 op_sel_hi:[1,0,1]
	v_pk_fma_f16 v9, v74, v11, v9 op_sel:[0,1,0]
	v_pk_fma_f16 v10, v75, v11, v10 op_sel:[0,1,0]
	v_pk_fma_f16 v53, v76, v11, v53 op_sel:[0,1,0]
	v_pk_fma_f16 v8, v77, v11, v8 op_sel:[0,1,0]
	v_pk_fma_f16 v9, v78, v4, v9 op_sel_hi:[1,0,1]
	v_pk_fma_f16 v10, v79, v4, v10 op_sel_hi:[1,0,1]
	v_pk_fma_f16 v11, v80, v4, v53 op_sel_hi:[1,0,1]
	;; [unrolled: 8-line block ×8, first 2 shown]
	v_pk_fma_f16 v0, v129, v2, v0 op_sel_hi:[1,0,1]
	v_pk_fma_f16 v4, v131, v2, v4 op_sel:[0,1,0]
	v_pk_fma_f16 v5, v132, v2, v5 op_sel:[0,1,0]
	;; [unrolled: 1-line block ×4, first 2 shown]
	v_pk_fma_f16 v2, v135, v3, v4 op_sel_hi:[1,0,1]
	v_pk_fma_f16 v4, v136, v3, v5 op_sel_hi:[1,0,1]
	v_pk_fma_f16 v74, v140, v3, v4 op_sel:[0,1,0]
	s_waitcnt vmcnt(3)
	ds_write_b128 v43, v[142:145]
	s_waitcnt vmcnt(2)
	ds_write_b128 v44, v[146:149]
	;; [unrolled: 2-line block ×4, first 2 shown]
	s_waitcnt lgkmcnt(0)
	s_barrier
	ds_read2_b64 v[4:7], v47 offset1:32
	ds_read_b128 v[8:11], v41 offset:64
	v_pk_fma_f16 v1, v134, v3, v1 op_sel_hi:[1,0,1]
	v_pk_fma_f16 v0, v137, v3, v0 op_sel_hi:[1,0,1]
	v_pk_fma_f16 v53, v138, v3, v1 op_sel:[0,1,0]
	v_pk_fma_f16 v54, v139, v3, v2 op_sel:[0,1,0]
	;; [unrolled: 1-line block ×3, first 2 shown]
	ds_read_b128 v[62:65], v41 offset:80
	ds_read_b128 v[66:69], v41 offset:96
	;; [unrolled: 1-line block ×3, first 2 shown]
	ds_read2_b64 v[70:73], v47 offset0:64 offset1:96
	s_waitcnt lgkmcnt(4)
	v_pk_fma_f16 v53, v4, v8, v53 op_sel_hi:[1,0,1]
	v_pk_fma_f16 v54, v5, v8, v54 op_sel_hi:[1,0,1]
	;; [unrolled: 1-line block ×4, first 2 shown]
	ds_read2_b64 v[4:7], v47 offset0:128 offset1:160
	s_waitcnt lgkmcnt(1)
	v_pk_fma_f16 v53, v70, v8, v53 op_sel:[0,1,0]
	v_pk_fma_f16 v54, v71, v8, v54 op_sel:[0,1,0]
	;; [unrolled: 1-line block ×4, first 2 shown]
	ds_read2_b64 v[70:73], v47 offset0:192 offset1:224
	s_waitcnt lgkmcnt(1)
	v_pk_fma_f16 v53, v4, v9, v53 op_sel_hi:[1,0,1]
	v_pk_fma_f16 v54, v5, v9, v54 op_sel_hi:[1,0,1]
	v_pk_fma_f16 v74, v6, v9, v74 op_sel_hi:[1,0,1]
	v_pk_fma_f16 v8, v7, v9, v8 op_sel_hi:[1,0,1]
	ds_read2_b64 v[4:7], v158 offset1:32
	s_waitcnt lgkmcnt(1)
	v_pk_fma_f16 v53, v70, v9, v53 op_sel:[0,1,0]
	v_pk_fma_f16 v54, v71, v9, v54 op_sel:[0,1,0]
	;; [unrolled: 1-line block ×4, first 2 shown]
	ds_read2_b64 v[70:73], v158 offset0:64 offset1:96
	s_waitcnt lgkmcnt(1)
	v_pk_fma_f16 v9, v4, v10, v53 op_sel_hi:[1,0,1]
	v_pk_fma_f16 v53, v5, v10, v54 op_sel_hi:[1,0,1]
	;; [unrolled: 1-line block ×4, first 2 shown]
	ds_read2_b64 v[4:7], v158 offset0:128 offset1:160
	s_waitcnt lgkmcnt(1)
	v_pk_fma_f16 v9, v70, v10, v9 op_sel:[0,1,0]
	v_pk_fma_f16 v53, v71, v10, v53 op_sel:[0,1,0]
	;; [unrolled: 1-line block ×4, first 2 shown]
	ds_read2_b64 v[70:73], v158 offset0:192 offset1:224
	s_waitcnt lgkmcnt(1)
	v_pk_fma_f16 v9, v4, v11, v9 op_sel_hi:[1,0,1]
	v_pk_fma_f16 v10, v5, v11, v53 op_sel_hi:[1,0,1]
	;; [unrolled: 1-line block ×4, first 2 shown]
	ds_read2_b64 v[4:7], v159 offset1:32
	s_waitcnt lgkmcnt(1)
	v_pk_fma_f16 v9, v70, v11, v9 op_sel:[0,1,0]
	v_pk_fma_f16 v54, v71, v11, v10 op_sel:[0,1,0]
	v_pk_fma_f16 v53, v72, v11, v53 op_sel:[0,1,0]
	v_pk_fma_f16 v70, v73, v11, v8 op_sel:[0,1,0]
	s_waitcnt lgkmcnt(0)
	v_pk_fma_f16 v71, v4, v62, v9 op_sel_hi:[1,0,1]
	ds_read2_b64 v[8:11], v159 offset0:64 offset1:96
	v_pk_fma_f16 v54, v5, v62, v54 op_sel_hi:[1,0,1]
	v_pk_fma_f16 v53, v6, v62, v53 op_sel_hi:[1,0,1]
	v_pk_fma_f16 v70, v7, v62, v70 op_sel_hi:[1,0,1]
	ds_read2_b64 v[4:7], v159 offset0:128 offset1:160
	s_waitcnt lgkmcnt(1)
	v_pk_fma_f16 v8, v8, v62, v71 op_sel:[0,1,0]
	v_pk_fma_f16 v54, v9, v62, v54 op_sel:[0,1,0]
	v_pk_fma_f16 v53, v10, v62, v53 op_sel:[0,1,0]
	v_pk_fma_f16 v62, v11, v62, v70 op_sel:[0,1,0]
	s_waitcnt lgkmcnt(0)
	v_pk_fma_f16 v70, v4, v63, v8 op_sel_hi:[1,0,1]
	ds_read2_b64 v[8:11], v159 offset0:192 offset1:224
	v_pk_fma_f16 v54, v5, v63, v54 op_sel_hi:[1,0,1]
	v_pk_fma_f16 v53, v6, v63, v53 op_sel_hi:[1,0,1]
	v_pk_fma_f16 v62, v7, v63, v62 op_sel_hi:[1,0,1]
	ds_read2_b64 v[4:7], v160 offset1:32
	s_waitcnt lgkmcnt(1)
	v_pk_fma_f16 v8, v8, v63, v70 op_sel:[0,1,0]
	v_pk_fma_f16 v54, v9, v63, v54 op_sel:[0,1,0]
	v_pk_fma_f16 v53, v10, v63, v53 op_sel:[0,1,0]
	v_pk_fma_f16 v62, v11, v63, v62 op_sel:[0,1,0]
	s_waitcnt lgkmcnt(0)
	v_pk_fma_f16 v63, v4, v64, v8 op_sel_hi:[1,0,1]
	ds_read2_b64 v[8:11], v160 offset0:64 offset1:96
	v_pk_fma_f16 v54, v5, v64, v54 op_sel_hi:[1,0,1]
	v_pk_fma_f16 v53, v6, v64, v53 op_sel_hi:[1,0,1]
	v_pk_fma_f16 v62, v7, v64, v62 op_sel_hi:[1,0,1]
	ds_read2_b64 v[4:7], v160 offset0:128 offset1:160
	s_waitcnt lgkmcnt(1)
	v_pk_fma_f16 v8, v8, v64, v63 op_sel:[0,1,0]
	v_pk_fma_f16 v54, v9, v64, v54 op_sel:[0,1,0]
	v_pk_fma_f16 v53, v10, v64, v53 op_sel:[0,1,0]
	v_pk_fma_f16 v62, v11, v64, v62 op_sel:[0,1,0]
	s_waitcnt lgkmcnt(0)
	v_pk_fma_f16 v63, v4, v65, v8 op_sel_hi:[1,0,1]
	ds_read2_b64 v[8:11], v160 offset0:192 offset1:224
	v_pk_fma_f16 v54, v5, v65, v54 op_sel_hi:[1,0,1]
	v_pk_fma_f16 v53, v6, v65, v53 op_sel_hi:[1,0,1]
	v_pk_fma_f16 v62, v7, v65, v62 op_sel_hi:[1,0,1]
	;; [unrolled: 24-line block ×5, first 2 shown]
	ds_read2_b64 v[4:7], v165 offset1:32
	s_waitcnt lgkmcnt(1)
	v_pk_fma_f16 v8, v8, v1, v62 op_sel:[0,1,0]
	v_pk_fma_f16 v54, v9, v1, v54 op_sel:[0,1,0]
	;; [unrolled: 1-line block ×4, first 2 shown]
	s_waitcnt lgkmcnt(0)
	v_pk_fma_f16 v1, v4, v2, v8 op_sel_hi:[1,0,1]
	ds_read2_b64 v[8:11], v165 offset0:64 offset1:96
	v_pk_fma_f16 v54, v5, v2, v54 op_sel_hi:[1,0,1]
	v_pk_fma_f16 v53, v6, v2, v53 op_sel_hi:[1,0,1]
	;; [unrolled: 1-line block ×3, first 2 shown]
	ds_read2_b64 v[4:7], v165 offset0:128 offset1:160
	s_waitcnt lgkmcnt(1)
	v_pk_fma_f16 v1, v8, v2, v1 op_sel:[0,1,0]
	v_pk_fma_f16 v8, v9, v2, v54 op_sel:[0,1,0]
	;; [unrolled: 1-line block ×4, first 2 shown]
	s_waitcnt lgkmcnt(0)
	v_pk_fma_f16 v1, v4, v3, v1 op_sel_hi:[1,0,1]
	v_pk_fma_f16 v2, v5, v3, v8 op_sel_hi:[1,0,1]
	;; [unrolled: 1-line block ×3, first 2 shown]
	ds_read2_b64 v[8:11], v165 offset0:192 offset1:224
	s_waitcnt lgkmcnt(0)
	s_barrier
	s_load_dword s8, s[0:1], 0x4
	v_pk_fma_f16 v0, v7, v3, v0 op_sel_hi:[1,0,1]
	v_pk_fma_f16 v54, v8, v3, v1 op_sel:[0,1,0]
	v_pk_fma_f16 v53, v9, v3, v2 op_sel:[0,1,0]
	;; [unrolled: 1-line block ×3, first 2 shown]
	s_waitcnt lgkmcnt(0)
	s_lshl_b32 s8, s8, 6
	s_add_i32 s6, s8, s6
	s_cmp_lt_i32 s6, s28
	v_pk_fma_f16 v8, v11, v3, v0 op_sel:[0,1,0]
	s_cbranch_scc0 .LBB63_19
; %bb.18:                               ;   in Loop: Header=BB63_9 Depth=1
	v_mov_b32_e32 v11, v32
	v_mov_b32_e32 v10, v61
	s_branch .LBB63_9
.LBB63_19:
	v_cmp_lt_i32_e32 vcc, v55, v58
	v_cndmask_b32_e32 v0, v15, v55, vcc
	v_lshlrev_b32_e32 v0, 2, v0
	ds_bpermute_b32 v0, v0, v61
	v_cmp_lt_i32_e32 vcc, v56, v58
	v_cndmask_b32_e32 v1, v15, v56, vcc
	v_lshlrev_b32_e32 v1, 2, v1
	v_cmp_lt_i32_e32 vcc, v57, v58
	s_waitcnt lgkmcnt(0)
	v_add_f32_e32 v0, v61, v0
	ds_bpermute_b32 v1, v1, v0
	v_cndmask_b32_e32 v2, v15, v57, vcc
	v_lshlrev_b32_e32 v2, 2, v2
	v_cmp_lt_i32_e32 vcc, v59, v58
	s_cmp_eq_u64 s[16:17], 0
	s_waitcnt lgkmcnt(0)
	v_add_f32_e32 v0, v0, v1
	ds_bpermute_b32 v1, v2, v0
	v_cndmask_b32_e32 v2, v15, v59, vcc
	v_lshlrev_b32_e32 v2, 2, v2
	v_cmp_lt_i32_e32 vcc, v60, v58
	s_cselect_b64 s[0:1], -1, 0
	s_waitcnt lgkmcnt(0)
	v_add_f32_e32 v0, v0, v1
	ds_bpermute_b32 v1, v2, v0
	v_cndmask_b32_e32 v2, v15, v60, vcc
	v_lshlrev_b32_e32 v2, 2, v2
	s_cmp_lg_u32 s7, 0
	s_cselect_b64 s[8:9], -1, 0
	s_waitcnt lgkmcnt(0)
	v_add_f32_e32 v0, v0, v1
	ds_bpermute_b32 v1, v2, v0
	s_or_b64 s[0:1], s[8:9], s[0:1]
	s_and_b64 vcc, exec, s[0:1]
	s_waitcnt lgkmcnt(0)
	v_add_f32_e32 v33, v0, v1
	s_cbranch_vccnz .LBB63_22
; %bb.20:
	v_add_u32_e32 v0, s29, v13
	v_ashrrev_i32_e32 v1, 31, v0
	v_lshlrev_b64 v[0:1], 2, v[0:1]
	v_mov_b32_e32 v2, s17
	v_add_co_u32_e32 v0, vcc, s16, v0
	v_addc_co_u32_e32 v1, vcc, v2, v1, vcc
	global_load_dword v1, v[0:1], off
	v_max_f32_e32 v0, v32, v32
	s_mov_b32 s0, 0x3fb8aa3b
	s_mov_b32 s1, 0xc2ce8ed0
	s_waitcnt vmcnt(0)
	v_max_f32_e32 v2, v1, v1
	v_max_f32_e32 v0, v0, v2
	v_sub_f32_e32 v2, v32, v0
	v_sub_f32_e32 v1, v1, v0
	v_mul_f32_e32 v3, 0x3fb8aa3b, v2
	v_mul_f32_e32 v4, 0x3fb8aa3b, v1
	v_fma_f32 v5, v2, s0, -v3
	v_rndne_f32_e32 v6, v3
	v_fma_f32 v7, v1, s0, -v4
	v_rndne_f32_e32 v10, v4
	v_fmac_f32_e32 v5, 0x32a5705f, v2
	v_sub_f32_e32 v3, v3, v6
	v_fmac_f32_e32 v7, 0x32a5705f, v1
	v_sub_f32_e32 v4, v4, v10
	v_add_f32_e32 v3, v3, v5
	v_cvt_i32_f32_e32 v6, v6
	v_add_f32_e32 v4, v4, v7
	v_exp_f32_e32 v3, v3
	v_cvt_i32_f32_e32 v10, v10
	v_exp_f32_e32 v4, v4
	v_cmp_ngt_f32_e32 vcc, s1, v2
	v_ldexp_f32 v3, v3, v6
	s_mov_b32 s0, 0x42b17218
	v_ldexp_f32 v4, v4, v10
	v_cndmask_b32_e32 v3, 0, v3, vcc
	v_cmp_ngt_f32_e32 vcc, s1, v1
	v_mov_b32_e32 v5, 0x7f800000
	v_cndmask_b32_e32 v4, 0, v4, vcc
	v_cmp_nlt_f32_e32 vcc, s0, v2
	v_cndmask_b32_e32 v2, v5, v3, vcc
	v_cvt_f16_f32_e32 v3, v2
	v_cmp_nlt_f32_e32 vcc, s0, v1
	v_cndmask_b32_e32 v1, v5, v4, vcc
	v_fmac_f32_e32 v1, v33, v2
	v_pk_mul_f16 v54, v3, v54 op_sel_hi:[0,1]
	v_pk_mul_f16 v53, v3, v53 op_sel_hi:[0,1]
	;; [unrolled: 1-line block ×4, first 2 shown]
	v_pk_mov_b32 v[32:33], v[0:1], v[0:1] op_sel:[0,1]
	v_cmp_gt_i32_e32 vcc, s2, v34
	s_and_saveexec_b64 s[0:1], vcc
	s_cbranch_execnz .LBB63_23
.LBB63_21:
	s_endpgm
.LBB63_22:
	v_mov_b32_e32 v1, v33
	v_cmp_gt_i32_e32 vcc, s2, v34
	s_and_saveexec_b64 s[0:1], vcc
	s_cbranch_execz .LBB63_21
.LBB63_23:
	v_div_scale_f32 v0, s[0:1], v1, v1, 1.0
	v_rcp_f32_e32 v2, v0
	s_load_dword s4, s[4:5], 0xd4
	s_mul_i32 s33, s33, s2
	v_cvt_f32_f16_sdwa v15, v53 dst_sel:DWORD dst_unused:UNUSED_PAD src0_sel:WORD_1
	v_fma_f32 v3, -v0, v2, 1.0
	v_fmac_f32_e32 v2, v3, v2
	v_div_scale_f32 v3, vcc, 1.0, v1, 1.0
	v_mul_f32_e32 v4, v3, v2
	v_fma_f32 v5, -v0, v4, v3
	v_fmac_f32_e32 v4, v5, v2
	v_fma_f32 v0, -v0, v4, v3
	s_waitcnt lgkmcnt(0)
	s_cmp_lg_u32 s4, 1
	v_div_fmas_f32 v0, v0, v2, v4
	v_div_fixup_f32 v0, v0, v1, 1.0
	s_cselect_b64 s[0:1], -1, 0
	v_cndmask_b32_e64 v6, v0, 1.0, s[0:1]
	v_add_u32_e32 v0, s33, v34
	v_mul_lo_u32 v0, v0, s3
	v_add3_u32 v0, s29, v13, v0
	v_mul_lo_u32 v0, s4, v0
	v_add_u32_e32 v0, s7, v0
	v_cvt_f32_f16_sdwa v5, v54 dst_sel:DWORD dst_unused:UNUSED_PAD src0_sel:WORD_1
	v_cvt_f32_f16_e32 v4, v54
	v_cvt_f32_f16_e32 v14, v53
	v_lshl_add_u32 v10, v0, 8, v35
	v_mov_b32_e32 v11, 0
	v_lshlrev_b64 v[2:3], 2, v[10:11]
	v_mov_b32_e32 v1, s21
	v_add_co_u32_e32 v16, vcc, s20, v2
	v_addc_co_u32_e32 v17, vcc, v1, v3, vcc
	v_pk_mul_f32 v[2:3], v[6:7], v[4:5] op_sel_hi:[0,1]
	v_pk_mul_f32 v[4:5], v[6:7], v[14:15] op_sel_hi:[0,1]
	v_add_u32_e32 v10, 0x80, v10
	global_store_dwordx4 v[16:17], v[2:5], off
	s_nop 0
	v_lshlrev_b64 v[2:3], 2, v[10:11]
	v_cvt_f32_f16_sdwa v5, v9 dst_sel:DWORD dst_unused:UNUSED_PAD src0_sel:WORD_1
	v_cvt_f32_f16_e32 v4, v9
	v_cvt_f32_f16_sdwa v9, v8 dst_sel:DWORD dst_unused:UNUSED_PAD src0_sel:WORD_1
	v_cvt_f32_f16_e32 v8, v8
	v_add_co_u32_e32 v10, vcc, s20, v2
	v_addc_co_u32_e32 v11, vcc, v1, v3, vcc
	v_cmp_eq_u32_e32 vcc, 0, v12
	v_pk_mul_f32 v[2:3], v[6:7], v[4:5] op_sel_hi:[0,1]
	v_pk_mul_f32 v[4:5], v[6:7], v[8:9] op_sel_hi:[0,1]
	s_and_b64 s[0:1], vcc, s[0:1]
	global_store_dwordx4 v[10:11], v[2:5], off
	s_and_b64 exec, exec, s[0:1]
	s_cbranch_execz .LBB63_21
; %bb.24:
	v_ashrrev_i32_e32 v1, 31, v0
	v_lshlrev_b64 v[0:1], 3, v[0:1]
	v_mov_b32_e32 v2, s23
	v_add_co_u32_e32 v0, vcc, s22, v0
	v_addc_co_u32_e32 v1, vcc, v2, v1, vcc
	global_store_dwordx2 v[0:1], v[32:33], off
	s_endpgm
	.section	.rodata,"a",@progbits
	.p2align	6, 0x0
	.amdhsa_kernel _ZL15flash_attn_tileILi256ELi256ELi2ELi4ELb1EEvPKcS1_S1_S1_S1_PKiPfP15HIP_vector_typeIfLj2EEffffjfiS5_IjLj3EEiiiiiiiiiiiliiliiiiil
		.amdhsa_group_segment_fixed_size 22528
		.amdhsa_private_segment_fixed_size 0
		.amdhsa_kernarg_size 464
		.amdhsa_user_sgpr_count 6
		.amdhsa_user_sgpr_private_segment_buffer 1
		.amdhsa_user_sgpr_dispatch_ptr 0
		.amdhsa_user_sgpr_queue_ptr 0
		.amdhsa_user_sgpr_kernarg_segment_ptr 1
		.amdhsa_user_sgpr_dispatch_id 0
		.amdhsa_user_sgpr_flat_scratch_init 0
		.amdhsa_user_sgpr_kernarg_preload_length 0
		.amdhsa_user_sgpr_kernarg_preload_offset 0
		.amdhsa_user_sgpr_private_segment_size 0
		.amdhsa_uses_dynamic_stack 0
		.amdhsa_system_sgpr_private_segment_wavefront_offset 0
		.amdhsa_system_sgpr_workgroup_id_x 1
		.amdhsa_system_sgpr_workgroup_id_y 1
		.amdhsa_system_sgpr_workgroup_id_z 1
		.amdhsa_system_sgpr_workgroup_info 0
		.amdhsa_system_vgpr_workitem_id 1
		.amdhsa_next_free_vgpr 166
		.amdhsa_next_free_sgpr 44
		.amdhsa_accum_offset 168
		.amdhsa_reserve_vcc 1
		.amdhsa_reserve_flat_scratch 0
		.amdhsa_float_round_mode_32 0
		.amdhsa_float_round_mode_16_64 0
		.amdhsa_float_denorm_mode_32 3
		.amdhsa_float_denorm_mode_16_64 3
		.amdhsa_dx10_clamp 1
		.amdhsa_ieee_mode 1
		.amdhsa_fp16_overflow 0
		.amdhsa_tg_split 0
		.amdhsa_exception_fp_ieee_invalid_op 0
		.amdhsa_exception_fp_denorm_src 0
		.amdhsa_exception_fp_ieee_div_zero 0
		.amdhsa_exception_fp_ieee_overflow 0
		.amdhsa_exception_fp_ieee_underflow 0
		.amdhsa_exception_fp_ieee_inexact 0
		.amdhsa_exception_int_div_zero 0
	.end_amdhsa_kernel
	.section	.text._ZL15flash_attn_tileILi256ELi256ELi2ELi4ELb1EEvPKcS1_S1_S1_S1_PKiPfP15HIP_vector_typeIfLj2EEffffjfiS5_IjLj3EEiiiiiiiiiiiliiliiiiil,"axG",@progbits,_ZL15flash_attn_tileILi256ELi256ELi2ELi4ELb1EEvPKcS1_S1_S1_S1_PKiPfP15HIP_vector_typeIfLj2EEffffjfiS5_IjLj3EEiiiiiiiiiiiliiliiiiil,comdat
.Lfunc_end63:
	.size	_ZL15flash_attn_tileILi256ELi256ELi2ELi4ELb1EEvPKcS1_S1_S1_S1_PKiPfP15HIP_vector_typeIfLj2EEffffjfiS5_IjLj3EEiiiiiiiiiiiliiliiiiil, .Lfunc_end63-_ZL15flash_attn_tileILi256ELi256ELi2ELi4ELb1EEvPKcS1_S1_S1_S1_PKiPfP15HIP_vector_typeIfLj2EEffffjfiS5_IjLj3EEiiiiiiiiiiiliiliiiiil
                                        ; -- End function
	.section	.AMDGPU.csdata,"",@progbits
; Kernel info:
; codeLenInByte = 10084
; NumSgprs: 48
; NumVgprs: 166
; NumAgprs: 0
; TotalNumVgprs: 166
; ScratchSize: 0
; MemoryBound: 0
; FloatMode: 240
; IeeeMode: 1
; LDSByteSize: 22528 bytes/workgroup (compile time only)
; SGPRBlocks: 5
; VGPRBlocks: 20
; NumSGPRsForWavesPerEU: 48
; NumVGPRsForWavesPerEU: 166
; AccumOffset: 168
; Occupancy: 2
; WaveLimiterHint : 1
; COMPUTE_PGM_RSRC2:SCRATCH_EN: 0
; COMPUTE_PGM_RSRC2:USER_SGPR: 6
; COMPUTE_PGM_RSRC2:TRAP_HANDLER: 0
; COMPUTE_PGM_RSRC2:TGID_X_EN: 1
; COMPUTE_PGM_RSRC2:TGID_Y_EN: 1
; COMPUTE_PGM_RSRC2:TGID_Z_EN: 1
; COMPUTE_PGM_RSRC2:TIDIG_COMP_CNT: 1
; COMPUTE_PGM_RSRC3_GFX90A:ACCUM_OFFSET: 41
; COMPUTE_PGM_RSRC3_GFX90A:TG_SPLIT: 0
	.section	.text._ZL15flash_attn_tileILi256ELi256ELi1ELi4ELb1EEvPKcS1_S1_S1_S1_PKiPfP15HIP_vector_typeIfLj2EEffffjfiS5_IjLj3EEiiiiiiiiiiiliiliiiiil,"axG",@progbits,_ZL15flash_attn_tileILi256ELi256ELi1ELi4ELb1EEvPKcS1_S1_S1_S1_PKiPfP15HIP_vector_typeIfLj2EEffffjfiS5_IjLj3EEiiiiiiiiiiiliiliiiiil,comdat
	.globl	_ZL15flash_attn_tileILi256ELi256ELi1ELi4ELb1EEvPKcS1_S1_S1_S1_PKiPfP15HIP_vector_typeIfLj2EEffffjfiS5_IjLj3EEiiiiiiiiiiiliiliiiiil ; -- Begin function _ZL15flash_attn_tileILi256ELi256ELi1ELi4ELb1EEvPKcS1_S1_S1_S1_PKiPfP15HIP_vector_typeIfLj2EEffffjfiS5_IjLj3EEiiiiiiiiiiiliiliiiiil
	.p2align	8
	.type	_ZL15flash_attn_tileILi256ELi256ELi1ELi4ELb1EEvPKcS1_S1_S1_S1_PKiPfP15HIP_vector_typeIfLj2EEffffjfiS5_IjLj3EEiiiiiiiiiiiliiliiiiil,@function
_ZL15flash_attn_tileILi256ELi256ELi1ELi4ELb1EEvPKcS1_S1_S1_S1_PKiPfP15HIP_vector_typeIfLj2EEffffjfiS5_IjLj3EEiiiiiiiiiiiliiliiiiil: ; @_ZL15flash_attn_tileILi256ELi256ELi1ELi4ELb1EEvPKcS1_S1_S1_S1_PKiPfP15HIP_vector_typeIfLj2EEffffjfiS5_IjLj3EEiiiiiiiiiiiliiliiiiil
; %bb.0:
	s_load_dwordx4 s[0:3], s[4:5], 0x5c
	s_load_dwordx2 s[28:29], s[4:5], 0x80
	s_load_dwordx2 s[34:35], s[4:5], 0xb8
	s_mov_b64 s[30:31], 0
	s_waitcnt lgkmcnt(0)
	s_ashr_i32 s9, s3, 31
	s_lshr_b32 s9, s9, 30
	s_add_i32 s9, s3, s9
	s_ashr_i32 s9, s9, 2
	v_cvt_f32_u32_e32 v1, s9
	s_sub_i32 s10, 0, s9
	v_rcp_iflag_f32_e32 v1, v1
	v_mul_f32_e32 v1, 0x4f7ffffe, v1
	v_cvt_u32_f32_e32 v1, v1
	v_readfirstlane_b32 s11, v1
	s_mul_i32 s10, s10, s11
	s_mul_hi_u32 s10, s11, s10
	s_add_i32 s11, s11, s10
	s_mul_hi_u32 s10, s8, s11
	s_mul_i32 s11, s10, s9
	s_sub_i32 s11, s8, s11
	s_add_i32 s12, s10, 1
	s_sub_i32 s13, s11, s9
	s_cmp_ge_u32 s11, s9
	s_cselect_b32 s10, s12, s10
	s_cselect_b32 s11, s13, s11
	s_add_i32 s12, s10, 1
	s_cmp_ge_u32 s11, s9
	s_cselect_b32 s33, s12, s10
	s_abs_i32 s9, s29
	v_cvt_f32_u32_e32 v1, s9
	s_lshl_b32 s8, s8, 2
	s_mul_i32 s12, s33, s3
	s_xor_b32 s10, s3, s29
	v_rcp_iflag_f32_e32 v1, v1
	s_sub_i32 s13, 0, s9
	s_sub_i32 s29, s8, s12
	s_abs_i32 s11, s3
	v_mul_f32_e32 v1, 0x4f7ffffe, v1
	v_cvt_u32_f32_e32 v1, v1
	s_ashr_i32 s10, s10, 31
	v_readfirstlane_b32 s8, v1
	s_mul_i32 s13, s13, s8
	s_mul_hi_u32 s12, s8, s13
	s_add_i32 s8, s8, s12
	s_mul_hi_u32 s8, s11, s8
	s_mul_i32 s12, s8, s9
	s_sub_i32 s11, s11, s12
	s_add_i32 s13, s8, 1
	s_sub_i32 s12, s11, s9
	s_cmp_ge_u32 s11, s9
	s_cselect_b32 s8, s13, s8
	s_cselect_b32 s11, s12, s11
	s_add_i32 s12, s8, 1
	s_cmp_ge_u32 s11, s9
	s_cselect_b32 s8, s12, s8
	s_xor_b32 s8, s8, s10
	s_sub_i32 s37, s8, s10
	s_abs_i32 s36, s37
	v_cvt_f32_u32_e32 v1, s36
	s_load_dwordx16 s[8:23], s[4:5], 0x0
	v_rcp_iflag_f32_e32 v1, v1
	s_waitcnt lgkmcnt(0)
	s_cmp_eq_u64 s[14:15], 0
	v_mul_f32_e32 v1, 0x4f7ffffe, v1
	v_cvt_u32_f32_e32 v1, v1
	v_readfirstlane_b32 s24, v1
	s_cbranch_scc1 .LBB64_2
; %bb.1:
	s_abs_i32 s25, s34
	v_cvt_f32_u32_e32 v1, s25
	s_sub_i32 s34, 0, s25
	s_abs_i32 s31, s33
	s_ashr_i32 s30, s33, 31
	v_rcp_iflag_f32_e32 v1, v1
	s_load_dwordx2 s[26:27], s[4:5], 0xc8
	v_mul_f32_e32 v1, 0x4f7ffffe, v1
	v_cvt_u32_f32_e32 v1, v1
	v_readfirstlane_b32 s38, v1
	s_mul_i32 s34, s34, s38
	s_mul_hi_u32 s34, s38, s34
	s_add_i32 s38, s38, s34
	s_mul_hi_u32 s34, s31, s38
	s_mul_i32 s34, s34, s25
	s_sub_i32 s31, s31, s34
	s_sub_i32 s34, s31, s25
	s_cmp_ge_u32 s31, s25
	s_cselect_b32 s31, s34, s31
	s_sub_i32 s34, s31, s25
	s_cmp_ge_u32 s31, s25
	s_cselect_b32 s25, s34, s31
	s_xor_b32 s25, s25, s30
	s_sub_i32 s25, s25, s30
	s_ashr_i32 s30, s25, 31
	s_waitcnt lgkmcnt(0)
	s_mul_i32 s27, s25, s27
	s_mul_hi_u32 s31, s25, s26
	s_add_i32 s27, s31, s27
	s_mul_i32 s30, s30, s26
	s_add_i32 s27, s27, s30
	s_mul_i32 s25, s25, s26
	s_add_u32 s30, s14, s25
	s_addc_u32 s31, s15, s27
.LBB64_2:
	s_load_dwordx4 s[40:43], s[4:5], 0x70
	v_bfe_u32 v34, v0, 10, 10
	v_lshrrev_b32_e32 v1, 3, v34
	v_add_u32_e32 v31, s6, v1
	v_bfe_u32 v33, v34, 1, 2
	s_waitcnt lgkmcnt(0)
	s_mul_i32 s14, s33, s42
	s_ashr_i32 s25, s14, 31
	s_mul_i32 s15, s29, s41
	s_add_u32 s8, s8, s14
	s_addc_u32 s9, s9, s25
	s_ashr_i32 s14, s15, 31
	s_add_u32 s15, s8, s15
	s_addc_u32 s14, s9, s14
	s_ashr_i32 s25, s41, 31
	v_mov_b32_e32 v2, s41
	v_alignbit_b32 v2, s25, v2, 2
	v_mul_hi_u32 v1, s0, v31
	v_mad_u64_u32 v[2:3], s[8:9], v2, v33, 0
	v_add_u32_e32 v1, v31, v1
	v_mov_b32_e32 v4, v3
	s_lshr_b32 s8, s25, 2
	v_lshrrev_b32_e32 v1, s1, v1
	v_mad_u64_u32 v[4:5], s[8:9], s8, v33, v[4:5]
	v_mul_lo_u32 v1, v1, s2
	v_mov_b32_e32 v3, v4
	v_sub_u32_e32 v4, v31, v1
	s_ashr_i32 s8, s40, 31
	v_mov_b32_e32 v1, s40
	v_alignbit_b32 v1, s8, v1, 2
	v_mad_u64_u32 v[6:7], s[0:1], v1, v4, 0
	v_mov_b32_e32 v8, v7
	s_lshr_b32 s0, s8, 2
	v_mad_u64_u32 v[8:9], s[0:1], s0, v4, v[8:9]
	v_and_b32_e32 v30, 0x3ff, v0
	v_lshlrev_b64 v[0:1], 2, v[2:3]
	v_mov_b32_e32 v7, v8
	v_mov_b32_e32 v2, s14
	v_add_co_u32_e32 v3, vcc, s15, v0
	v_addc_co_u32_e32 v2, vcc, v2, v1, vcc
	v_lshlrev_b64 v[0:1], 2, v[6:7]
	v_add_co_u32_e32 v0, vcc, v3, v0
	v_addc_co_u32_e32 v1, vcc, v2, v1, vcc
	v_lshlrev_b32_e32 v2, 9, v34
	v_and_b32_e32 v2, 0x200, v2
	v_add_co_u32_e32 v0, vcc, v0, v2
	v_addc_co_u32_e32 v1, vcc, 0, v1, vcc
	v_lshlrev_b32_e32 v2, 4, v30
	v_add_co_u32_e32 v0, vcc, v0, v2
	v_addc_co_u32_e32 v1, vcc, 0, v1, vcc
	global_load_dwordx4 v[0:3], v[0:1], off
	s_load_dword s0, s[4:5], 0x40
	s_mov_b32 s1, 0
	v_lshlrev_b32_e32 v6, 6, v34
	v_lshrrev_b32_e32 v5, 1, v34
	v_and_b32_e32 v7, 64, v6
	v_lshlrev_b32_e32 v5, 7, v5
	v_lshl_add_u32 v7, v30, 1, v7
	s_cmp_eq_u64 s[18:19], 0
	s_waitcnt vmcnt(0) lgkmcnt(0)
	v_pk_mul_f32 v[0:1], v[0:1], s[0:1] op_sel_hi:[1,0]
	v_pk_mul_f32 v[2:3], v[2:3], s[0:1] op_sel_hi:[1,0]
	v_cvt_f16_f32_e32 v8, v1
	v_cvt_f16_f32_e32 v1, v3
	;; [unrolled: 1-line block ×4, first 2 shown]
	v_add_lshl_u32 v3, v7, v5, 2
	v_pack_b32_f16 v1, v2, v1
	v_pack_b32_f16 v0, v0, v8
	ds_write_b64 v3, v[0:1] offset:17408
	s_waitcnt lgkmcnt(0)
	s_barrier
	s_cbranch_scc1 .LBB64_4
; %bb.3:
	s_load_dword s0, s[4:5], 0xd0
	s_waitcnt lgkmcnt(0)
	s_mul_i32 s0, s0, s33
	s_add_i32 s0, s0, s6
	s_lshl_b64 s[0:1], s[0:1], 2
	s_add_u32 s0, s18, s0
	s_addc_u32 s1, s19, s1
	s_load_dword s28, s[0:1], 0x0
.LBB64_4:
	s_lshl_b32 s6, s7, 6
	v_lshlrev_b32_e32 v32, 2, v30
	s_waitcnt lgkmcnt(0)
	s_cmp_lt_i32 s6, s28
	v_mbcnt_lo_u32_b32 v14, -1, 0
	v_and_b32_e32 v36, 1, v34
	s_cbranch_scc1 .LBB64_6
; %bb.5:
	v_mbcnt_hi_u32_b32 v5, -1, v14
	v_and_b32_e32 v0, 0x60, v5
	s_mov_b32 s8, 0
	v_add_u32_e32 v23, 32, v0
	v_xor_b32_e32 v24, 16, v5
	v_xor_b32_e32 v25, 8, v5
	v_xor_b32_e32 v26, 4, v5
	v_xor_b32_e32 v27, 2, v5
	v_xor_b32_e32 v28, 1, v5
	v_and_b32_e32 v7, 1, v34
	s_mov_b64 s[0:1], 0
	s_mov_b32 s9, 0xfeffffff
	s_branch .LBB64_7
.LBB64_6:
	s_mov_b64 s[0:1], -1
                                        ; implicit-def: $sgpr9
                                        ; implicit-def: $sgpr8
                                        ; implicit-def: $vgpr5
                                        ; implicit-def: $vgpr23
                                        ; implicit-def: $vgpr24
                                        ; implicit-def: $vgpr25
                                        ; implicit-def: $vgpr26
                                        ; implicit-def: $vgpr27
                                        ; implicit-def: $vgpr28
                                        ; implicit-def: $vgpr7
.LBB64_7:
	s_andn2_b64 vcc, exec, s[0:1]
	v_mov_b32_e32 v22, s9
	v_mov_b32_e32 v53, s8
	;; [unrolled: 1-line block ×3, first 2 shown]
	v_cmp_eq_u32_e64 s[0:1], 0, v30
	v_lshlrev_b32_e32 v35, 2, v32
	v_mov_b32_e32 v2, s8
	v_mov_b32_e32 v1, s8
	;; [unrolled: 1-line block ×3, first 2 shown]
	s_cbranch_vccnz .LBB64_18
; %bb.8:
	s_sub_i32 s8, 0, s36
	s_mul_i32 s8, s8, s24
	s_mul_hi_u32 s8, s24, s8
	s_abs_i32 s19, s29
	s_add_i32 s24, s24, s8
	s_mul_hi_u32 s34, s19, s24
	s_load_dwordx4 s[24:27], s[4:5], 0x98
	s_load_dword s14, s[4:5], 0x54
	s_load_dwordx2 s[8:9], s[4:5], 0x8c
	s_ashr_i32 s40, s29, 31
	s_ashr_i32 s37, s37, 31
	s_waitcnt lgkmcnt(0)
	s_ashr_i32 s15, s26, 2
	s_ashr_i32 s26, s35, 1
	;; [unrolled: 1-line block ×4, first 2 shown]
	s_mul_i32 s25, s33, s25
	s_mul_hi_u32 s35, s33, s24
	s_add_i32 s25, s35, s25
	s_mul_i32 s35, s8, s24
	s_add_i32 s25, s25, s35
	s_mul_i32 s24, s33, s24
	s_add_u32 s10, s10, s24
	s_addc_u32 s11, s11, s25
	s_mul_i32 s25, s34, s36
	s_sub_i32 s19, s19, s25
	s_xor_b32 s24, s40, s37
	s_add_i32 s25, s34, 1
	s_sub_i32 s35, s19, s36
	s_cmp_ge_u32 s19, s36
	s_cselect_b32 s25, s25, s34
	s_cselect_b32 s19, s35, s19
	s_add_i32 s34, s25, 1
	s_cmp_ge_u32 s19, s36
	s_load_dwordx2 s[38:39], s[4:5], 0xa8
	s_cselect_b32 s19, s34, s25
	s_xor_b32 s19, s19, s24
	s_sub_i32 s25, s19, s24
	s_mul_i32 s9, s25, s9
	s_ashr_i32 s24, s9, 31
	s_add_u32 s19, s10, s9
	s_waitcnt lgkmcnt(0)
	s_mul_i32 s9, s33, s39
	s_mul_hi_u32 s10, s33, s38
	s_addc_u32 s24, s11, s24
	s_add_i32 s9, s10, s9
	s_mul_i32 s8, s8, s38
	s_add_i32 s9, s9, s8
	s_mul_i32 s8, s33, s38
	s_add_u32 s8, s12, s8
	s_mul_i32 s25, s25, s27
	s_addc_u32 s9, s13, s9
	s_ashr_i32 s10, s25, 31
	v_lshrrev_b32_e32 v0, 4, v30
	v_and_b32_e32 v2, 60, v32
	s_add_u32 s12, s8, s25
	v_lshl_add_u32 v1, v34, 1, v0
	v_lshlrev_b32_e32 v3, 2, v2
	s_movk_i32 s8, 0x110
	s_addc_u32 s13, s9, s10
	v_mad_u32_u24 v37, v1, s8, v3
	v_mul_lo_u32 v8, s18, v1
	s_lshl_b32 s8, s18, 4
	v_lshlrev_b32_e32 v1, 5, v34
	v_add_u32_e32 v10, s8, v8
	v_and_b32_e32 v1, 32, v1
	v_add_u32_e32 v12, s8, v10
	v_add_u32_e32 v18, v1, v30
	;; [unrolled: 1-line block ×3, first 2 shown]
	v_and_b32_e32 v1, 0xff80, v6
	v_mov_b32_e32 v3, 0x4400
	v_mad_u64_u32 v[4:5], s[8:9], v4, s26, v[18:19]
	v_lshl_add_u32 v42, v1, 2, v3
	v_and_b32_e32 v5, 1, v30
	s_movk_i32 s8, 0x3fe
	v_add_u32_e32 v1, 0x4c00, v1
	v_mul_u32_u24_e32 v41, 0x110, v18
	v_and_or_b32 v5, v34, s8, v5
	v_lshl_add_u32 v45, v18, 1, v1
	v_mul_lo_u32 v18, s15, v34
	s_lshl_b32 s8, s15, 3
	v_add_u32_e32 v20, s8, v18
	v_add_u32_e32 v22, s8, v20
	v_mov_b32_e32 v3, 0x4e00
	v_add_u32_e32 v24, s8, v22
	v_lshlrev_b32_e32 v51, 9, v36
	v_mov_b32_e32 v0, 0
	v_ashrrev_i32_e32 v9, 31, v8
	v_ashrrev_i32_e32 v11, 31, v10
	;; [unrolled: 1-line block ×4, first 2 shown]
	v_lshl_add_u32 v43, v34, 2, v3
	v_lshl_add_u32 v44, v5, 2, v3
	;; [unrolled: 1-line block ×3, first 2 shown]
	v_ashrrev_i32_e32 v19, 31, v18
	v_ashrrev_i32_e32 v21, 31, v20
	v_ashrrev_i32_e32 v23, 31, v22
	v_ashrrev_i32_e32 v25, 31, v24
	v_lshlrev_b32_e32 v50, 3, v30
	v_lshl_or_b32 v52, v36, 1, v1
	v_or_b32_e32 v1, 0x400, v51
	v_or_b32_e32 v3, 0x800, v51
	;; [unrolled: 1-line block ×15, first 2 shown]
	s_add_u32 s8, s4, 0xd0
	v_add_u32_e32 v38, 0x1100, v37
	v_add_u32_e32 v39, 0x2200, v37
	;; [unrolled: 1-line block ×6, first 2 shown]
	s_addc_u32 s9, s5, 0
	v_mov_b32_e32 v74, 0xfeffffff
	v_lshlrev_b64 v[6:7], 2, v[8:9]
	v_lshlrev_b32_e32 v54, 2, v2
	v_lshlrev_b64 v[8:9], 2, v[10:11]
	v_lshlrev_b64 v[10:11], 2, v[12:13]
	;; [unrolled: 1-line block ×3, first 2 shown]
	s_mov_b32 s25, 0x3f200000
	s_mov_b32 s26, 0x3fb8aa3b
	;; [unrolled: 1-line block ×4, first 2 shown]
	v_mov_b32_e32 v55, 0xbd5c1c4e
	v_mov_b32_e32 v56, 0x3e088382
	;; [unrolled: 1-line block ×3, first 2 shown]
	s_brev_b32 s35, -2
	v_mbcnt_hi_u32_b32 v5, -1, v14
	v_lshlrev_b64 v[14:15], 2, v[18:19]
	v_lshlrev_b64 v[16:17], 2, v[20:21]
	;; [unrolled: 1-line block ×4, first 2 shown]
	v_add_u32_e32 v58, v50, v1
	v_add_u32_e32 v59, v50, v3
	;; [unrolled: 1-line block ×15, first 2 shown]
	v_mov_b32_e32 v73, 0x7f800000
	v_mov_b32_e32 v1, v0
	;; [unrolled: 1-line block ×5, first 2 shown]
.LBB64_9:                               ; =>This Inner Loop Header: Depth=1
	s_mul_hi_i32 s11, s6, s18
	s_mul_i32 s10, s6, s18
	s_lshl_b64 s[10:11], s[10:11], 2
	s_add_u32 s10, s19, s10
	s_addc_u32 s11, s24, s11
	v_mov_b32_e32 v22, s11
	v_add_co_u32_e32 v23, vcc, s10, v6
	v_addc_co_u32_e32 v24, vcc, v22, v7, vcc
	v_add_co_u32_e32 v22, vcc, v23, v54
	v_addc_co_u32_e32 v23, vcc, 0, v24, vcc
	v_mov_b32_e32 v24, s11
	v_add_co_u32_e32 v25, vcc, s10, v8
	v_addc_co_u32_e32 v26, vcc, v24, v9, vcc
	v_add_co_u32_e32 v24, vcc, v25, v54
	v_addc_co_u32_e32 v25, vcc, 0, v26, vcc
	;; [unrolled: 5-line block ×3, first 2 shown]
	v_mov_b32_e32 v28, s11
	v_add_co_u32_e32 v29, vcc, s10, v12
	v_addc_co_u32_e32 v75, vcc, v28, v13, vcc
	v_add_co_u32_e32 v28, vcc, v29, v54
	global_load_dwordx4 v[76:79], v[22:23], off
	global_load_dwordx4 v[80:83], v[24:25], off
	v_addc_co_u32_e32 v29, vcc, 0, v75, vcc
	global_load_dwordx4 v[84:87], v[26:27], off
	global_load_dwordx4 v[88:91], v[28:29], off
	v_mov_b32_e32 v75, 0
	s_waitcnt vmcnt(3)
	ds_write_b128 v37, v[76:79]
	s_waitcnt vmcnt(2)
	ds_write_b128 v38, v[80:83]
	;; [unrolled: 2-line block ×4, first 2 shown]
	s_waitcnt lgkmcnt(0)
	s_barrier
	ds_read_b128 v[76:79], v41
	ds_read_b128 v[80:83], v42
	s_waitcnt lgkmcnt(0)
	;;#ASMSTART
	v_dot2_f32_f16 v75, v76, v80, v75
	;;#ASMEND
	;;#ASMSTART
	v_dot2_f32_f16 v75, v77, v81, v75
	;;#ASMEND
	;;#ASMSTART
	v_dot2_f32_f16 v75, v78, v82, v75
	;;#ASMEND
	;;#ASMSTART
	v_dot2_f32_f16 v75, v79, v83, v75
	;;#ASMEND
	ds_read_b128 v[76:79], v41 offset:16
	ds_read_b128 v[80:83], v42 offset:16
	s_waitcnt lgkmcnt(0)
	;;#ASMSTART
	v_dot2_f32_f16 v75, v76, v80, v75
	;;#ASMEND
	;;#ASMSTART
	v_dot2_f32_f16 v75, v77, v81, v75
	;;#ASMEND
	;;#ASMSTART
	v_dot2_f32_f16 v75, v78, v82, v75
	;;#ASMEND
	;;#ASMSTART
	v_dot2_f32_f16 v75, v79, v83, v75
	;;#ASMEND
	ds_read_b128 v[76:79], v41 offset:32
	ds_read_b128 v[80:83], v42 offset:32
	;; [unrolled: 15-line block ×15, first 2 shown]
	s_waitcnt lgkmcnt(0)
	;;#ASMSTART
	v_dot2_f32_f16 v75, v76, v80, v75
	;;#ASMEND
	;;#ASMSTART
	v_dot2_f32_f16 v75, v77, v81, v75
	;;#ASMEND
	;; [unrolled: 3-line block ×4, first 2 shown]
	s_barrier
	global_load_dwordx4 v[76:79], v[22:23], off offset:256
	global_load_dwordx4 v[80:83], v[24:25], off offset:256
	;; [unrolled: 1-line block ×4, first 2 shown]
	s_waitcnt vmcnt(3)
	ds_write_b128 v37, v[76:79]
	s_waitcnt vmcnt(2)
	ds_write_b128 v38, v[80:83]
	;; [unrolled: 2-line block ×4, first 2 shown]
	s_waitcnt lgkmcnt(0)
	s_barrier
	ds_read_b128 v[22:25], v41
	ds_read_b128 v[26:29], v42 offset:256
	s_waitcnt lgkmcnt(0)
	;;#ASMSTART
	v_dot2_f32_f16 v75, v22, v26, v75
	;;#ASMEND
	;;#ASMSTART
	v_dot2_f32_f16 v75, v23, v27, v75
	;;#ASMEND
	;;#ASMSTART
	v_dot2_f32_f16 v75, v24, v28, v75
	;;#ASMEND
	;;#ASMSTART
	v_dot2_f32_f16 v75, v25, v29, v75
	;;#ASMEND
	ds_read_b128 v[22:25], v41 offset:16
	ds_read_b128 v[26:29], v42 offset:272
	s_waitcnt lgkmcnt(0)
	;;#ASMSTART
	v_dot2_f32_f16 v75, v22, v26, v75
	;;#ASMEND
	;;#ASMSTART
	v_dot2_f32_f16 v75, v23, v27, v75
	;;#ASMEND
	;;#ASMSTART
	v_dot2_f32_f16 v75, v24, v28, v75
	;;#ASMEND
	;;#ASMSTART
	v_dot2_f32_f16 v75, v25, v29, v75
	;;#ASMEND
	ds_read_b128 v[22:25], v41 offset:32
	;; [unrolled: 15-line block ×15, first 2 shown]
	ds_read_b128 v[26:29], v42 offset:496
	s_waitcnt lgkmcnt(0)
	;;#ASMSTART
	v_dot2_f32_f16 v75, v22, v26, v75
	;;#ASMEND
	;;#ASMSTART
	v_dot2_f32_f16 v75, v23, v27, v75
	;;#ASMEND
	;;#ASMSTART
	v_dot2_f32_f16 v75, v24, v28, v75
	;;#ASMEND
	;;#ASMSTART
	v_dot2_f32_f16 v75, v25, v29, v75
	;;#ASMEND
	v_cmp_nlt_f32_e64 s[10:11], |v75|, s25
                                        ; implicit-def: $vgpr22
	s_and_saveexec_b64 s[36:37], s[10:11]
	s_xor_b64 s[10:11], exec, s[36:37]
	s_cbranch_execz .LBB64_11
; %bb.10:                               ;   in Loop: Header=BB64_9 Depth=1
	v_add_f32_e64 v22, |v75|, |v75|
	v_mul_f32_e32 v23, 0x3fb8aa3b, v22
	v_rndne_f32_e32 v24, v23
	v_sub_f32_e32 v25, v23, v24
	v_fma_f32 v23, v22, s26, -v23
	v_fmac_f32_e32 v23, 0x32a5705f, v22
	v_add_f32_e32 v23, v25, v23
	v_cvt_i32_f32_e32 v24, v24
	v_exp_f32_e32 v23, v23
	v_cmp_ngt_f32_e32 vcc, s27, v22
	v_ldexp_f32 v23, v23, v24
	v_cndmask_b32_e32 v23, 0, v23, vcc
	v_cmp_nlt_f32_e32 vcc, s34, v22
	v_cndmask_b32_e32 v22, v73, v23, vcc
	v_add_f32_e32 v22, 1.0, v22
	v_rcp_f32_e32 v22, v22
	v_fma_f32 v22, v22, -2.0, 1.0
.LBB64_11:                              ;   in Loop: Header=BB64_9 Depth=1
	s_andn2_saveexec_b64 s[10:11], s[10:11]
; %bb.12:                               ;   in Loop: Header=BB64_9 Depth=1
	v_mul_f32_e32 v22, v75, v75
	v_mov_b32_e32 v23, 0x3ca908c9
	v_fmac_f32_e32 v23, 0xbbbac73d, v22
	v_fma_f32 v23, v22, v23, v55
	v_fma_f32 v23, v22, v23, v56
	;; [unrolled: 1-line block ×3, first 2 shown]
	v_mul_f32_e64 v23, |v75|, v23
	v_fma_f32 v22, v22, v23, |v75|
; %bb.13:                               ;   in Loop: Header=BB64_9 Depth=1
	s_or_b64 exec, exec, s[10:11]
	v_add_u32_e32 v24, s6, v4
	v_ashrrev_i32_e32 v25, 31, v24
	v_lshlrev_b64 v[24:25], 1, v[24:25]
	v_mov_b32_e32 v23, s31
	v_add_co_u32_e32 v24, vcc, s30, v24
	v_addc_co_u32_e32 v25, vcc, v23, v25, vcc
	flat_load_ushort v25, v[24:25]
	v_and_b32_e32 v23, 0x60, v5
	v_bfi_b32 v22, s35, v22, v75
	v_xor_b32_e32 v24, 16, v5
	v_add_u32_e32 v23, 32, v23
	v_cmp_lt_i32_e32 vcc, v24, v23
	v_max_f32_e32 v26, v74, v74
	v_cndmask_b32_e32 v27, v5, v24, vcc
	v_lshlrev_b32_e32 v27, 2, v27
	s_waitcnt vmcnt(0) lgkmcnt(0)
	v_fma_mix_f32 v29, v22, s14, v25 op_sel_hi:[0,0,1]
	v_add_f32_e32 v22, 0x40051340, v29
	v_max_f32_e32 v22, v26, v22
	ds_bpermute_b32 v26, v27, v22
	v_xor_b32_e32 v25, 8, v5
	v_cmp_lt_i32_e32 vcc, v25, v23
	v_cndmask_b32_e32 v27, v5, v25, vcc
	v_lshlrev_b32_e32 v27, 2, v27
	s_waitcnt lgkmcnt(0)
	v_max_f32_e32 v26, v26, v26
	v_max_f32_e32 v22, v22, v26
	ds_bpermute_b32 v27, v27, v22
	v_xor_b32_e32 v26, 4, v5
	v_cmp_lt_i32_e32 vcc, v26, v23
	v_cndmask_b32_e32 v28, v5, v26, vcc
	v_lshlrev_b32_e32 v28, 2, v28
	s_waitcnt lgkmcnt(0)
	v_max_f32_e32 v27, v27, v27
	;; [unrolled: 8-line block ×3, first 2 shown]
	v_max_f32_e32 v22, v22, v28
	ds_bpermute_b32 v75, v75, v22
	v_xor_b32_e32 v28, 1, v5
	v_cmp_lt_i32_e32 vcc, v28, v23
	v_cndmask_b32_e32 v76, v5, v28, vcc
	s_waitcnt lgkmcnt(0)
	v_max_f32_e32 v75, v75, v75
	v_max_f32_e32 v22, v22, v75
	v_lshlrev_b32_e32 v75, 2, v76
	ds_bpermute_b32 v75, v75, v22
	s_and_saveexec_b64 s[10:11], s[0:1]
	s_cbranch_execz .LBB64_15
; %bb.14:                               ;   in Loop: Header=BB64_9 Depth=1
	s_waitcnt lgkmcnt(0)
	v_max_f32_e32 v75, v75, v75
	v_max_f32_e32 v22, v22, v22
	;; [unrolled: 1-line block ×3, first 2 shown]
	ds_write_b32 v43, v22
.LBB64_15:                              ;   in Loop: Header=BB64_9 Depth=1
	s_or_b64 exec, exec, s[10:11]
	s_waitcnt lgkmcnt(0)
	s_barrier
	ds_read_b32 v22, v44
	v_and_b32_e32 v75, 0x7e, v5
	v_add_u32_e32 v75, 2, v75
	v_cmp_lt_i32_e32 vcc, v28, v75
	v_cndmask_b32_e32 v75, v5, v28, vcc
	v_lshlrev_b32_e32 v75, 2, v75
	s_waitcnt lgkmcnt(0)
	ds_bpermute_b32 v75, v75, v22
	v_max_f32_e32 v22, v22, v22
	s_mul_hi_i32 s11, s6, s15
	s_mul_i32 s10, s6, s15
	s_lshl_b64 s[10:11], s[10:11], 2
	s_waitcnt lgkmcnt(0)
	v_max_f32_e32 v75, v75, v75
	v_max_f32_e32 v22, v22, v75
	v_sub_f32_e32 v74, v74, v22
	v_mul_f32_e32 v75, 0x3fb8aa3b, v74
	v_fma_f32 v76, v74, s26, -v75
	v_rndne_f32_e32 v77, v75
	v_fmac_f32_e32 v76, 0x32a5705f, v74
	v_sub_f32_e32 v75, v75, v77
	v_add_f32_e32 v75, v75, v76
	v_exp_f32_e32 v75, v75
	v_cvt_i32_f32_e32 v76, v77
	v_cmp_ngt_f32_e32 vcc, s27, v74
	v_sub_f32_e32 v29, v29, v22
	s_add_u32 s10, s12, s10
	v_ldexp_f32 v75, v75, v76
	v_cndmask_b32_e32 v75, 0, v75, vcc
	v_cmp_nlt_f32_e32 vcc, s34, v74
	v_cndmask_b32_e32 v74, v73, v75, vcc
	v_mul_f32_e32 v75, 0x3fb8aa3b, v29
	v_fma_f32 v76, v29, s26, -v75
	v_rndne_f32_e32 v77, v75
	v_fmac_f32_e32 v76, 0x32a5705f, v29
	v_sub_f32_e32 v75, v75, v77
	v_add_f32_e32 v75, v75, v76
	v_exp_f32_e32 v75, v75
	v_cvt_i32_f32_e32 v76, v77
	v_cvt_f16_f32_e32 v78, v74
	v_cmp_ngt_f32_e32 vcc, s27, v29
	s_addc_u32 s11, s13, s11
	v_ldexp_f32 v75, v75, v76
	v_cndmask_b32_e32 v75, 0, v75, vcc
	v_cmp_nlt_f32_e32 vcc, s34, v29
	v_cndmask_b32_e32 v29, v73, v75, vcc
	v_pk_mul_f16 v79, v2, v78 op_sel_hi:[1,0]
	v_cvt_f16_f32_e32 v2, v29
	v_pk_mul_f16 v80, v78, v3 op_sel_hi:[0,1]
	v_mov_b32_e32 v3, s11
	v_fma_f32 v53, v53, v74, v29
	ds_write_b16 v45, v2
	v_add_co_u32_e32 v2, vcc, s10, v14
	v_addc_co_u32_e32 v3, vcc, v3, v15, vcc
	v_add_co_u32_e32 v2, vcc, v2, v35
	v_addc_co_u32_e32 v3, vcc, 0, v3, vcc
	global_load_dwordx4 v[74:77], v[2:3], off
	v_add_co_u32_e32 v2, vcc, s10, v16
	v_mov_b32_e32 v3, s11
	v_addc_co_u32_e32 v3, vcc, v3, v17, vcc
	v_add_co_u32_e32 v2, vcc, v2, v35
	v_addc_co_u32_e32 v3, vcc, 0, v3, vcc
	v_add_u32_e32 v29, v50, v51
	s_waitcnt vmcnt(0)
	ds_write_b128 v46, v[74:77]
	global_load_dwordx4 v[74:77], v[2:3], off
	v_add_co_u32_e32 v2, vcc, s10, v18
	v_mov_b32_e32 v3, s11
	v_addc_co_u32_e32 v3, vcc, v3, v19, vcc
	v_add_co_u32_e32 v2, vcc, v2, v35
	v_addc_co_u32_e32 v3, vcc, 0, v3, vcc
	s_waitcnt vmcnt(0)
	ds_write_b128 v47, v[74:77]
	global_load_dwordx4 v[74:77], v[2:3], off
	v_add_co_u32_e32 v2, vcc, s10, v20
	v_mov_b32_e32 v3, s11
	v_addc_co_u32_e32 v3, vcc, v3, v21, vcc
	v_add_co_u32_e32 v2, vcc, v2, v35
	v_addc_co_u32_e32 v3, vcc, 0, v3, vcc
	s_or_b32 s10, s6, 32
	s_mul_hi_i32 s11, s10, s15
	s_mul_i32 s10, s10, s15
	s_lshl_b64 s[10:11], s[10:11], 2
	s_add_u32 s10, s12, s10
	s_addc_u32 s11, s13, s11
	s_waitcnt vmcnt(0)
	ds_write_b128 v48, v[74:77]
	global_load_dwordx4 v[74:77], v[2:3], off
	s_waitcnt vmcnt(0)
	ds_write_b128 v49, v[74:77]
	s_waitcnt lgkmcnt(0)
	s_barrier
	ds_read2_b64 v[74:77], v29 offset1:32
	ds_read_u16 v2, v52
	ds_read_u16 v81, v52 offset:4
	ds_read_u16 v82, v52 offset:8
	;; [unrolled: 1-line block ×15, first 2 shown]
	s_waitcnt lgkmcnt(14)
	v_pk_mul_f16 v3, v74, v2 op_sel_hi:[1,0]
	v_pk_fma_f16 v74, v0, v78, v3 op_sel_hi:[1,0,1]
	v_pk_mul_f16 v0, v75, v2 op_sel_hi:[1,0]
	v_pk_fma_f16 v75, v1, v78, v0 op_sel_hi:[1,0,1]
	v_pk_fma_f16 v76, v76, v2, v79 op_sel_hi:[1,0,1]
	v_pk_fma_f16 v77, v77, v2, v80 op_sel_hi:[1,0,1]
	ds_read2_b64 v[0:3], v58 offset1:32
	s_waitcnt lgkmcnt(0)
	v_pk_fma_f16 v74, v0, v81, v74 op_sel_hi:[1,0,1]
	v_pk_fma_f16 v75, v1, v81, v75 op_sel_hi:[1,0,1]
	v_pk_fma_f16 v76, v2, v81, v76 op_sel_hi:[1,0,1]
	v_pk_fma_f16 v77, v3, v81, v77 op_sel_hi:[1,0,1]
	ds_read2_b64 v[0:3], v59 offset1:32
	s_waitcnt lgkmcnt(0)
	v_pk_fma_f16 v74, v0, v82, v74 op_sel_hi:[1,0,1]
	;; [unrolled: 6-line block ×14, first 2 shown]
	v_pk_fma_f16 v75, v1, v94, v75 op_sel_hi:[1,0,1]
	v_pk_fma_f16 v76, v2, v94, v76 op_sel_hi:[1,0,1]
	;; [unrolled: 1-line block ×3, first 2 shown]
	ds_read2_b64 v[0:3], v72 offset1:32
	s_waitcnt lgkmcnt(0)
	s_barrier
	v_pk_fma_f16 v74, v0, v95, v74 op_sel_hi:[1,0,1]
	v_pk_fma_f16 v75, v1, v95, v75 op_sel_hi:[1,0,1]
	v_add_co_u32_e32 v0, vcc, s10, v14
	v_mov_b32_e32 v1, s11
	v_addc_co_u32_e32 v1, vcc, v1, v15, vcc
	v_add_co_u32_e32 v0, vcc, v0, v35
	v_addc_co_u32_e32 v1, vcc, 0, v1, vcc
	v_pk_fma_f16 v76, v2, v95, v76 op_sel_hi:[1,0,1]
	v_pk_fma_f16 v77, v3, v95, v77 op_sel_hi:[1,0,1]
	global_load_dwordx4 v[0:3], v[0:1], off
	s_waitcnt vmcnt(0)
	ds_write_b128 v46, v[0:3]
	v_add_co_u32_e32 v0, vcc, s10, v16
	v_mov_b32_e32 v1, s11
	v_addc_co_u32_e32 v1, vcc, v1, v17, vcc
	v_add_co_u32_e32 v0, vcc, v0, v35
	v_addc_co_u32_e32 v1, vcc, 0, v1, vcc
	global_load_dwordx4 v[0:3], v[0:1], off
	s_waitcnt vmcnt(0)
	ds_write_b128 v47, v[0:3]
	v_add_co_u32_e32 v0, vcc, s10, v18
	v_mov_b32_e32 v1, s11
	v_addc_co_u32_e32 v1, vcc, v1, v19, vcc
	v_add_co_u32_e32 v0, vcc, v0, v35
	v_addc_co_u32_e32 v1, vcc, 0, v1, vcc
	;; [unrolled: 8-line block ×3, first 2 shown]
	global_load_dwordx4 v[0:3], v[0:1], off
	s_waitcnt vmcnt(0)
	ds_write_b128 v49, v[0:3]
	s_waitcnt lgkmcnt(0)
	s_barrier
	ds_read2_b64 v[0:3], v29 offset1:32
	ds_read_u16 v29, v52 offset:64
	ds_read_u16 v78, v52 offset:68
	;; [unrolled: 1-line block ×16, first 2 shown]
	s_waitcnt lgkmcnt(14)
	v_pk_fma_f16 v74, v0, v29, v74 op_sel_hi:[1,0,1]
	v_pk_fma_f16 v75, v1, v29, v75 op_sel_hi:[1,0,1]
	v_pk_fma_f16 v76, v2, v29, v76 op_sel_hi:[1,0,1]
	v_pk_fma_f16 v29, v3, v29, v77 op_sel_hi:[1,0,1]
	ds_read2_b64 v[0:3], v58 offset1:32
	s_waitcnt lgkmcnt(0)
	v_pk_fma_f16 v74, v0, v78, v74 op_sel_hi:[1,0,1]
	v_pk_fma_f16 v75, v1, v78, v75 op_sel_hi:[1,0,1]
	v_pk_fma_f16 v76, v2, v78, v76 op_sel_hi:[1,0,1]
	v_pk_fma_f16 v29, v3, v78, v29 op_sel_hi:[1,0,1]
	ds_read2_b64 v[0:3], v59 offset1:32
	s_waitcnt lgkmcnt(0)
	v_pk_fma_f16 v74, v0, v79, v74 op_sel_hi:[1,0,1]
	v_pk_fma_f16 v75, v1, v79, v75 op_sel_hi:[1,0,1]
	v_pk_fma_f16 v76, v2, v79, v76 op_sel_hi:[1,0,1]
	v_pk_fma_f16 v29, v3, v79, v29 op_sel_hi:[1,0,1]
	ds_read2_b64 v[0:3], v60 offset1:32
	s_waitcnt lgkmcnt(0)
	v_pk_fma_f16 v74, v0, v80, v74 op_sel_hi:[1,0,1]
	v_pk_fma_f16 v75, v1, v80, v75 op_sel_hi:[1,0,1]
	v_pk_fma_f16 v76, v2, v80, v76 op_sel_hi:[1,0,1]
	v_pk_fma_f16 v29, v3, v80, v29 op_sel_hi:[1,0,1]
	ds_read2_b64 v[0:3], v61 offset1:32
	s_waitcnt lgkmcnt(0)
	v_pk_fma_f16 v74, v0, v81, v74 op_sel_hi:[1,0,1]
	v_pk_fma_f16 v75, v1, v81, v75 op_sel_hi:[1,0,1]
	v_pk_fma_f16 v76, v2, v81, v76 op_sel_hi:[1,0,1]
	v_pk_fma_f16 v29, v3, v81, v29 op_sel_hi:[1,0,1]
	ds_read2_b64 v[0:3], v62 offset1:32
	s_waitcnt lgkmcnt(0)
	v_pk_fma_f16 v74, v0, v82, v74 op_sel_hi:[1,0,1]
	v_pk_fma_f16 v75, v1, v82, v75 op_sel_hi:[1,0,1]
	v_pk_fma_f16 v76, v2, v82, v76 op_sel_hi:[1,0,1]
	v_pk_fma_f16 v29, v3, v82, v29 op_sel_hi:[1,0,1]
	ds_read2_b64 v[0:3], v63 offset1:32
	s_waitcnt lgkmcnt(0)
	v_pk_fma_f16 v74, v0, v83, v74 op_sel_hi:[1,0,1]
	v_pk_fma_f16 v75, v1, v83, v75 op_sel_hi:[1,0,1]
	v_pk_fma_f16 v76, v2, v83, v76 op_sel_hi:[1,0,1]
	v_pk_fma_f16 v29, v3, v83, v29 op_sel_hi:[1,0,1]
	ds_read2_b64 v[0:3], v64 offset1:32
	s_waitcnt lgkmcnt(0)
	v_pk_fma_f16 v74, v0, v84, v74 op_sel_hi:[1,0,1]
	v_pk_fma_f16 v75, v1, v84, v75 op_sel_hi:[1,0,1]
	v_pk_fma_f16 v76, v2, v84, v76 op_sel_hi:[1,0,1]
	v_pk_fma_f16 v29, v3, v84, v29 op_sel_hi:[1,0,1]
	ds_read2_b64 v[0:3], v65 offset1:32
	s_waitcnt lgkmcnt(0)
	v_pk_fma_f16 v74, v0, v85, v74 op_sel_hi:[1,0,1]
	v_pk_fma_f16 v75, v1, v85, v75 op_sel_hi:[1,0,1]
	v_pk_fma_f16 v76, v2, v85, v76 op_sel_hi:[1,0,1]
	v_pk_fma_f16 v29, v3, v85, v29 op_sel_hi:[1,0,1]
	ds_read2_b64 v[0:3], v66 offset1:32
	s_waitcnt lgkmcnt(0)
	v_pk_fma_f16 v74, v0, v86, v74 op_sel_hi:[1,0,1]
	v_pk_fma_f16 v75, v1, v86, v75 op_sel_hi:[1,0,1]
	v_pk_fma_f16 v76, v2, v86, v76 op_sel_hi:[1,0,1]
	v_pk_fma_f16 v29, v3, v86, v29 op_sel_hi:[1,0,1]
	ds_read2_b64 v[0:3], v67 offset1:32
	s_waitcnt lgkmcnt(0)
	v_pk_fma_f16 v74, v0, v87, v74 op_sel_hi:[1,0,1]
	v_pk_fma_f16 v75, v1, v87, v75 op_sel_hi:[1,0,1]
	v_pk_fma_f16 v76, v2, v87, v76 op_sel_hi:[1,0,1]
	v_pk_fma_f16 v29, v3, v87, v29 op_sel_hi:[1,0,1]
	ds_read2_b64 v[0:3], v68 offset1:32
	s_waitcnt lgkmcnt(0)
	v_pk_fma_f16 v74, v0, v88, v74 op_sel_hi:[1,0,1]
	v_pk_fma_f16 v75, v1, v88, v75 op_sel_hi:[1,0,1]
	v_pk_fma_f16 v76, v2, v88, v76 op_sel_hi:[1,0,1]
	v_pk_fma_f16 v29, v3, v88, v29 op_sel_hi:[1,0,1]
	ds_read2_b64 v[0:3], v69 offset1:32
	s_waitcnt lgkmcnt(0)
	v_pk_fma_f16 v74, v0, v89, v74 op_sel_hi:[1,0,1]
	v_pk_fma_f16 v75, v1, v89, v75 op_sel_hi:[1,0,1]
	v_pk_fma_f16 v76, v2, v89, v76 op_sel_hi:[1,0,1]
	v_pk_fma_f16 v29, v3, v89, v29 op_sel_hi:[1,0,1]
	ds_read2_b64 v[0:3], v70 offset1:32
	s_waitcnt lgkmcnt(0)
	v_pk_fma_f16 v74, v0, v90, v74 op_sel_hi:[1,0,1]
	v_pk_fma_f16 v75, v1, v90, v75 op_sel_hi:[1,0,1]
	v_pk_fma_f16 v76, v2, v90, v76 op_sel_hi:[1,0,1]
	v_pk_fma_f16 v29, v3, v90, v29 op_sel_hi:[1,0,1]
	ds_read2_b64 v[0:3], v71 offset1:32
	s_waitcnt lgkmcnt(0)
	v_pk_fma_f16 v74, v0, v91, v74 op_sel_hi:[1,0,1]
	v_pk_fma_f16 v75, v1, v91, v75 op_sel_hi:[1,0,1]
	v_pk_fma_f16 v76, v2, v91, v76 op_sel_hi:[1,0,1]
	v_pk_fma_f16 v29, v3, v91, v29 op_sel_hi:[1,0,1]
	ds_read2_b64 v[0:3], v72 offset1:32
	s_waitcnt lgkmcnt(0)
	s_barrier
	s_load_dword s10, s[8:9], 0x4
	v_pk_fma_f16 v0, v0, v92, v74 op_sel_hi:[1,0,1]
	v_pk_fma_f16 v1, v1, v92, v75 op_sel_hi:[1,0,1]
	;; [unrolled: 1-line block ×4, first 2 shown]
	s_waitcnt lgkmcnt(0)
	s_lshl_b32 s10, s10, 6
	s_add_i32 s6, s10, s6
	s_cmp_lt_i32 s6, s28
	s_cbranch_scc0 .LBB64_17
; %bb.16:                               ;   in Loop: Header=BB64_9 Depth=1
	v_mov_b32_e32 v74, v22
	s_branch .LBB64_9
.LBB64_17:
	v_mov_b32_e32 v7, v36
.LBB64_18:
	v_cmp_lt_i32_e32 vcc, v24, v23
	v_cndmask_b32_e32 v6, v5, v24, vcc
	v_lshlrev_b32_e32 v6, 2, v6
	ds_bpermute_b32 v6, v6, v53
	v_cmp_lt_i32_e32 vcc, v25, v23
	v_cndmask_b32_e32 v8, v5, v25, vcc
	v_lshlrev_b32_e32 v8, 2, v8
	v_cmp_lt_i32_e32 vcc, v26, v23
	s_waitcnt lgkmcnt(0)
	v_add_f32_e32 v6, v53, v6
	ds_bpermute_b32 v8, v8, v6
	v_cndmask_b32_e32 v9, v5, v26, vcc
	v_lshlrev_b32_e32 v9, 2, v9
	v_cmp_lt_i32_e32 vcc, v27, v23
	v_lshlrev_b32_e32 v4, 7, v34
	s_waitcnt lgkmcnt(0)
	v_add_f32_e32 v6, v6, v8
	ds_bpermute_b32 v8, v9, v6
	v_cndmask_b32_e32 v9, v5, v27, vcc
	v_lshlrev_b32_e32 v9, 2, v9
	v_cmp_lt_i32_e32 vcc, v28, v23
	v_cndmask_b32_e32 v5, v5, v28, vcc
	s_waitcnt lgkmcnt(0)
	v_add_f32_e32 v6, v6, v8
	ds_bpermute_b32 v8, v9, v6
	v_lshlrev_b32_e32 v5, 2, v5
	v_cmp_eq_u32_e32 vcc, 0, v7
	v_cmp_ne_u32_e64 s[0:1], 0, v7
	s_waitcnt lgkmcnt(0)
	v_add_f32_e32 v6, v6, v8
	ds_bpermute_b32 v5, v5, v6
	s_waitcnt lgkmcnt(0)
	v_add_f32_e32 v23, v6, v5
	s_and_saveexec_b64 s[8:9], s[0:1]
	s_xor_b64 s[8:9], exec, s[8:9]
	s_cbranch_execnz .LBB64_22
; %bb.19:
	s_andn2_saveexec_b64 s[0:1], s[8:9]
	s_cbranch_execnz .LBB64_25
.LBB64_20:
	s_or_b64 exec, exec, s[0:1]
	s_and_saveexec_b64 s[0:1], vcc
	s_cbranch_execnz .LBB64_26
.LBB64_21:
	s_endpgm
.LBB64_22:
	v_lshl_add_u32 v4, v4, 2, v35
	v_cmp_eq_u32_e64 s[0:1], 0, v30
	ds_write_b128 v4, v[0:3]
	s_and_saveexec_b64 s[10:11], s[0:1]
	s_cbranch_execz .LBB64_24
; %bb.23:
	v_lshlrev_b32_e32 v4, 2, v34
	ds_write_b32 v4, v23 offset:17408
.LBB64_24:
	s_or_b64 exec, exec, s[10:11]
                                        ; implicit-def: $vgpr4
                                        ; implicit-def: $vgpr35
                                        ; implicit-def: $vgpr34
	s_andn2_saveexec_b64 s[0:1], s[8:9]
	s_cbranch_execz .LBB64_20
.LBB64_25:
	v_lshl_add_u32 v4, v4, 2, v35
	v_lshlrev_b32_e32 v8, 2, v34
	s_waitcnt lgkmcnt(0)
	s_barrier
	ds_read_b128 v[4:7], v4 offset:512
	ds_read_b32 v8, v8 offset:17412
	s_waitcnt lgkmcnt(1)
	v_pk_add_f16 v0, v4, v0
	v_pk_add_f16 v1, v5, v1
	;; [unrolled: 1-line block ×4, first 2 shown]
	s_waitcnt lgkmcnt(0)
	v_add_f32_e32 v23, v23, v8
	s_or_b64 exec, exec, s[0:1]
	s_and_saveexec_b64 s[0:1], vcc
	s_cbranch_execz .LBB64_21
.LBB64_26:
	s_cmp_eq_u64 s[16:17], 0
	s_cselect_b64 s[0:1], -1, 0
	s_cmp_lg_u32 s7, 0
	s_cselect_b64 s[8:9], -1, 0
	s_or_b64 s[0:1], s[8:9], s[0:1]
	v_add_u32_e32 v4, s29, v33
	s_and_b64 vcc, exec, s[0:1]
	s_cbranch_vccnz .LBB64_28
; %bb.27:
	v_ashrrev_i32_e32 v5, 31, v4
	v_lshlrev_b64 v[6:7], 2, v[4:5]
	v_mov_b32_e32 v5, s17
	v_add_co_u32_e32 v6, vcc, s16, v6
	v_addc_co_u32_e32 v7, vcc, v5, v7, vcc
	global_load_dword v5, v[6:7], off
	v_max_f32_e32 v6, v22, v22
	s_mov_b32 s0, 0x3fb8aa3b
	s_mov_b32 s1, 0xc2ce8ed0
	s_waitcnt vmcnt(0)
	v_max_f32_e32 v7, v5, v5
	v_max_f32_e32 v6, v6, v7
	v_sub_f32_e32 v7, v22, v6
	v_sub_f32_e32 v5, v5, v6
	v_mul_f32_e32 v8, 0x3fb8aa3b, v7
	v_mul_f32_e32 v9, 0x3fb8aa3b, v5
	v_fma_f32 v10, v7, s0, -v8
	v_rndne_f32_e32 v11, v8
	v_fma_f32 v12, v5, s0, -v9
	v_rndne_f32_e32 v13, v9
	v_fmac_f32_e32 v10, 0x32a5705f, v7
	v_sub_f32_e32 v8, v8, v11
	v_fmac_f32_e32 v12, 0x32a5705f, v5
	v_sub_f32_e32 v9, v9, v13
	v_add_f32_e32 v8, v8, v10
	v_cvt_i32_f32_e32 v11, v11
	v_add_f32_e32 v9, v9, v12
	v_exp_f32_e32 v8, v8
	v_cvt_i32_f32_e32 v13, v13
	v_exp_f32_e32 v9, v9
	v_cmp_ngt_f32_e32 vcc, s1, v7
	v_ldexp_f32 v8, v8, v11
	s_mov_b32 s0, 0x42b17218
	v_ldexp_f32 v9, v9, v13
	v_cndmask_b32_e32 v8, 0, v8, vcc
	v_cmp_ngt_f32_e32 vcc, s1, v5
	v_mov_b32_e32 v10, 0x7f800000
	v_cndmask_b32_e32 v9, 0, v9, vcc
	v_cmp_nlt_f32_e32 vcc, s0, v7
	v_cndmask_b32_e32 v8, v10, v8, vcc
	v_cvt_f16_f32_e32 v11, v8
	v_cmp_nlt_f32_e32 vcc, s0, v5
	v_cndmask_b32_e32 v7, v10, v9, vcc
	v_fmac_f32_e32 v7, v23, v8
	v_pk_mul_f16 v0, v11, v0 op_sel_hi:[0,1]
	v_pk_mul_f16 v1, v11, v1 op_sel_hi:[0,1]
	;; [unrolled: 1-line block ×4, first 2 shown]
	v_pk_mov_b32 v[22:23], v[6:7], v[6:7] op_sel:[0,1]
	s_branch .LBB64_29
.LBB64_28:
	v_mov_b32_e32 v7, v23
.LBB64_29:
	v_div_scale_f32 v5, s[0:1], v7, v7, 1.0
	v_rcp_f32_e32 v6, v5
	s_load_dword s4, s[4:5], 0xd4
	s_mul_i32 s33, s33, s2
	v_cvt_f32_f16_sdwa v15, v1 dst_sel:DWORD dst_unused:UNUSED_PAD src0_sel:WORD_1
	v_fma_f32 v8, -v5, v6, 1.0
	v_fmac_f32_e32 v6, v8, v6
	v_div_scale_f32 v8, vcc, 1.0, v7, 1.0
	v_mul_f32_e32 v9, v8, v6
	v_fma_f32 v10, -v5, v9, v8
	v_fmac_f32_e32 v9, v10, v6
	v_fma_f32 v5, -v5, v9, v8
	s_waitcnt lgkmcnt(0)
	s_cmp_lg_u32 s4, 1
	v_div_fmas_f32 v5, v5, v6, v9
	v_div_fixup_f32 v5, v5, v7, 1.0
	s_cselect_b64 s[0:1], -1, 0
	v_cndmask_b32_e64 v10, v5, 1.0, s[0:1]
	v_add_u32_e32 v5, s33, v31
	v_mad_u64_u32 v[4:5], s[2:3], v5, s3, v[4:5]
	v_mul_lo_u32 v4, s4, v4
	v_add_u32_e32 v4, s7, v4
	v_cvt_f32_f16_sdwa v9, v0 dst_sel:DWORD dst_unused:UNUSED_PAD src0_sel:WORD_1
	v_cvt_f32_f16_e32 v8, v0
	v_cvt_f32_f16_e32 v14, v1
	v_lshl_add_u32 v12, v4, 8, v32
	v_mov_b32_e32 v13, 0
	v_lshlrev_b64 v[6:7], 2, v[12:13]
	v_mov_b32_e32 v5, s21
	v_add_co_u32_e32 v0, vcc, s20, v6
	v_addc_co_u32_e32 v1, vcc, v5, v7, vcc
	v_pk_mul_f32 v[6:7], v[10:11], v[8:9] op_sel_hi:[0,1]
	v_pk_mul_f32 v[8:9], v[10:11], v[14:15] op_sel_hi:[0,1]
	v_add_u32_e32 v12, 0x80, v12
	global_store_dwordx4 v[0:1], v[6:9], off
	v_lshlrev_b64 v[0:1], 2, v[12:13]
	v_cvt_f32_f16_sdwa v7, v2 dst_sel:DWORD dst_unused:UNUSED_PAD src0_sel:WORD_1
	v_cvt_f32_f16_e32 v6, v2
	v_cvt_f32_f16_sdwa v9, v3 dst_sel:DWORD dst_unused:UNUSED_PAD src0_sel:WORD_1
	v_cvt_f32_f16_e32 v8, v3
	v_add_co_u32_e32 v12, vcc, s20, v0
	v_addc_co_u32_e32 v13, vcc, v5, v1, vcc
	v_cmp_eq_u32_e32 vcc, 0, v30
	v_pk_mul_f32 v[0:1], v[10:11], v[6:7] op_sel_hi:[0,1]
	v_pk_mul_f32 v[2:3], v[10:11], v[8:9] op_sel_hi:[0,1]
	s_and_b64 s[0:1], vcc, s[0:1]
	global_store_dwordx4 v[12:13], v[0:3], off
	s_and_b64 exec, exec, s[0:1]
	s_cbranch_execz .LBB64_21
; %bb.30:
	v_ashrrev_i32_e32 v5, 31, v4
	v_lshlrev_b64 v[0:1], 3, v[4:5]
	v_mov_b32_e32 v2, s23
	v_add_co_u32_e32 v0, vcc, s22, v0
	v_addc_co_u32_e32 v1, vcc, v2, v1, vcc
	global_store_dwordx2 v[0:1], v[22:23], off
	s_endpgm
	.section	.rodata,"a",@progbits
	.p2align	6, 0x0
	.amdhsa_kernel _ZL15flash_attn_tileILi256ELi256ELi1ELi4ELb1EEvPKcS1_S1_S1_S1_PKiPfP15HIP_vector_typeIfLj2EEffffjfiS5_IjLj3EEiiiiiiiiiiiliiliiiiil
		.amdhsa_group_segment_fixed_size 20000
		.amdhsa_private_segment_fixed_size 0
		.amdhsa_kernarg_size 464
		.amdhsa_user_sgpr_count 6
		.amdhsa_user_sgpr_private_segment_buffer 1
		.amdhsa_user_sgpr_dispatch_ptr 0
		.amdhsa_user_sgpr_queue_ptr 0
		.amdhsa_user_sgpr_kernarg_segment_ptr 1
		.amdhsa_user_sgpr_dispatch_id 0
		.amdhsa_user_sgpr_flat_scratch_init 0
		.amdhsa_user_sgpr_kernarg_preload_length 0
		.amdhsa_user_sgpr_kernarg_preload_offset 0
		.amdhsa_user_sgpr_private_segment_size 0
		.amdhsa_uses_dynamic_stack 0
		.amdhsa_system_sgpr_private_segment_wavefront_offset 0
		.amdhsa_system_sgpr_workgroup_id_x 1
		.amdhsa_system_sgpr_workgroup_id_y 1
		.amdhsa_system_sgpr_workgroup_id_z 1
		.amdhsa_system_sgpr_workgroup_info 0
		.amdhsa_system_vgpr_workitem_id 1
		.amdhsa_next_free_vgpr 96
		.amdhsa_next_free_sgpr 44
		.amdhsa_accum_offset 96
		.amdhsa_reserve_vcc 1
		.amdhsa_reserve_flat_scratch 0
		.amdhsa_float_round_mode_32 0
		.amdhsa_float_round_mode_16_64 0
		.amdhsa_float_denorm_mode_32 3
		.amdhsa_float_denorm_mode_16_64 3
		.amdhsa_dx10_clamp 1
		.amdhsa_ieee_mode 1
		.amdhsa_fp16_overflow 0
		.amdhsa_tg_split 0
		.amdhsa_exception_fp_ieee_invalid_op 0
		.amdhsa_exception_fp_denorm_src 0
		.amdhsa_exception_fp_ieee_div_zero 0
		.amdhsa_exception_fp_ieee_overflow 0
		.amdhsa_exception_fp_ieee_underflow 0
		.amdhsa_exception_fp_ieee_inexact 0
		.amdhsa_exception_int_div_zero 0
	.end_amdhsa_kernel
	.section	.text._ZL15flash_attn_tileILi256ELi256ELi1ELi4ELb1EEvPKcS1_S1_S1_S1_PKiPfP15HIP_vector_typeIfLj2EEffffjfiS5_IjLj3EEiiiiiiiiiiiliiliiiiil,"axG",@progbits,_ZL15flash_attn_tileILi256ELi256ELi1ELi4ELb1EEvPKcS1_S1_S1_S1_PKiPfP15HIP_vector_typeIfLj2EEffffjfiS5_IjLj3EEiiiiiiiiiiiliiliiiiil,comdat
.Lfunc_end64:
	.size	_ZL15flash_attn_tileILi256ELi256ELi1ELi4ELb1EEvPKcS1_S1_S1_S1_PKiPfP15HIP_vector_typeIfLj2EEffffjfiS5_IjLj3EEiiiiiiiiiiiliiliiiiil, .Lfunc_end64-_ZL15flash_attn_tileILi256ELi256ELi1ELi4ELb1EEvPKcS1_S1_S1_S1_PKiPfP15HIP_vector_typeIfLj2EEffffjfiS5_IjLj3EEiiiiiiiiiiiliiliiiiil
                                        ; -- End function
	.section	.AMDGPU.csdata,"",@progbits
; Kernel info:
; codeLenInByte = 7672
; NumSgprs: 48
; NumVgprs: 96
; NumAgprs: 0
; TotalNumVgprs: 96
; ScratchSize: 0
; MemoryBound: 0
; FloatMode: 240
; IeeeMode: 1
; LDSByteSize: 20000 bytes/workgroup (compile time only)
; SGPRBlocks: 5
; VGPRBlocks: 11
; NumSGPRsForWavesPerEU: 48
; NumVGPRsForWavesPerEU: 96
; AccumOffset: 96
; Occupancy: 3
; WaveLimiterHint : 1
; COMPUTE_PGM_RSRC2:SCRATCH_EN: 0
; COMPUTE_PGM_RSRC2:USER_SGPR: 6
; COMPUTE_PGM_RSRC2:TRAP_HANDLER: 0
; COMPUTE_PGM_RSRC2:TGID_X_EN: 1
; COMPUTE_PGM_RSRC2:TGID_Y_EN: 1
; COMPUTE_PGM_RSRC2:TGID_Z_EN: 1
; COMPUTE_PGM_RSRC2:TIDIG_COMP_CNT: 1
; COMPUTE_PGM_RSRC3_GFX90A:ACCUM_OFFSET: 23
; COMPUTE_PGM_RSRC3_GFX90A:TG_SPLIT: 0
	.section	.text._ZL15flash_attn_tileILi256ELi256ELi16ELi2ELb1EEvPKcS1_S1_S1_S1_PKiPfP15HIP_vector_typeIfLj2EEffffjfiS5_IjLj3EEiiiiiiiiiiiliiliiiiil,"axG",@progbits,_ZL15flash_attn_tileILi256ELi256ELi16ELi2ELb1EEvPKcS1_S1_S1_S1_PKiPfP15HIP_vector_typeIfLj2EEffffjfiS5_IjLj3EEiiiiiiiiiiiliiliiiiil,comdat
	.globl	_ZL15flash_attn_tileILi256ELi256ELi16ELi2ELb1EEvPKcS1_S1_S1_S1_PKiPfP15HIP_vector_typeIfLj2EEffffjfiS5_IjLj3EEiiiiiiiiiiiliiliiiiil ; -- Begin function _ZL15flash_attn_tileILi256ELi256ELi16ELi2ELb1EEvPKcS1_S1_S1_S1_PKiPfP15HIP_vector_typeIfLj2EEffffjfiS5_IjLj3EEiiiiiiiiiiiliiliiiiil
	.p2align	8
	.type	_ZL15flash_attn_tileILi256ELi256ELi16ELi2ELb1EEvPKcS1_S1_S1_S1_PKiPfP15HIP_vector_typeIfLj2EEffffjfiS5_IjLj3EEiiiiiiiiiiiliiliiiiil,@function
_ZL15flash_attn_tileILi256ELi256ELi16ELi2ELb1EEvPKcS1_S1_S1_S1_PKiPfP15HIP_vector_typeIfLj2EEffffjfiS5_IjLj3EEiiiiiiiiiiiliiliiiiil: ; @_ZL15flash_attn_tileILi256ELi256ELi16ELi2ELb1EEvPKcS1_S1_S1_S1_PKiPfP15HIP_vector_typeIfLj2EEffffjfiS5_IjLj3EEiiiiiiiiiiiliiliiiiil
; %bb.0:
	s_load_dwordx4 s[0:3], s[4:5], 0x5c
	s_load_dwordx2 s[30:31], s[4:5], 0x80
	s_load_dwordx2 s[36:37], s[4:5], 0xb8
	s_mov_b64 s[34:35], 0
	s_waitcnt lgkmcnt(0)
	s_lshr_b32 s9, s3, 31
	s_add_i32 s9, s3, s9
	s_ashr_i32 s9, s9, 1
	v_cvt_f32_u32_e32 v1, s9
	s_sub_i32 s10, 0, s9
	v_rcp_iflag_f32_e32 v1, v1
	v_mul_f32_e32 v1, 0x4f7ffffe, v1
	v_cvt_u32_f32_e32 v1, v1
	v_readfirstlane_b32 s11, v1
	s_mul_i32 s10, s10, s11
	s_mul_hi_u32 s10, s11, s10
	s_add_i32 s11, s11, s10
	s_mul_hi_u32 s10, s8, s11
	s_mul_i32 s11, s10, s9
	s_sub_i32 s11, s8, s11
	s_add_i32 s12, s10, 1
	s_sub_i32 s13, s11, s9
	s_cmp_ge_u32 s11, s9
	s_cselect_b32 s10, s12, s10
	s_cselect_b32 s11, s13, s11
	s_add_i32 s12, s10, 1
	s_cmp_ge_u32 s11, s9
	s_cselect_b32 s33, s12, s10
	s_abs_i32 s9, s31
	v_cvt_f32_u32_e32 v1, s9
	s_lshl_b32 s8, s8, 1
	s_mul_i32 s12, s33, s3
	s_sub_i32 s13, 0, s9
	v_rcp_iflag_f32_e32 v1, v1
	s_sub_i32 s28, s8, s12
	s_abs_i32 s11, s3
	s_xor_b32 s10, s3, s31
	v_mul_f32_e32 v1, 0x4f7ffffe, v1
	v_cvt_u32_f32_e32 v1, v1
	s_ashr_i32 s10, s10, 31
	v_readfirstlane_b32 s8, v1
	s_mul_i32 s13, s13, s8
	s_mul_hi_u32 s12, s8, s13
	s_add_i32 s8, s8, s12
	s_mul_hi_u32 s8, s11, s8
	s_mul_i32 s12, s8, s9
	s_sub_i32 s11, s11, s12
	s_add_i32 s13, s8, 1
	s_sub_i32 s12, s11, s9
	s_cmp_ge_u32 s11, s9
	s_cselect_b32 s8, s13, s8
	s_cselect_b32 s11, s12, s11
	s_add_i32 s12, s8, 1
	s_cmp_ge_u32 s11, s9
	s_cselect_b32 s8, s12, s8
	s_xor_b32 s8, s8, s10
	s_sub_i32 s31, s8, s10
	s_abs_i32 s29, s31
	v_cvt_f32_u32_e32 v1, s29
	s_load_dwordx16 s[8:23], s[4:5], 0x0
	v_rcp_iflag_f32_e32 v1, v1
	s_waitcnt lgkmcnt(0)
	s_cmp_eq_u64 s[14:15], 0
	v_mul_f32_e32 v1, 0x4f7ffffe, v1
	v_cvt_u32_f32_e32 v1, v1
	v_readfirstlane_b32 s38, v1
	s_cbranch_scc1 .LBB65_2
; %bb.1:
	s_abs_i32 s26, s36
	v_cvt_f32_u32_e32 v1, s26
	s_sub_i32 s35, 0, s26
	s_abs_i32 s34, s33
	s_ashr_i32 s27, s33, 31
	v_rcp_iflag_f32_e32 v1, v1
	s_load_dwordx2 s[24:25], s[4:5], 0xc8
	v_mul_f32_e32 v1, 0x4f7ffffe, v1
	v_cvt_u32_f32_e32 v1, v1
	v_readfirstlane_b32 s36, v1
	s_mul_i32 s35, s35, s36
	s_mul_hi_u32 s35, s36, s35
	s_add_i32 s36, s36, s35
	s_mul_hi_u32 s35, s34, s36
	s_mul_i32 s35, s35, s26
	s_sub_i32 s34, s34, s35
	s_sub_i32 s35, s34, s26
	s_cmp_ge_u32 s34, s26
	s_cselect_b32 s34, s35, s34
	s_sub_i32 s35, s34, s26
	s_cmp_ge_u32 s34, s26
	s_cselect_b32 s26, s35, s34
	s_xor_b32 s26, s26, s27
	s_sub_i32 s26, s26, s27
	s_ashr_i32 s27, s26, 31
	s_waitcnt lgkmcnt(0)
	s_mul_i32 s25, s26, s25
	s_mul_hi_u32 s34, s26, s24
	s_add_i32 s25, s34, s25
	s_mul_i32 s27, s27, s24
	s_add_i32 s25, s25, s27
	s_mul_i32 s26, s26, s24
	s_add_u32 s34, s14, s26
	s_addc_u32 s35, s15, s25
.LBB65_2:
	s_load_dwordx4 s[24:27], s[4:5], 0x70
	v_bfe_u32 v8, v0, 10, 10
	s_lshl_b32 s14, s6, 4
	v_lshlrev_b32_e32 v21, 1, v8
	v_add_u32_e32 v23, s14, v21
	s_waitcnt lgkmcnt(0)
	s_mul_i32 s15, s33, s26
	s_ashr_i32 s27, s15, 31
	v_and_b32_e32 v22, 0x3ff, v0
	v_mul_hi_u32 v0, v23, s0
	s_mul_i32 s26, s28, s25
	s_add_u32 s8, s8, s15
	v_add_u32_e32 v0, v23, v0
	s_addc_u32 s9, s9, s27
	s_ashr_i32 s15, s26, 31
	v_lshrrev_b32_e32 v0, s1, v0
	s_add_u32 s26, s8, s26
	v_mul_lo_u32 v0, v0, s2
	s_addc_u32 s15, s9, s15
	s_ashr_i32 s36, s24, 31
	v_sub_u32_e32 v9, v23, v0
	v_mov_b32_e32 v0, s24
	v_alignbit_b32 v24, s36, v0, 2
	v_mad_u64_u32 v[0:1], s[8:9], v24, v9, 0
	v_mov_b32_e32 v2, v1
	s_lshr_b32 s24, s36, 2
	v_mad_u64_u32 v[2:3], s[8:9], s24, v9, v[2:3]
	v_mov_b32_e32 v1, v2
	v_lshlrev_b64 v[10:11], 2, v[0:1]
	v_mov_b32_e32 v0, s15
	v_add_co_u32_e32 v1, vcc, s26, v10
	s_ashr_i32 s27, s25, 31
	v_addc_co_u32_e32 v0, vcc, v0, v11, vcc
	v_lshlrev_b32_e32 v38, 4, v22
	s_and_b32 s8, s25, -4
	v_add_co_u32_e32 v12, vcc, v1, v38
	s_add_u32 s25, s26, s8
	v_addc_co_u32_e32 v13, vcc, 0, v0, vcc
	s_addc_u32 s27, s15, s27
	v_lshlrev_b32_e32 v20, 2, v8
	global_load_dwordx4 v[0:3], v[12:13], off
	global_load_dwordx4 v[4:7], v[12:13], off offset:512
	v_mov_b32_e32 v12, s27
	v_add_co_u32_e32 v10, vcc, s25, v10
	v_addc_co_u32_e32 v11, vcc, v12, v11, vcc
	v_or_b32_e32 v46, 2, v20
	v_add_co_u32_e32 v14, vcc, v10, v38
	v_lshrrev_b32_e32 v18, 1, v46
	v_addc_co_u32_e32 v15, vcc, 0, v11, vcc
	v_add_u32_e32 v19, s14, v18
	global_load_dwordx4 v[10:13], v[14:15], off
	global_load_dwordx4 v[26:29], v[14:15], off offset:512
	v_mul_hi_u32 v14, v19, s0
	v_add_u32_e32 v14, v19, v14
	v_lshrrev_b32_e32 v14, s1, v14
	v_mul_lo_u32 v14, v14, s2
	v_sub_u32_e32 v17, v19, v14
	v_mad_u64_u32 v[14:15], s[8:9], v24, v17, 0
	v_mov_b32_e32 v16, v15
	v_mad_u64_u32 v[16:17], s[8:9], s24, v17, v[16:17]
	v_mov_b32_e32 v15, v16
	v_lshlrev_b64 v[14:15], 2, v[14:15]
	v_mov_b32_e32 v16, s15
	v_add_co_u32_e32 v14, vcc, s26, v14
	v_addc_co_u32_e32 v15, vcc, v16, v15, vcc
	v_or_b32_e32 v47, 3, v20
	v_add_co_u32_e32 v14, vcc, v14, v38
	v_lshrrev_b32_e32 v16, 1, v47
	v_addc_co_u32_e32 v15, vcc, 0, v15, vcc
	v_add_u32_e32 v17, s14, v16
	global_load_dwordx4 v[30:33], v[14:15], off
	global_load_dwordx4 v[34:37], v[14:15], off offset:512
	v_mul_hi_u32 v14, v17, s0
	v_add_u32_e32 v14, v17, v14
	v_lshrrev_b32_e32 v14, s1, v14
	v_mul_lo_u32 v14, v14, s2
	v_sub_u32_e32 v25, v17, v14
	v_mad_u64_u32 v[14:15], s[8:9], v24, v25, 0
	v_mov_b32_e32 v20, v15
	v_mad_u64_u32 v[24:25], s[8:9], s24, v25, v[20:21]
	v_mov_b32_e32 v15, v24
	v_lshlrev_b64 v[14:15], 2, v[14:15]
	v_mov_b32_e32 v20, s27
	v_add_co_u32_e32 v14, vcc, s25, v14
	v_addc_co_u32_e32 v15, vcc, v20, v15, vcc
	v_add_co_u32_e32 v14, vcc, v14, v38
	v_addc_co_u32_e32 v15, vcc, 0, v15, vcc
	global_load_dwordx4 v[38:41], v[14:15], off
	global_load_dwordx4 v[42:45], v[14:15], off offset:512
	s_load_dword s8, s[4:5], 0x40
	v_lshlrev_b32_e32 v24, 3, v22
	v_lshl_or_b32 v49, v8, 11, v24
	v_lshlrev_b32_e32 v14, 1, v22
	s_cmp_eq_u64 s[18:19], 0
	s_waitcnt vmcnt(7) lgkmcnt(0)
	v_pk_mul_f32 v[0:1], v[0:1], s[8:9] op_sel_hi:[1,0]
	v_cvt_f16_f32_e32 v15, v1
	v_cvt_f16_f32_e32 v20, v0
	v_pk_mul_f32 v[0:1], v[2:3], s[8:9] op_sel_hi:[1,0]
	v_cvt_f16_f32_e32 v25, v1
	v_cvt_f16_f32_e32 v48, v0
	s_waitcnt vmcnt(6)
	v_pk_mul_f32 v[0:1], v[4:5], s[8:9] op_sel_hi:[1,0]
	v_pk_mul_f32 v[2:3], v[6:7], s[8:9] op_sel_hi:[1,0]
	v_cvt_f16_f32_e32 v4, v1
	v_cvt_f16_f32_e32 v3, v3
	;; [unrolled: 1-line block ×4, first 2 shown]
	v_pack_b32_f16 v1, v48, v25
	v_pack_b32_f16 v0, v20, v15
	;; [unrolled: 1-line block ×4, first 2 shown]
	ds_write2_b64 v49, v[0:1], v[2:3] offset1:32
	s_waitcnt vmcnt(5)
	v_pk_mul_f32 v[0:1], v[10:11], s[8:9] op_sel_hi:[1,0]
	v_cvt_f16_f32_e32 v4, v1
	v_cvt_f16_f32_e32 v5, v0
	v_pk_mul_f32 v[0:1], v[12:13], s[8:9] op_sel_hi:[1,0]
	v_cvt_f16_f32_e32 v6, v1
	v_cvt_f16_f32_e32 v7, v0
	s_waitcnt vmcnt(4)
	v_pk_mul_f32 v[0:1], v[26:27], s[8:9] op_sel_hi:[1,0]
	v_pk_mul_f32 v[2:3], v[28:29], s[8:9] op_sel_hi:[1,0]
	v_cvt_f16_f32_e32 v10, v1
	v_cvt_f16_f32_e32 v3, v3
	;; [unrolled: 1-line block ×4, first 2 shown]
	v_pack_b32_f16 v1, v7, v6
	v_pack_b32_f16 v0, v5, v4
	v_pack_b32_f16 v3, v2, v3
	v_pack_b32_f16 v2, v11, v10
	ds_write2_b64 v49, v[0:1], v[2:3] offset0:64 offset1:96
	v_lshlrev_b32_e32 v2, 7, v46
	v_add_lshl_u32 v10, v2, v14, 2
	s_waitcnt vmcnt(3)
	v_pk_mul_f32 v[0:1], v[30:31], s[8:9] op_sel_hi:[1,0]
	v_cvt_f16_f32_e32 v4, v1
	v_cvt_f16_f32_e32 v5, v0
	v_pk_mul_f32 v[0:1], v[32:33], s[8:9] op_sel_hi:[1,0]
	v_cvt_f16_f32_e32 v6, v1
	v_cvt_f16_f32_e32 v7, v0
	s_waitcnt vmcnt(2)
	v_pk_mul_f32 v[0:1], v[34:35], s[8:9] op_sel_hi:[1,0]
	v_pk_mul_f32 v[2:3], v[36:37], s[8:9] op_sel_hi:[1,0]
	v_cvt_f16_f32_e32 v11, v1
	v_cvt_f16_f32_e32 v3, v3
	;; [unrolled: 1-line block ×4, first 2 shown]
	v_pack_b32_f16 v1, v7, v6
	v_pack_b32_f16 v0, v5, v4
	;; [unrolled: 1-line block ×4, first 2 shown]
	ds_write2_b64 v10, v[0:1], v[2:3] offset1:32
	v_lshlrev_b32_e32 v2, 7, v47
	v_add_lshl_u32 v10, v2, v14, 2
	s_waitcnt vmcnt(1)
	v_pk_mul_f32 v[0:1], v[38:39], s[8:9] op_sel_hi:[1,0]
	v_cvt_f16_f32_e32 v4, v1
	v_cvt_f16_f32_e32 v5, v0
	v_pk_mul_f32 v[0:1], v[40:41], s[8:9] op_sel_hi:[1,0]
	v_cvt_f16_f32_e32 v6, v1
	v_cvt_f16_f32_e32 v7, v0
	s_waitcnt vmcnt(0)
	v_pk_mul_f32 v[0:1], v[42:43], s[8:9] op_sel_hi:[1,0]
	v_pk_mul_f32 v[2:3], v[44:45], s[8:9] op_sel_hi:[1,0]
	v_cvt_f16_f32_e32 v11, v1
	v_cvt_f16_f32_e32 v3, v3
	;; [unrolled: 1-line block ×4, first 2 shown]
	v_pack_b32_f16 v1, v7, v6
	v_pack_b32_f16 v0, v5, v4
	;; [unrolled: 1-line block ×4, first 2 shown]
	ds_write2_b64 v10, v[0:1], v[2:3] offset1:32
	s_waitcnt lgkmcnt(0)
	s_barrier
	s_cbranch_scc1 .LBB65_4
; %bb.3:
	s_load_dword s8, s[4:5], 0xd0
	s_mov_b32 s9, 0
	s_waitcnt lgkmcnt(0)
	s_mul_i32 s8, s8, s33
	s_add_i32 s8, s8, s6
	s_lshl_b64 s[8:9], s[8:9], 2
	s_add_u32 s8, s18, s8
	s_addc_u32 s9, s19, s9
	s_load_dword s30, s[8:9], 0x0
.LBB65_4:
	s_lshl_b32 s6, s7, 5
	v_lshlrev_b32_e32 v20, 2, v22
	s_waitcnt lgkmcnt(0)
	s_cmp_lt_i32 s6, s30
	v_mbcnt_lo_u32_b32 v12, -1, 0
	s_cbranch_scc1 .LBB65_6
; %bb.5:
	v_mbcnt_hi_u32_b32 v25, -1, v12
	v_and_b32_e32 v0, 0x60, v25
	s_mov_b32 s15, 0
	v_add_u32_e32 v64, 32, v0
	v_xor_b32_e32 v67, 16, v25
	v_xor_b32_e32 v68, 8, v25
	;; [unrolled: 1-line block ×5, first 2 shown]
	s_mov_b64 s[8:9], 0
	s_mov_b32 s18, 0xfeffffff
	s_branch .LBB65_7
.LBB65_6:
	s_mov_b64 s[8:9], -1
                                        ; implicit-def: $sgpr18
                                        ; implicit-def: $sgpr15
                                        ; implicit-def: $vgpr25
                                        ; implicit-def: $vgpr64
                                        ; implicit-def: $vgpr67
                                        ; implicit-def: $vgpr68
                                        ; implicit-def: $vgpr69
                                        ; implicit-def: $vgpr66
                                        ; implicit-def: $vgpr65
.LBB65_7:
	s_andn2_b64 vcc, exec, s[8:9]
	v_mov_b32_e32 v3, s18
	v_mov_b32_e32 v5, s15
	;; [unrolled: 1-line block ×24, first 2 shown]
	s_cbranch_vccnz .LBB65_27
; %bb.8:
	s_sub_i32 s8, 0, s29
	s_mul_i32 s8, s8, s38
	s_mul_hi_u32 s8, s38, s8
	s_add_i32 s38, s38, s8
	s_load_dwordx4 s[24:27], s[4:5], 0x98
	s_load_dword s15, s[4:5], 0x54
	s_load_dwordx2 s[8:9], s[4:5], 0x8c
	s_abs_i32 s36, s28
	s_ashr_i32 s41, s28, 31
	s_waitcnt lgkmcnt(0)
	s_ashr_i32 s18, s26, 2
	s_ashr_i32 s26, s37, 1
	;; [unrolled: 1-line block ×4, first 2 shown]
	s_mul_i32 s25, s33, s25
	s_mul_hi_u32 s37, s33, s24
	s_add_i32 s25, s37, s25
	s_mul_i32 s37, s8, s24
	s_ashr_i32 s31, s31, 31
	s_add_i32 s25, s25, s37
	s_mul_i32 s24, s33, s24
	s_mul_hi_u32 s40, s36, s38
	s_add_u32 s10, s10, s24
	s_addc_u32 s11, s11, s25
	s_mul_i32 s25, s40, s29
	s_sub_i32 s25, s36, s25
	s_xor_b32 s24, s41, s31
	s_add_i32 s31, s40, 1
	s_sub_i32 s36, s25, s29
	s_cmp_ge_u32 s25, s29
	s_cselect_b32 s31, s31, s40
	s_cselect_b32 s25, s36, s25
	s_add_i32 s36, s31, 1
	s_cmp_ge_u32 s25, s29
	s_cselect_b32 s25, s36, s31
	s_load_dwordx2 s[38:39], s[4:5], 0xa8
	s_xor_b32 s25, s25, s24
	s_sub_i32 s24, s25, s24
	s_mul_i32 s9, s24, s9
	s_ashr_i32 s25, s9, 31
	s_add_u32 s10, s10, s9
	s_addc_u32 s11, s11, s25
	s_waitcnt lgkmcnt(0)
	s_mul_i32 s9, s33, s39
	s_mul_hi_u32 s25, s33, s38
	s_add_i32 s9, s25, s9
	s_mul_i32 s8, s8, s38
	s_add_i32 s9, s9, s8
	s_mul_i32 s8, s33, s38
	s_add_u32 s8, s12, s8
	s_mul_i32 s24, s24, s27
	v_lshrrev_b32_e32 v0, 4, v22
	s_addc_u32 s9, s13, s9
	s_ashr_i32 s13, s24, 31
	v_add_u32_e32 v1, v0, v21
	v_and_b32_e32 v0, 60, v20
	s_add_u32 s12, s8, s24
	v_lshlrev_b32_e32 v2, 2, v0
	s_movk_i32 s8, 0x110
	v_mad_u32_u24 v4, v1, s8, v2
	v_mul_lo_u32 v2, s19, v1
	v_mov_b32_e32 v1, 0x4000
	v_mad_u32_u24 v30, v22, s8, v1
	v_add3_u32 v1, s14, v21, 1
	v_mul_hi_u32 v6, s0, v1
	v_add_u32_e32 v6, v1, v6
	v_lshrrev_b32_e32 v6, s1, v6
	v_mul_lo_u32 v6, v6, s2
	v_sub_u32_e32 v1, v1, v6
	v_mul_lo_u32 v6, s18, v8
	s_addc_u32 s13, s9, s13
	v_add_u32_e32 v27, 0x4000, v4
	v_add_u32_e32 v29, 0x5100, v4
	v_lshl_add_u32 v4, s19, 4, v2
	v_mul_lo_u32 v34, v1, s26
	v_mov_b32_e32 v1, 0x6200
	v_lshlrev_b32_e32 v37, 2, v20
	v_lshl_add_u32 v14, s18, 3, v6
	v_mov_b32_e32 v26, 0
	v_ashrrev_i32_e32 v3, 31, v2
	v_ashrrev_i32_e32 v5, 31, v4
	v_lshl_add_u32 v36, v8, 8, v1
	v_lshl_add_u32 v1, v8, 9, v37
	v_ashrrev_i32_e32 v7, 31, v6
	v_ashrrev_i32_e32 v15, 31, v14
	s_add_u32 s0, s4, 0xd0
	v_lshlrev_b32_e32 v31, 11, v8
	v_mul_lo_u32 v32, v9, s26
	v_add_u32_e32 v38, 0x4000, v1
	v_add_u32_e32 v39, 0x5000, v1
	s_addc_u32 s1, s5, 0
	v_mov_b32_e32 v57, 0xfeffffff
	v_lshlrev_b64 v[8:9], 2, v[2:3]
	v_lshlrev_b32_e32 v40, 2, v0
	v_lshlrev_b64 v[10:11], 2, v[4:5]
	s_mov_b32 s24, 0x3f200000
	s_mov_b32 s25, 0x3fb8aa3b
	;; [unrolled: 1-line block ×4, first 2 shown]
	v_mov_b32_e32 v41, 0xbd5c1c4e
	v_mov_b32_e32 v42, 0x3e088382
	;; [unrolled: 1-line block ×3, first 2 shown]
	v_mbcnt_hi_u32_b32 v25, -1, v12
	s_brev_b32 s29, -2
	v_lshlrev_b64 v[12:13], 2, v[6:7]
	v_lshlrev_b64 v[14:15], 2, v[14:15]
	v_mov_b32_e32 v44, 0x7f800000
	v_mov_b32_e32 v28, 0
	v_mov_b32_e32 v33, 0
	v_mov_b32_e32 v35, 0
	v_mov_b32_e32 v47, 0
	v_mov_b32_e32 v46, 0
	v_mov_b32_e32 v48, 0
	v_mov_b32_e32 v45, 0
	v_mov_b32_e32 v51, 0
	v_mov_b32_e32 v50, 0
	v_mov_b32_e32 v52, 0
	v_mov_b32_e32 v49, 0
	v_mov_b32_e32 v55, 0
	v_mov_b32_e32 v54, 0
	v_mov_b32_e32 v56, 0
	v_mov_b32_e32 v53, 0
	v_mov_b32_e32 v58, 0xfeffffff
	v_mov_b32_e32 v59, 0xfeffffff
	v_mov_b32_e32 v60, 0xfeffffff
	v_mov_b32_e32 v6, 0
	v_mov_b32_e32 v7, v26
	v_mov_b32_e32 v4, 0
	v_mov_b32_e32 v5, v26
.LBB65_9:                               ; =>This Inner Loop Header: Depth=1
	s_mul_hi_i32 s9, s6, s19
	s_mul_i32 s8, s6, s19
	s_lshl_b64 s[8:9], s[8:9], 2
	s_add_u32 s8, s10, s8
	s_addc_u32 s9, s11, s9
	v_mov_b32_e32 v0, s9
	v_add_co_u32_e32 v1, vcc, s8, v8
	v_addc_co_u32_e32 v2, vcc, v0, v9, vcc
	v_add_co_u32_e32 v0, vcc, v1, v40
	v_addc_co_u32_e32 v1, vcc, 0, v2, vcc
	v_mov_b32_e32 v2, s9
	v_add_co_u32_e32 v3, vcc, s8, v10
	v_addc_co_u32_e32 v61, vcc, v2, v11, vcc
	v_add_co_u32_e32 v2, vcc, v3, v40
	v_addc_co_u32_e32 v3, vcc, 0, v61, vcc
	global_load_dwordx4 v[66:69], v[0:1], off
	global_load_dwordx4 v[70:73], v[2:3], off
	v_mov_b32_e32 v64, 0
	v_mov_b32_e32 v63, 0
	;; [unrolled: 1-line block ×4, first 2 shown]
	s_waitcnt vmcnt(1)
	ds_write_b128 v27, v[66:69]
	s_waitcnt vmcnt(0)
	ds_write_b128 v29, v[70:73]
	s_waitcnt lgkmcnt(0)
	s_barrier
	ds_read_b128 v[66:69], v30
	ds_read_b128 v[70:73], v31
	ds_read_b128 v[74:77], v31 offset:512
	ds_read_b128 v[78:81], v31 offset:1024
	ds_read_b128 v[82:85], v31 offset:1536
	s_waitcnt lgkmcnt(3)
	;;#ASMSTART
	v_dot2_f32_f16 v64, v66, v70, v64
	;;#ASMEND
	;;#ASMSTART
	v_dot2_f32_f16 v64, v67, v71, v64
	;;#ASMEND
	;;#ASMSTART
	v_dot2_f32_f16 v64, v68, v72, v64
	;;#ASMEND
	;;#ASMSTART
	v_dot2_f32_f16 v64, v69, v73, v64
	;;#ASMEND
	s_waitcnt lgkmcnt(2)
	;;#ASMSTART
	v_dot2_f32_f16 v63, v66, v74, v63
	;;#ASMEND
	;;#ASMSTART
	v_dot2_f32_f16 v63, v67, v75, v63
	;;#ASMEND
	;;#ASMSTART
	v_dot2_f32_f16 v63, v68, v76, v63
	;;#ASMEND
	;;#ASMSTART
	v_dot2_f32_f16 v63, v69, v77, v63
	;;#ASMEND
	s_waitcnt lgkmcnt(1)
	;;#ASMSTART
	v_dot2_f32_f16 v62, v66, v78, v62
	;;#ASMEND
	;;#ASMSTART
	v_dot2_f32_f16 v62, v67, v79, v62
	;;#ASMEND
	;;#ASMSTART
	v_dot2_f32_f16 v62, v68, v80, v62
	;;#ASMEND
	;;#ASMSTART
	v_dot2_f32_f16 v62, v69, v81, v62
	;;#ASMEND
	s_waitcnt lgkmcnt(0)
	;;#ASMSTART
	v_dot2_f32_f16 v61, v66, v82, v61
	;;#ASMEND
	;;#ASMSTART
	v_dot2_f32_f16 v61, v67, v83, v61
	;;#ASMEND
	;;#ASMSTART
	v_dot2_f32_f16 v61, v68, v84, v61
	;;#ASMEND
	;;#ASMSTART
	v_dot2_f32_f16 v61, v69, v85, v61
	;;#ASMEND
	ds_read_b128 v[66:69], v30 offset:16
	ds_read_b128 v[70:73], v31 offset:16
	ds_read_b128 v[74:77], v31 offset:528
	ds_read_b128 v[78:81], v31 offset:1040
	ds_read_b128 v[82:85], v31 offset:1552
	s_waitcnt lgkmcnt(3)
	;;#ASMSTART
	v_dot2_f32_f16 v64, v66, v70, v64
	;;#ASMEND
	;;#ASMSTART
	v_dot2_f32_f16 v64, v67, v71, v64
	;;#ASMEND
	;;#ASMSTART
	v_dot2_f32_f16 v64, v68, v72, v64
	;;#ASMEND
	;;#ASMSTART
	v_dot2_f32_f16 v64, v69, v73, v64
	;;#ASMEND
	s_waitcnt lgkmcnt(2)
	;;#ASMSTART
	v_dot2_f32_f16 v63, v66, v74, v63
	;;#ASMEND
	;;#ASMSTART
	v_dot2_f32_f16 v63, v67, v75, v63
	;;#ASMEND
	;;#ASMSTART
	v_dot2_f32_f16 v63, v68, v76, v63
	;;#ASMEND
	;;#ASMSTART
	v_dot2_f32_f16 v63, v69, v77, v63
	;;#ASMEND
	s_waitcnt lgkmcnt(1)
	;;#ASMSTART
	v_dot2_f32_f16 v62, v66, v78, v62
	;;#ASMEND
	;;#ASMSTART
	v_dot2_f32_f16 v62, v67, v79, v62
	;;#ASMEND
	;;#ASMSTART
	v_dot2_f32_f16 v62, v68, v80, v62
	;;#ASMEND
	;;#ASMSTART
	v_dot2_f32_f16 v62, v69, v81, v62
	;;#ASMEND
	s_waitcnt lgkmcnt(0)
	;;#ASMSTART
	v_dot2_f32_f16 v61, v66, v82, v61
	;;#ASMEND
	;;#ASMSTART
	v_dot2_f32_f16 v61, v67, v83, v61
	;;#ASMEND
	;;#ASMSTART
	v_dot2_f32_f16 v61, v68, v84, v61
	;;#ASMEND
	;;#ASMSTART
	v_dot2_f32_f16 v61, v69, v85, v61
	;;#ASMEND
	ds_read_b128 v[66:69], v30 offset:32
	ds_read_b128 v[70:73], v31 offset:32
	;; [unrolled: 57-line block ×15, first 2 shown]
	ds_read_b128 v[74:77], v31 offset:752
	ds_read_b128 v[78:81], v31 offset:1264
	ds_read_b128 v[82:85], v31 offset:1776
	s_waitcnt lgkmcnt(3)
	;;#ASMSTART
	v_dot2_f32_f16 v64, v66, v70, v64
	;;#ASMEND
	;;#ASMSTART
	v_dot2_f32_f16 v64, v67, v71, v64
	;;#ASMEND
	;;#ASMSTART
	v_dot2_f32_f16 v64, v68, v72, v64
	;;#ASMEND
	;;#ASMSTART
	v_dot2_f32_f16 v64, v69, v73, v64
	;;#ASMEND
	s_waitcnt lgkmcnt(2)
	;;#ASMSTART
	v_dot2_f32_f16 v63, v66, v74, v63
	;;#ASMEND
	;;#ASMSTART
	v_dot2_f32_f16 v63, v67, v75, v63
	;;#ASMEND
	;;#ASMSTART
	v_dot2_f32_f16 v63, v68, v76, v63
	;;#ASMEND
	;;#ASMSTART
	v_dot2_f32_f16 v63, v69, v77, v63
	;;#ASMEND
	;; [unrolled: 13-line block ×4, first 2 shown]
	s_barrier
	global_load_dwordx4 v[66:69], v[0:1], off offset:256
	global_load_dwordx4 v[70:73], v[2:3], off offset:256
	s_waitcnt vmcnt(1)
	ds_write_b128 v27, v[66:69]
	s_waitcnt vmcnt(0)
	ds_write_b128 v29, v[70:73]
	s_waitcnt lgkmcnt(0)
	s_barrier
	ds_read_b128 v[0:3], v30
	ds_read_b128 v[66:69], v31 offset:256
	ds_read_b128 v[70:73], v31 offset:768
	ds_read_b128 v[74:77], v31 offset:1280
	ds_read_b128 v[78:81], v31 offset:1792
	s_waitcnt lgkmcnt(3)
	;;#ASMSTART
	v_dot2_f32_f16 v64, v0, v66, v64
	;;#ASMEND
	;;#ASMSTART
	v_dot2_f32_f16 v64, v1, v67, v64
	;;#ASMEND
	;;#ASMSTART
	v_dot2_f32_f16 v64, v2, v68, v64
	;;#ASMEND
	;;#ASMSTART
	v_dot2_f32_f16 v64, v3, v69, v64
	;;#ASMEND
	s_waitcnt lgkmcnt(2)
	;;#ASMSTART
	v_dot2_f32_f16 v63, v0, v70, v63
	;;#ASMEND
	;;#ASMSTART
	v_dot2_f32_f16 v63, v1, v71, v63
	;;#ASMEND
	;;#ASMSTART
	v_dot2_f32_f16 v63, v2, v72, v63
	;;#ASMEND
	;;#ASMSTART
	v_dot2_f32_f16 v63, v3, v73, v63
	;;#ASMEND
	s_waitcnt lgkmcnt(1)
	;;#ASMSTART
	v_dot2_f32_f16 v62, v0, v74, v62
	;;#ASMEND
	;;#ASMSTART
	v_dot2_f32_f16 v62, v1, v75, v62
	;;#ASMEND
	;;#ASMSTART
	v_dot2_f32_f16 v62, v2, v76, v62
	;;#ASMEND
	;;#ASMSTART
	v_dot2_f32_f16 v62, v3, v77, v62
	;;#ASMEND
	s_waitcnt lgkmcnt(0)
	;;#ASMSTART
	v_dot2_f32_f16 v61, v0, v78, v61
	;;#ASMEND
	;;#ASMSTART
	v_dot2_f32_f16 v61, v1, v79, v61
	;;#ASMEND
	;;#ASMSTART
	v_dot2_f32_f16 v61, v2, v80, v61
	;;#ASMEND
	;;#ASMSTART
	v_dot2_f32_f16 v61, v3, v81, v61
	;;#ASMEND
	ds_read_b128 v[0:3], v30 offset:16
	ds_read_b128 v[66:69], v31 offset:272
	ds_read_b128 v[70:73], v31 offset:784
	ds_read_b128 v[74:77], v31 offset:1296
	ds_read_b128 v[78:81], v31 offset:1808
	s_waitcnt lgkmcnt(3)
	;;#ASMSTART
	v_dot2_f32_f16 v64, v0, v66, v64
	;;#ASMEND
	;;#ASMSTART
	v_dot2_f32_f16 v64, v1, v67, v64
	;;#ASMEND
	;;#ASMSTART
	v_dot2_f32_f16 v64, v2, v68, v64
	;;#ASMEND
	;;#ASMSTART
	v_dot2_f32_f16 v64, v3, v69, v64
	;;#ASMEND
	s_waitcnt lgkmcnt(2)
	;;#ASMSTART
	v_dot2_f32_f16 v63, v0, v70, v63
	;;#ASMEND
	;;#ASMSTART
	v_dot2_f32_f16 v63, v1, v71, v63
	;;#ASMEND
	;;#ASMSTART
	v_dot2_f32_f16 v63, v2, v72, v63
	;;#ASMEND
	;;#ASMSTART
	v_dot2_f32_f16 v63, v3, v73, v63
	;;#ASMEND
	s_waitcnt lgkmcnt(1)
	;;#ASMSTART
	v_dot2_f32_f16 v62, v0, v74, v62
	;;#ASMEND
	;;#ASMSTART
	v_dot2_f32_f16 v62, v1, v75, v62
	;;#ASMEND
	;;#ASMSTART
	v_dot2_f32_f16 v62, v2, v76, v62
	;;#ASMEND
	;;#ASMSTART
	v_dot2_f32_f16 v62, v3, v77, v62
	;;#ASMEND
	s_waitcnt lgkmcnt(0)
	;;#ASMSTART
	v_dot2_f32_f16 v61, v0, v78, v61
	;;#ASMEND
	;;#ASMSTART
	v_dot2_f32_f16 v61, v1, v79, v61
	;;#ASMEND
	;;#ASMSTART
	v_dot2_f32_f16 v61, v2, v80, v61
	;;#ASMEND
	;;#ASMSTART
	v_dot2_f32_f16 v61, v3, v81, v61
	;;#ASMEND
	ds_read_b128 v[0:3], v30 offset:32
	;; [unrolled: 57-line block ×15, first 2 shown]
	ds_read_b128 v[66:69], v31 offset:496
	ds_read_b128 v[70:73], v31 offset:1008
	;; [unrolled: 1-line block ×4, first 2 shown]
	s_waitcnt lgkmcnt(3)
	;;#ASMSTART
	v_dot2_f32_f16 v64, v0, v66, v64
	;;#ASMEND
	;;#ASMSTART
	v_dot2_f32_f16 v64, v1, v67, v64
	;;#ASMEND
	;;#ASMSTART
	v_dot2_f32_f16 v64, v2, v68, v64
	;;#ASMEND
	;;#ASMSTART
	v_dot2_f32_f16 v64, v3, v69, v64
	;;#ASMEND
	s_waitcnt lgkmcnt(2)
	;;#ASMSTART
	v_dot2_f32_f16 v63, v0, v70, v63
	;;#ASMEND
	;;#ASMSTART
	v_dot2_f32_f16 v63, v1, v71, v63
	;;#ASMEND
	;;#ASMSTART
	v_dot2_f32_f16 v63, v2, v72, v63
	;;#ASMEND
	;;#ASMSTART
	v_dot2_f32_f16 v63, v3, v73, v63
	;;#ASMEND
	;; [unrolled: 13-line block ×3, first 2 shown]
	s_waitcnt lgkmcnt(0)
	;;#ASMSTART
	v_dot2_f32_f16 v61, v0, v78, v61
	;;#ASMEND
	;;#ASMSTART
	v_dot2_f32_f16 v61, v1, v79, v61
	;;#ASMEND
	;; [unrolled: 3-line block ×3, first 2 shown]
	v_cmp_nlt_f32_e64 s[8:9], |v64|, s24
	;;#ASMSTART
	v_dot2_f32_f16 v61, v3, v81, v61
	;;#ASMEND
                                        ; implicit-def: $vgpr0
	s_and_saveexec_b64 s[36:37], s[8:9]
	s_xor_b64 s[8:9], exec, s[36:37]
	s_cbranch_execz .LBB65_11
; %bb.10:                               ;   in Loop: Header=BB65_9 Depth=1
	v_add_f32_e64 v0, |v64|, |v64|
	v_mul_f32_e32 v1, 0x3fb8aa3b, v0
	v_rndne_f32_e32 v2, v1
	v_sub_f32_e32 v3, v1, v2
	v_fma_f32 v1, v0, s25, -v1
	v_fmac_f32_e32 v1, 0x32a5705f, v0
	v_add_f32_e32 v1, v3, v1
	v_cvt_i32_f32_e32 v2, v2
	v_exp_f32_e32 v1, v1
	v_cmp_ngt_f32_e32 vcc, s26, v0
	v_ldexp_f32 v1, v1, v2
	v_cndmask_b32_e32 v1, 0, v1, vcc
	v_cmp_nlt_f32_e32 vcc, s27, v0
	v_cndmask_b32_e32 v0, v44, v1, vcc
	v_add_f32_e32 v0, 1.0, v0
	v_rcp_f32_e32 v0, v0
	v_fma_f32 v0, v0, -2.0, 1.0
.LBB65_11:                              ;   in Loop: Header=BB65_9 Depth=1
	s_andn2_saveexec_b64 s[8:9], s[8:9]
; %bb.12:                               ;   in Loop: Header=BB65_9 Depth=1
	v_mul_f32_e32 v0, v64, v64
	v_mov_b32_e32 v1, 0x3ca908c9
	v_fmac_f32_e32 v1, 0xbbbac73d, v0
	v_fma_f32 v1, v0, v1, v41
	v_fma_f32 v1, v0, v1, v42
	;; [unrolled: 1-line block ×3, first 2 shown]
	v_mul_f32_e64 v1, |v64|, v1
	v_fma_f32 v0, v0, v1, |v64|
; %bb.13:                               ;   in Loop: Header=BB65_9 Depth=1
	s_or_b64 exec, exec, s[8:9]
	v_add_u32_e32 v75, s6, v22
	v_add_u32_e32 v2, v75, v32
	v_ashrrev_i32_e32 v3, 31, v2
	v_lshlrev_b64 v[2:3], 1, v[2:3]
	v_mov_b32_e32 v1, s35
	v_add_co_u32_e32 v2, vcc, s34, v2
	v_addc_co_u32_e32 v3, vcc, v1, v3, vcc
	flat_load_ushort v74, v[2:3]
	v_and_b32_e32 v1, 0x60, v25
	v_xor_b32_e32 v67, 16, v25
	v_bfi_b32 v0, s29, v0, v64
	v_add_u32_e32 v64, 32, v1
	v_cmp_lt_i32_e32 vcc, v67, v64
	v_cndmask_b32_e32 v1, v25, v67, vcc
	v_lshlrev_b32_e32 v71, 2, v1
	v_max_f32_e32 v1, v57, v57
	v_xor_b32_e32 v68, 8, v25
	v_cmp_lt_i32_e32 vcc, v68, v64
	v_cndmask_b32_e32 v2, v25, v68, vcc
	v_lshlrev_b32_e32 v2, 2, v2
	v_xor_b32_e32 v69, 4, v25
	v_cmp_lt_i32_e32 vcc, v69, v64
	v_xor_b32_e32 v66, 2, v25
	v_cmp_nlt_f32_e64 s[8:9], |v63|, s24
                                        ; implicit-def: $vgpr76
	s_waitcnt vmcnt(0) lgkmcnt(0)
	v_fma_mix_f32 v3, v0, s15, v74 op_sel_hi:[0,0,1]
	v_add_f32_e32 v0, 0x40051340, v3
	v_max_f32_e32 v0, v1, v0
	ds_bpermute_b32 v1, v71, v0
	s_waitcnt lgkmcnt(0)
	v_max_f32_e32 v1, v1, v1
	v_max_f32_e32 v1, v0, v1
	ds_bpermute_b32 v65, v2, v1
	v_cndmask_b32_e32 v0, v25, v69, vcc
	v_lshlrev_b32_e32 v0, 2, v0
	v_cmp_lt_i32_e32 vcc, v66, v64
	s_waitcnt lgkmcnt(0)
	v_max_f32_e32 v65, v65, v65
	v_max_f32_e32 v65, v1, v65
	ds_bpermute_b32 v70, v0, v65
	v_cndmask_b32_e32 v1, v25, v66, vcc
	v_lshlrev_b32_e32 v1, 2, v1
	s_waitcnt lgkmcnt(0)
	v_max_f32_e32 v70, v70, v70
	v_max_f32_e32 v72, v65, v70
	ds_bpermute_b32 v73, v1, v72
	v_xor_b32_e32 v65, 1, v25
	v_cmp_lt_i32_e32 vcc, v65, v64
	v_cndmask_b32_e32 v70, v25, v65, vcc
	v_lshlrev_b32_e32 v70, 2, v70
	s_waitcnt lgkmcnt(0)
	v_max_f32_e32 v73, v73, v73
	v_max_f32_e32 v72, v72, v73
	ds_bpermute_b32 v73, v70, v72
	s_and_saveexec_b64 s[36:37], s[8:9]
	s_xor_b64 s[8:9], exec, s[36:37]
	s_cbranch_execz .LBB65_15
; %bb.14:                               ;   in Loop: Header=BB65_9 Depth=1
	v_add_f32_e64 v76, |v63|, |v63|
	v_mul_f32_e32 v77, 0x3fb8aa3b, v76
	v_rndne_f32_e32 v78, v77
	v_sub_f32_e32 v79, v77, v78
	v_fma_f32 v77, v76, s25, -v77
	v_fmac_f32_e32 v77, 0x32a5705f, v76
	v_add_f32_e32 v77, v79, v77
	v_cvt_i32_f32_e32 v78, v78
	v_exp_f32_e32 v77, v77
	v_cmp_ngt_f32_e32 vcc, s26, v76
	v_ldexp_f32 v77, v77, v78
	v_cndmask_b32_e32 v77, 0, v77, vcc
	v_cmp_nlt_f32_e32 vcc, s27, v76
	v_cndmask_b32_e32 v76, v44, v77, vcc
	v_add_f32_e32 v76, 1.0, v76
	v_rcp_f32_e32 v76, v76
	v_fma_f32 v76, v76, -2.0, 1.0
.LBB65_15:                              ;   in Loop: Header=BB65_9 Depth=1
	s_andn2_saveexec_b64 s[8:9], s[8:9]
; %bb.16:                               ;   in Loop: Header=BB65_9 Depth=1
	v_mul_f32_e32 v76, v63, v63
	v_mov_b32_e32 v77, 0x3ca908c9
	v_fmac_f32_e32 v77, 0xbbbac73d, v76
	v_fma_f32 v77, v76, v77, v41
	v_fma_f32 v77, v76, v77, v42
	;; [unrolled: 1-line block ×3, first 2 shown]
	v_mul_f32_e64 v77, |v63|, v77
	v_fma_f32 v76, v76, v77, |v63|
; %bb.17:                               ;   in Loop: Header=BB65_9 Depth=1
	s_or_b64 exec, exec, s[8:9]
	v_cvt_f32_f16_e32 v74, v74
	v_bfi_b32 v63, s29, v76, v63
	v_max_f32_e32 v76, v58, v58
	v_cmp_nlt_f32_e64 s[8:9], |v62|, s24
	v_fmac_f32_e32 v74, s15, v63
	v_add_f32_e32 v63, 0x40051340, v74
	v_max_f32_e32 v63, v76, v63
	ds_bpermute_b32 v76, v71, v63
                                        ; implicit-def: $vgpr77
	s_waitcnt lgkmcnt(0)
	v_max_f32_e32 v76, v76, v76
	v_max_f32_e32 v63, v63, v76
	ds_bpermute_b32 v76, v2, v63
	s_waitcnt lgkmcnt(0)
	v_max_f32_e32 v76, v76, v76
	v_max_f32_e32 v63, v63, v76
	ds_bpermute_b32 v76, v0, v63
	;; [unrolled: 4-line block ×4, first 2 shown]
	s_and_saveexec_b64 s[36:37], s[8:9]
	s_xor_b64 s[8:9], exec, s[36:37]
	s_cbranch_execz .LBB65_19
; %bb.18:                               ;   in Loop: Header=BB65_9 Depth=1
	v_add_f32_e64 v77, |v62|, |v62|
	v_mul_f32_e32 v78, 0x3fb8aa3b, v77
	v_rndne_f32_e32 v79, v78
	v_sub_f32_e32 v80, v78, v79
	v_fma_f32 v78, v77, s25, -v78
	v_fmac_f32_e32 v78, 0x32a5705f, v77
	v_add_f32_e32 v78, v80, v78
	v_cvt_i32_f32_e32 v79, v79
	v_exp_f32_e32 v78, v78
	v_cmp_ngt_f32_e32 vcc, s26, v77
	v_ldexp_f32 v78, v78, v79
	v_cndmask_b32_e32 v78, 0, v78, vcc
	v_cmp_nlt_f32_e32 vcc, s27, v77
	v_cndmask_b32_e32 v77, v44, v78, vcc
	v_add_f32_e32 v77, 1.0, v77
	v_rcp_f32_e32 v77, v77
	v_fma_f32 v77, v77, -2.0, 1.0
.LBB65_19:                              ;   in Loop: Header=BB65_9 Depth=1
	s_andn2_saveexec_b64 s[8:9], s[8:9]
; %bb.20:                               ;   in Loop: Header=BB65_9 Depth=1
	v_mul_f32_e32 v77, v62, v62
	v_mov_b32_e32 v78, 0x3ca908c9
	v_fmac_f32_e32 v78, 0xbbbac73d, v77
	v_fma_f32 v78, v77, v78, v41
	v_fma_f32 v78, v77, v78, v42
	;; [unrolled: 1-line block ×3, first 2 shown]
	v_mul_f32_e64 v78, |v62|, v78
	v_fma_f32 v77, v77, v78, |v62|
; %bb.21:                               ;   in Loop: Header=BB65_9 Depth=1
	s_or_b64 exec, exec, s[8:9]
	v_add_u32_e32 v78, v75, v34
	v_ashrrev_i32_e32 v79, 31, v78
	v_lshlrev_b64 v[78:79], 1, v[78:79]
	v_mov_b32_e32 v75, s35
	v_add_co_u32_e32 v78, vcc, s34, v78
	v_addc_co_u32_e32 v79, vcc, v75, v79, vcc
	flat_load_ushort v78, v[78:79]
	v_bfi_b32 v62, s29, v77, v62
	v_max_f32_e32 v77, v59, v59
	v_cmp_nlt_f32_e64 s[8:9], |v61|, s24
                                        ; implicit-def: $vgpr79
	s_waitcnt vmcnt(0) lgkmcnt(0)
	v_fma_mix_f32 v62, v62, s15, v78 op_sel_hi:[0,0,1]
	v_add_f32_e32 v75, 0x40051340, v62
	v_max_f32_e32 v75, v77, v75
	ds_bpermute_b32 v77, v71, v75
	s_waitcnt lgkmcnt(0)
	v_max_f32_e32 v77, v77, v77
	v_max_f32_e32 v75, v75, v77
	ds_bpermute_b32 v77, v2, v75
	s_waitcnt lgkmcnt(0)
	v_max_f32_e32 v77, v77, v77
	;; [unrolled: 4-line block ×4, first 2 shown]
	v_max_f32_e32 v75, v75, v77
	ds_bpermute_b32 v77, v70, v75
	s_and_saveexec_b64 s[36:37], s[8:9]
	s_xor_b64 s[8:9], exec, s[36:37]
	s_cbranch_execz .LBB65_23
; %bb.22:                               ;   in Loop: Header=BB65_9 Depth=1
	v_add_f32_e64 v79, |v61|, |v61|
	v_mul_f32_e32 v80, 0x3fb8aa3b, v79
	v_rndne_f32_e32 v81, v80
	v_sub_f32_e32 v82, v80, v81
	v_fma_f32 v80, v79, s25, -v80
	v_fmac_f32_e32 v80, 0x32a5705f, v79
	v_add_f32_e32 v80, v82, v80
	v_cvt_i32_f32_e32 v81, v81
	v_exp_f32_e32 v80, v80
	v_cmp_ngt_f32_e32 vcc, s26, v79
	v_ldexp_f32 v80, v80, v81
	v_cndmask_b32_e32 v80, 0, v80, vcc
	v_cmp_nlt_f32_e32 vcc, s27, v79
	v_cndmask_b32_e32 v79, v44, v80, vcc
	v_add_f32_e32 v79, 1.0, v79
	v_rcp_f32_e32 v79, v79
	v_fma_f32 v79, v79, -2.0, 1.0
.LBB65_23:                              ;   in Loop: Header=BB65_9 Depth=1
	s_andn2_saveexec_b64 s[8:9], s[8:9]
; %bb.24:                               ;   in Loop: Header=BB65_9 Depth=1
	v_mul_f32_e32 v79, v61, v61
	v_mov_b32_e32 v80, 0x3ca908c9
	v_fmac_f32_e32 v80, 0xbbbac73d, v79
	v_fma_f32 v80, v79, v80, v41
	v_fma_f32 v80, v79, v80, v42
	;; [unrolled: 1-line block ×3, first 2 shown]
	v_mul_f32_e64 v80, |v61|, v80
	v_fma_f32 v79, v79, v80, |v61|
; %bb.25:                               ;   in Loop: Header=BB65_9 Depth=1
	s_or_b64 exec, exec, s[8:9]
	v_cvt_f32_f16_e32 v78, v78
	v_bfi_b32 v61, s29, v79, v61
	v_max_f32_e32 v79, v60, v60
	v_max_f32_e32 v72, v72, v72
	v_fmac_f32_e32 v78, s15, v61
	v_add_f32_e32 v61, 0x40051340, v78
	v_max_f32_e32 v61, v79, v61
	ds_bpermute_b32 v71, v71, v61
	v_max_f32_e32 v63, v63, v63
	v_max_f32_e32 v75, v75, v75
	s_mul_hi_i32 s9, s6, s18
	s_mul_i32 s8, s6, s18
	s_waitcnt lgkmcnt(0)
	v_max_f32_e32 v71, v71, v71
	v_max_f32_e32 v61, v61, v71
	ds_bpermute_b32 v2, v2, v61
	v_max_f32_e32 v71, v73, v73
	v_max_f32_e32 v73, v76, v76
	;; [unrolled: 1-line block ×3, first 2 shown]
	s_lshl_b64 s[8:9], s[8:9], 2
	s_waitcnt lgkmcnt(0)
	v_max_f32_e32 v2, v2, v2
	v_max_f32_e32 v2, v61, v2
	ds_bpermute_b32 v61, v0, v2
	v_max_f32_e32 v0, v72, v71
	s_add_u32 s8, s12, s8
	s_addc_u32 s9, s13, s9
	s_waitcnt lgkmcnt(0)
	v_max_f32_e32 v61, v61, v61
	v_max_f32_e32 v61, v2, v61
	ds_bpermute_b32 v71, v1, v61
	v_max_f32_e32 v1, v63, v73
	v_max_f32_e32 v2, v75, v76
	v_sub_f32_e32 v72, v74, v1
	v_sub_f32_e32 v62, v62, v2
	s_waitcnt lgkmcnt(0)
	v_max_f32_e32 v63, v71, v71
	v_max_f32_e32 v61, v61, v63
	ds_bpermute_b32 v63, v70, v61
	v_sub_f32_e32 v70, v3, v0
	v_mul_f32_e32 v71, 0x3fb8aa3b, v70
	v_fma_f32 v73, v70, s25, -v71
	v_rndne_f32_e32 v74, v71
	s_waitcnt lgkmcnt(0)
	v_max_f32_e32 v3, v63, v63
	v_max_f32_e32 v3, v61, v3
	v_sub_f32_e32 v61, v78, v3
	v_mul_f32_e32 v63, 0x3fb8aa3b, v61
	v_fma_f32 v75, v61, s25, -v63
	v_rndne_f32_e32 v76, v63
	v_fmac_f32_e32 v75, 0x32a5705f, v61
	v_sub_f32_e32 v63, v63, v76
	v_add_f32_e32 v63, v63, v75
	v_fmac_f32_e32 v73, 0x32a5705f, v70
	v_sub_f32_e32 v71, v71, v74
	v_cvt_i32_f32_e32 v76, v76
	v_exp_f32_e32 v63, v63
	v_add_f32_e32 v71, v71, v73
	v_exp_f32_e32 v71, v71
	v_cvt_i32_f32_e32 v73, v74
	v_ldexp_f32 v63, v63, v76
	v_cmp_ngt_f32_e32 vcc, s26, v61
	v_cndmask_b32_e32 v63, 0, v63, vcc
	v_cmp_nlt_f32_e32 vcc, s27, v61
	v_ldexp_f32 v61, v71, v73
	v_mul_f32_e32 v71, 0x3fb8aa3b, v72
	v_fma_f32 v73, v72, s25, -v71
	v_rndne_f32_e32 v74, v71
	v_fmac_f32_e32 v73, 0x32a5705f, v72
	v_sub_f32_e32 v71, v71, v74
	v_add_f32_e32 v71, v71, v73
	v_exp_f32_e32 v71, v71
	v_cvt_i32_f32_e32 v73, v74
	v_cndmask_b32_e32 v63, v44, v63, vcc
	v_cmp_ngt_f32_e32 vcc, s26, v70
	v_cndmask_b32_e32 v61, 0, v61, vcc
	v_cmp_nlt_f32_e32 vcc, s27, v70
	v_mul_f32_e32 v70, 0x3fb8aa3b, v62
	v_cndmask_b32_e32 v74, v44, v61, vcc
	v_ldexp_f32 v61, v71, v73
	v_fma_f32 v71, v62, s25, -v70
	v_rndne_f32_e32 v73, v70
	v_fmac_f32_e32 v71, 0x32a5705f, v62
	v_sub_f32_e32 v70, v70, v73
	v_add_f32_e32 v70, v70, v71
	v_exp_f32_e32 v70, v70
	v_cvt_i32_f32_e32 v71, v73
	v_cmp_ngt_f32_e32 vcc, s26, v72
	v_cndmask_b32_e32 v61, 0, v61, vcc
	v_cmp_nlt_f32_e32 vcc, s27, v72
	v_cndmask_b32_e32 v75, v44, v61, vcc
	v_ldexp_f32 v61, v70, v71
	v_cmp_ngt_f32_e32 vcc, s26, v62
	v_cndmask_b32_e32 v61, 0, v61, vcc
	v_cmp_nlt_f32_e32 vcc, s27, v62
	v_cndmask_b32_e32 v62, v44, v61, vcc
	v_sub_f32_e32 v81, v59, v2
	v_sub_f32_e32 v82, v58, v1
	v_mov_b32_e32 v58, s9
	v_add_co_u32_e32 v59, vcc, s8, v12
	v_addc_co_u32_e32 v58, vcc, v58, v13, vcc
	v_add_co_u32_e32 v76, vcc, v59, v37
	v_addc_co_u32_e32 v77, vcc, 0, v58, vcc
	v_mov_b32_e32 v58, s9
	v_add_co_u32_e32 v59, vcc, s8, v14
	v_addc_co_u32_e32 v58, vcc, v58, v15, vcc
	v_add_co_u32_e32 v78, vcc, v59, v37
	s_barrier
	v_sub_f32_e32 v80, v60, v3
	v_addc_co_u32_e32 v79, vcc, 0, v58, vcc
	global_load_dwordx4 v[58:61], v[76:77], off
	global_load_dwordx4 v[70:73], v[78:79], off
	v_mul_f32_e32 v76, 0x3fb8aa3b, v82
	v_fma_f32 v77, v82, s25, -v76
	v_rndne_f32_e32 v78, v76
	v_sub_f32_e32 v57, v57, v0
	v_fmac_f32_e32 v77, 0x32a5705f, v82
	v_sub_f32_e32 v76, v76, v78
	v_add_f32_e32 v76, v76, v77
	v_cvt_i32_f32_e32 v77, v78
	v_mul_f32_e32 v78, 0x3fb8aa3b, v57
	v_fma_f32 v79, v57, s25, -v78
	v_rndne_f32_e32 v83, v78
	v_fmac_f32_e32 v79, 0x32a5705f, v57
	v_sub_f32_e32 v78, v78, v83
	v_exp_f32_e32 v76, v76
	v_add_f32_e32 v78, v78, v79
	v_exp_f32_e32 v78, v78
	v_cvt_i32_f32_e32 v79, v83
	v_ldexp_f32 v76, v76, v77
	v_cmp_ngt_f32_e32 vcc, s26, v82
	v_cndmask_b32_e32 v77, 0, v76, vcc
	v_ldexp_f32 v76, v78, v79
	v_cmp_ngt_f32_e32 vcc, s26, v57
	v_cndmask_b32_e32 v76, 0, v76, vcc
	v_cmp_nlt_f32_e32 vcc, s27, v57
	v_cndmask_b32_e32 v76, v44, v76, vcc
	v_cvt_f16_f32_e32 v83, v76
	v_cmp_nlt_f32_e32 vcc, s27, v82
	v_cndmask_b32_e32 v77, v44, v77, vcc
	v_cvt_f16_f32_e32 v82, v77
	v_pk_mul_f16 v84, v83, v56 op_sel_hi:[0,1]
	v_mul_f32_e32 v56, 0x3fb8aa3b, v80
	v_fma_f32 v57, v80, s25, -v56
	v_rndne_f32_e32 v78, v56
	v_fmac_f32_e32 v57, 0x32a5705f, v80
	v_sub_f32_e32 v56, v56, v78
	v_add_f32_e32 v56, v56, v57
	v_cvt_i32_f32_e32 v57, v78
	v_mul_f32_e32 v78, 0x3fb8aa3b, v81
	v_fma_f32 v79, v81, s25, -v78
	v_rndne_f32_e32 v89, v78
	v_fmac_f32_e32 v79, 0x32a5705f, v81
	v_sub_f32_e32 v78, v78, v89
	v_add_f32_e32 v78, v78, v79
	v_pk_mul_f16 v85, v83, v54 op_sel_hi:[0,1]
	v_pk_mul_f16 v86, v83, v55 op_sel_hi:[0,1]
	;; [unrolled: 1-line block ×4, first 2 shown]
	v_cvt_f16_f32_e32 v50, v63
	v_cvt_f16_f32_e32 v51, v62
	;; [unrolled: 1-line block ×4, first 2 shown]
	v_exp_f32_e32 v78, v78
	v_cvt_i32_f32_e32 v79, v89
	v_exp_f32_e32 v56, v56
	v_pack_b32_f16 v51, v51, v50
	v_pack_b32_f16 v50, v55, v54
	v_ldexp_f32 v54, v78, v79
	v_cmp_ngt_f32_e32 vcc, s26, v81
	v_cndmask_b32_e32 v54, 0, v54, vcc
	v_cmp_nlt_f32_e32 vcc, s27, v81
	v_ldexp_f32 v55, v56, v57
	v_cndmask_b32_e32 v54, v44, v54, vcc
	v_cmp_ngt_f32_e32 vcc, s26, v80
	v_cndmask_b32_e32 v55, 0, v55, vcc
	v_cmp_nlt_f32_e32 vcc, s27, v80
	v_cndmask_b32_e32 v55, v44, v55, vcc
	v_cvt_f16_f32_e32 v89, v54
	v_cvt_f16_f32_e32 v78, v55
	v_pk_fma_f32 v[4:5], v[4:5], v[54:55], v[62:63]
	v_pk_mul_f16 v52, v82, v52 op_sel_hi:[0,1]
	v_pk_mul_f16 v90, v89, v47 op_sel_hi:[0,1]
	;; [unrolled: 1-line block ×3, first 2 shown]
	v_add_u32_e32 v33, v36, v24
	ds_write_b64 v33, v[50:51]
	s_waitcnt vmcnt(1)
	ds_write_b128 v38, v[58:61]
	s_waitcnt vmcnt(0)
	ds_write_b128 v39, v[70:73]
	v_add_u32_e32 v33, 0x4000, v24
	s_waitcnt lgkmcnt(0)
	s_barrier
	ds_read2_b64 v[54:57], v33 offset1:32
	ds_read_b128 v[58:61], v36
	v_pk_mul_f16 v48, v89, v48 op_sel_hi:[0,1]
	v_pk_mul_f16 v46, v89, v46 op_sel_hi:[0,1]
	;; [unrolled: 1-line block ×3, first 2 shown]
	v_pk_fma_f32 v[6:7], v[6:7], v[76:77], v[74:75]
	s_waitcnt lgkmcnt(0)
	v_pk_mul_f16 v51, v54, v58 op_sel:[0,1]
	v_pk_mul_f16 v50, v54, v58 op_sel_hi:[1,0]
	v_pk_fma_f16 v51, v82, v49, v51 op_sel_hi:[0,1,1]
	v_pk_mul_f16 v49, v54, v59 op_sel_hi:[1,0]
	v_pk_mul_f16 v28, v78, v28 op_sel_hi:[0,1]
	;; [unrolled: 1-line block ×3, first 2 shown]
	ds_read_b128 v[70:73], v36 offset:16
	ds_read_b128 v[74:77], v36 offset:32
	;; [unrolled: 1-line block ×3, first 2 shown]
	v_pk_fma_f16 v50, v83, v53, v50 op_sel_hi:[0,1,1]
	v_pk_fma_f16 v45, v89, v45, v49 op_sel_hi:[0,1,1]
	v_pk_fma_f16 v35, v54, v59, v35 op_sel:[0,1,0]
	v_pk_fma_f16 v53, v55, v58, v84 op_sel_hi:[1,0,1]
	v_pk_fma_f16 v52, v55, v58, v52 op_sel:[0,1,0]
	;; [unrolled: 2-line block ×3, first 2 shown]
	v_pk_fma_f16 v82, v56, v59, v46 op_sel_hi:[1,0,1]
	ds_read2_b64 v[46:49], v33 offset0:64 offset1:96
	v_pk_fma_f16 v62, v56, v58, v85 op_sel_hi:[1,0,1]
	v_pk_fma_f16 v63, v56, v58, v87 op_sel:[0,1,0]
	v_pk_fma_f16 v28, v56, v59, v28 op_sel:[0,1,0]
	v_pk_fma_f16 v56, v57, v58, v86 op_sel_hi:[1,0,1]
	v_pk_fma_f16 v58, v57, v58, v88 op_sel:[0,1,0]
	v_pk_fma_f16 v83, v57, v59, v90 op_sel_hi:[1,0,1]
	v_pk_fma_f16 v26, v57, v59, v26 op_sel:[0,1,0]
	s_waitcnt lgkmcnt(0)
	v_pk_fma_f16 v57, v46, v60, v50 op_sel_hi:[1,0,1]
	v_pk_fma_f16 v59, v46, v60, v51 op_sel:[0,1,0]
	v_pk_fma_f16 v45, v46, v61, v45 op_sel_hi:[1,0,1]
	v_pk_fma_f16 v35, v46, v61, v35 op_sel:[0,1,0]
	;; [unrolled: 2-line block ×3, first 2 shown]
	ds_read2_b64 v[50:53], v33 offset0:128 offset1:160
	v_pk_fma_f16 v54, v47, v61, v54 op_sel_hi:[1,0,1]
	v_pk_fma_f16 v47, v47, v61, v55 op_sel:[0,1,0]
	v_pk_fma_f16 v55, v48, v60, v62 op_sel_hi:[1,0,1]
	v_pk_fma_f16 v62, v48, v60, v63 op_sel:[0,1,0]
	;; [unrolled: 2-line block ×5, first 2 shown]
	s_waitcnt lgkmcnt(0)
	v_pk_fma_f16 v57, v50, v70, v57 op_sel_hi:[1,0,1]
	v_pk_fma_f16 v59, v50, v70, v59 op_sel:[0,1,0]
	v_pk_fma_f16 v45, v50, v71, v45 op_sel_hi:[1,0,1]
	v_pk_fma_f16 v35, v50, v71, v35 op_sel:[0,1,0]
	;; [unrolled: 2-line block ×4, first 2 shown]
	ds_read2_b64 v[46:49], v33 offset0:192 offset1:224
	v_pk_fma_f16 v55, v52, v70, v55 op_sel_hi:[1,0,1]
	v_pk_fma_f16 v62, v52, v70, v62 op_sel:[0,1,0]
	v_pk_fma_f16 v63, v52, v71, v63 op_sel_hi:[1,0,1]
	v_pk_fma_f16 v28, v52, v71, v28 op_sel:[0,1,0]
	s_waitcnt lgkmcnt(0)
	v_pk_fma_f16 v57, v46, v72, v57 op_sel_hi:[1,0,1]
	v_pk_fma_f16 v59, v46, v72, v59 op_sel:[0,1,0]
	v_pk_fma_f16 v45, v46, v73, v45 op_sel_hi:[1,0,1]
	v_pk_fma_f16 v46, v46, v73, v35 op_sel:[0,1,0]
	v_add_u32_e32 v35, 0x4800, v24
	v_pk_fma_f16 v56, v53, v70, v56 op_sel_hi:[1,0,1]
	v_pk_fma_f16 v58, v53, v70, v58 op_sel:[0,1,0]
	v_pk_fma_f16 v60, v53, v71, v60 op_sel_hi:[1,0,1]
	v_pk_fma_f16 v26, v53, v71, v26 op_sel:[0,1,0]
	;; [unrolled: 2-line block ×4, first 2 shown]
	ds_read2_b64 v[50:53], v35 offset1:32
	v_pk_fma_f16 v55, v48, v72, v55 op_sel_hi:[1,0,1]
	v_pk_fma_f16 v62, v48, v72, v62 op_sel:[0,1,0]
	v_pk_fma_f16 v63, v48, v73, v63 op_sel_hi:[1,0,1]
	v_pk_fma_f16 v28, v48, v73, v28 op_sel:[0,1,0]
	v_pk_fma_f16 v56, v49, v72, v56 op_sel_hi:[1,0,1]
	v_pk_fma_f16 v58, v49, v72, v58 op_sel:[0,1,0]
	v_pk_fma_f16 v60, v49, v73, v60 op_sel_hi:[1,0,1]
	v_pk_fma_f16 v26, v49, v73, v26 op_sel:[0,1,0]
	s_waitcnt lgkmcnt(0)
	v_pk_fma_f16 v57, v50, v74, v57 op_sel_hi:[1,0,1]
	v_pk_fma_f16 v59, v50, v74, v59 op_sel:[0,1,0]
	v_pk_fma_f16 v45, v50, v75, v45 op_sel_hi:[1,0,1]
	v_pk_fma_f16 v50, v50, v75, v46 op_sel:[0,1,0]
	v_pk_fma_f16 v70, v51, v74, v70 op_sel_hi:[1,0,1]
	v_pk_fma_f16 v61, v51, v74, v61 op_sel:[0,1,0]
	v_pk_fma_f16 v54, v51, v75, v54 op_sel_hi:[1,0,1]
	v_pk_fma_f16 v51, v51, v75, v47 op_sel:[0,1,0]
	ds_read2_b64 v[46:49], v35 offset0:64 offset1:96
	v_pk_fma_f16 v55, v52, v74, v55 op_sel_hi:[1,0,1]
	v_pk_fma_f16 v62, v52, v74, v62 op_sel:[0,1,0]
	v_pk_fma_f16 v63, v52, v75, v63 op_sel_hi:[1,0,1]
	v_pk_fma_f16 v28, v52, v75, v28 op_sel:[0,1,0]
	v_pk_fma_f16 v56, v53, v74, v56 op_sel_hi:[1,0,1]
	v_pk_fma_f16 v58, v53, v74, v58 op_sel:[0,1,0]
	v_pk_fma_f16 v60, v53, v75, v60 op_sel_hi:[1,0,1]
	v_pk_fma_f16 v26, v53, v75, v26 op_sel:[0,1,0]
	s_waitcnt lgkmcnt(0)
	v_pk_fma_f16 v57, v46, v76, v57 op_sel_hi:[1,0,1]
	v_pk_fma_f16 v59, v46, v76, v59 op_sel:[0,1,0]
	v_pk_fma_f16 v45, v46, v77, v45 op_sel_hi:[1,0,1]
	v_pk_fma_f16 v46, v46, v77, v50 op_sel:[0,1,0]
	v_pk_fma_f16 v70, v47, v76, v70 op_sel_hi:[1,0,1]
	v_pk_fma_f16 v61, v47, v76, v61 op_sel:[0,1,0]
	v_pk_fma_f16 v54, v47, v77, v54 op_sel_hi:[1,0,1]
	v_pk_fma_f16 v47, v47, v77, v51 op_sel:[0,1,0]
	ds_read2_b64 v[50:53], v35 offset0:128 offset1:160
	;; [unrolled: 18-line block ×3, first 2 shown]
	v_pk_fma_f16 v55, v52, v78, v55 op_sel_hi:[1,0,1]
	v_pk_fma_f16 v62, v52, v78, v62 op_sel:[0,1,0]
	v_pk_fma_f16 v63, v52, v79, v63 op_sel_hi:[1,0,1]
	v_pk_fma_f16 v28, v52, v79, v28 op_sel:[0,1,0]
	;; [unrolled: 2-line block ×3, first 2 shown]
	v_add_u32_e32 v26, 0x5000, v24
	v_pk_fma_f16 v58, v53, v78, v58 op_sel:[0,1,0]
	v_pk_fma_f16 v60, v53, v79, v60 op_sel_hi:[1,0,1]
	s_waitcnt lgkmcnt(0)
	v_pk_fma_f16 v72, v46, v80, v57 op_sel_hi:[1,0,1]
	v_pk_fma_f16 v73, v46, v81, v50 op_sel:[0,1,0]
	v_pk_fma_f16 v74, v47, v81, v54 op_sel_hi:[1,0,1]
	v_pk_fma_f16 v75, v47, v81, v51 op_sel:[0,1,0]
	v_pk_fma_f16 v76, v48, v80, v55 op_sel_hi:[1,0,1]
	v_pk_fma_f16 v77, v49, v80, v52 op_sel_hi:[1,0,1]
	ds_read2_b64 v[50:53], v26 offset1:32
	ds_read_b128 v[54:57], v36 offset:64
	v_pk_fma_f16 v59, v46, v80, v59 op_sel:[0,1,0]
	v_pk_fma_f16 v45, v46, v81, v45 op_sel_hi:[1,0,1]
	v_pk_fma_f16 v61, v47, v80, v61 op_sel:[0,1,0]
	v_pk_fma_f16 v70, v47, v80, v70 op_sel_hi:[1,0,1]
	v_pk_fma_f16 v62, v48, v80, v62 op_sel:[0,1,0]
	v_pk_fma_f16 v78, v49, v80, v58 op_sel:[0,1,0]
	v_pk_fma_f16 v79, v49, v81, v60 op_sel_hi:[1,0,1]
	s_waitcnt lgkmcnt(0)
	v_pk_fma_f16 v72, v50, v54, v72 op_sel_hi:[1,0,1]
	v_pk_fma_f16 v80, v50, v54, v59 op_sel:[0,1,0]
	v_pk_fma_f16 v45, v50, v55, v45 op_sel_hi:[1,0,1]
	v_pk_fma_f16 v50, v50, v55, v73 op_sel:[0,1,0]
	v_pk_fma_f16 v73, v51, v54, v61 op_sel:[0,1,0]
	ds_read2_b64 v[58:61], v26 offset0:64 offset1:96
	v_pk_fma_f16 v63, v48, v81, v63 op_sel_hi:[1,0,1]
	v_pk_fma_f16 v28, v48, v81, v28 op_sel:[0,1,0]
	v_pk_fma_f16 v71, v49, v81, v71 op_sel:[0,1,0]
	v_pk_fma_f16 v70, v51, v54, v70 op_sel_hi:[1,0,1]
	v_pk_fma_f16 v74, v51, v55, v74 op_sel_hi:[1,0,1]
	v_pk_fma_f16 v51, v51, v55, v75 op_sel:[0,1,0]
	ds_read_b128 v[46:49], v36 offset:80
	v_pk_fma_f16 v75, v52, v54, v76 op_sel_hi:[1,0,1]
	v_pk_fma_f16 v62, v52, v54, v62 op_sel:[0,1,0]
	v_pk_fma_f16 v63, v52, v55, v63 op_sel_hi:[1,0,1]
	v_pk_fma_f16 v28, v52, v55, v28 op_sel:[0,1,0]
	;; [unrolled: 2-line block ×4, first 2 shown]
	s_waitcnt lgkmcnt(1)
	v_pk_fma_f16 v71, v58, v56, v72 op_sel_hi:[1,0,1]
	v_pk_fma_f16 v72, v58, v56, v80 op_sel:[0,1,0]
	v_pk_fma_f16 v45, v58, v57, v45 op_sel_hi:[1,0,1]
	v_pk_fma_f16 v58, v58, v57, v50 op_sel:[0,1,0]
	;; [unrolled: 2-line block ×4, first 2 shown]
	ds_read2_b64 v[50:53], v26 offset0:128 offset1:160
	s_or_b32 s8, s6, 16
	s_mul_hi_i32 s9, s8, s18
	s_mul_i32 s8, s8, s18
	s_lshl_b64 s[8:9], s[8:9], 2
	s_add_u32 s8, s12, s8
	v_pk_fma_f16 v75, v60, v56, v75 op_sel_hi:[1,0,1]
	v_pk_fma_f16 v62, v60, v56, v62 op_sel:[0,1,0]
	v_pk_fma_f16 v63, v60, v57, v63 op_sel_hi:[1,0,1]
	v_pk_fma_f16 v28, v60, v57, v28 op_sel:[0,1,0]
	;; [unrolled: 2-line block ×4, first 2 shown]
	s_addc_u32 s9, s13, s9
	s_waitcnt lgkmcnt(0)
	v_pk_fma_f16 v71, v50, v46, v71 op_sel_hi:[1,0,1]
	v_pk_fma_f16 v94, v50, v46, v72 op_sel:[0,1,0]
	v_pk_fma_f16 v45, v50, v47, v45 op_sel_hi:[1,0,1]
	v_pk_fma_f16 v95, v50, v47, v58 op_sel:[0,1,0]
	;; [unrolled: 2-line block ×8, first 2 shown]
	v_mov_b32_e32 v46, s9
	v_add_co_u32_e32 v47, vcc, s8, v12
	v_addc_co_u32_e32 v62, vcc, v46, v13, vcc
	ds_read2_b64 v[54:57], v26 offset0:192 offset1:224
	v_add_co_u32_e32 v46, vcc, v47, v37
	v_addc_co_u32_e32 v47, vcc, 0, v62, vcc
	v_mov_b32_e32 v62, s9
	v_add_co_u32_e32 v63, vcc, s8, v14
	v_addc_co_u32_e32 v86, vcc, v62, v15, vcc
	v_add_u32_e32 v28, 0x5800, v24
	v_add_co_u32_e32 v62, vcc, v63, v37
	s_waitcnt lgkmcnt(0)
	v_pk_fma_f16 v108, v54, v48, v71 op_sel_hi:[1,0,1]
	ds_read2_b64 v[50:53], v28 offset1:32
	ds_read2_b64 v[58:61], v28 offset0:64 offset1:96
	ds_read2_b64 v[70:73], v28 offset0:128 offset1:160
	ds_read_b128 v[74:77], v36 offset:96
	ds_read_b128 v[78:81], v36 offset:112
	ds_read2_b64 v[82:85], v28 offset0:192 offset1:224
	s_waitcnt lgkmcnt(0)
	s_barrier
	v_addc_co_u32_e32 v63, vcc, 0, v86, vcc
	global_load_dwordx4 v[86:89], v[46:47], off
	global_load_dwordx4 v[90:93], v[62:63], off
	v_pk_fma_f16 v46, v54, v48, v94 op_sel:[0,1,0]
	v_pk_fma_f16 v45, v54, v49, v45 op_sel_hi:[1,0,1]
	v_pk_fma_f16 v47, v54, v49, v95 op_sel:[0,1,0]
	v_pk_fma_f16 v54, v55, v48, v96 op_sel_hi:[1,0,1]
	;; [unrolled: 2-line block ×38, first 2 shown]
	v_pk_fma_f16 v80, v85, v80, v48 op_sel:[0,1,0]
	s_waitcnt vmcnt(1)
	ds_write_b128 v38, v[86:89]
	s_waitcnt vmcnt(0)
	ds_write_b128 v39, v[90:93]
	s_waitcnt lgkmcnt(0)
	s_barrier
	ds_read2_b64 v[46:49], v33 offset1:32
	ds_read_b128 v[50:53], v36 offset:128
	v_pk_fma_f16 v95, v85, v81, v60 op_sel_hi:[1,0,1]
	v_pk_fma_f16 v81, v85, v81, v61 op_sel:[0,1,0]
	ds_read_b128 v[54:57], v36 offset:144
	ds_read_b128 v[58:61], v36 offset:160
	;; [unrolled: 1-line block ×3, first 2 shown]
	s_waitcnt lgkmcnt(3)
	v_pk_fma_f16 v62, v46, v50, v62 op_sel_hi:[1,0,1]
	v_pk_fma_f16 v63, v46, v50, v63 op_sel:[0,1,0]
	v_pk_fma_f16 v45, v46, v51, v45 op_sel_hi:[1,0,1]
	v_pk_fma_f16 v46, v46, v51, v74 op_sel:[0,1,0]
	;; [unrolled: 2-line block ×3, first 2 shown]
	v_pk_fma_f16 v87, v47, v51, v77 op_sel_hi:[1,0,1]
	ds_read2_b64 v[74:77], v33 offset0:64 offset1:96
	v_pk_fma_f16 v47, v47, v51, v78 op_sel:[0,1,0]
	v_pk_fma_f16 v78, v48, v50, v79 op_sel_hi:[1,0,1]
	v_pk_fma_f16 v79, v48, v50, v82 op_sel:[0,1,0]
	v_pk_fma_f16 v82, v48, v51, v83 op_sel_hi:[1,0,1]
	;; [unrolled: 2-line block ×4, first 2 shown]
	v_pk_fma_f16 v51, v49, v51, v81 op_sel:[0,1,0]
	s_waitcnt lgkmcnt(0)
	v_pk_fma_f16 v62, v74, v52, v62 op_sel_hi:[1,0,1]
	v_pk_fma_f16 v63, v74, v52, v63 op_sel:[0,1,0]
	v_pk_fma_f16 v45, v74, v53, v45 op_sel_hi:[1,0,1]
	v_pk_fma_f16 v74, v74, v53, v46 op_sel:[0,1,0]
	;; [unrolled: 2-line block ×6, first 2 shown]
	ds_read2_b64 v[46:49], v33 offset0:128 offset1:160
	v_pk_fma_f16 v83, v77, v52, v83 op_sel_hi:[1,0,1]
	v_pk_fma_f16 v86, v77, v52, v50 op_sel:[0,1,0]
	v_pk_fma_f16 v80, v77, v53, v80 op_sel_hi:[1,0,1]
	v_pk_fma_f16 v77, v77, v53, v51 op_sel:[0,1,0]
	ds_read2_b64 v[50:53], v33 offset0:192 offset1:224
	s_waitcnt lgkmcnt(1)
	v_pk_fma_f16 v62, v46, v54, v62 op_sel_hi:[1,0,1]
	v_pk_fma_f16 v63, v46, v54, v63 op_sel:[0,1,0]
	v_pk_fma_f16 v45, v46, v55, v45 op_sel_hi:[1,0,1]
	v_pk_fma_f16 v46, v46, v55, v74 op_sel:[0,1,0]
	v_pk_fma_f16 v74, v47, v54, v81 op_sel_hi:[1,0,1]
	v_pk_fma_f16 v81, v47, v54, v84 op_sel:[0,1,0]
	v_pk_fma_f16 v84, v47, v55, v85 op_sel_hi:[1,0,1]
	v_pk_fma_f16 v47, v47, v55, v75 op_sel:[0,1,0]
	v_pk_fma_f16 v75, v48, v54, v78 op_sel_hi:[1,0,1]
	v_pk_fma_f16 v78, v48, v54, v79 op_sel:[0,1,0]
	v_pk_fma_f16 v79, v48, v55, v82 op_sel_hi:[1,0,1]
	v_pk_fma_f16 v48, v48, v55, v76 op_sel:[0,1,0]
	v_pk_fma_f16 v33, v49, v54, v83 op_sel_hi:[1,0,1]
	v_pk_fma_f16 v54, v49, v54, v86 op_sel:[0,1,0]
	v_pk_fma_f16 v76, v49, v55, v80 op_sel_hi:[1,0,1]
	v_pk_fma_f16 v55, v49, v55, v77 op_sel:[0,1,0]
	s_waitcnt lgkmcnt(0)
	v_pk_fma_f16 v62, v50, v56, v62 op_sel_hi:[1,0,1]
	v_pk_fma_f16 v63, v50, v56, v63 op_sel:[0,1,0]
	v_pk_fma_f16 v45, v50, v57, v45 op_sel_hi:[1,0,1]
	v_pk_fma_f16 v50, v50, v57, v46 op_sel:[0,1,0]
	;; [unrolled: 2-line block ×6, first 2 shown]
	ds_read2_b64 v[46:49], v35 offset1:32
	v_pk_fma_f16 v33, v53, v56, v33 op_sel_hi:[1,0,1]
	v_pk_fma_f16 v54, v53, v56, v54 op_sel:[0,1,0]
	v_pk_fma_f16 v56, v53, v57, v76 op_sel_hi:[1,0,1]
	v_pk_fma_f16 v55, v53, v57, v55 op_sel:[0,1,0]
	s_waitcnt lgkmcnt(0)
	v_pk_fma_f16 v57, v46, v58, v62 op_sel_hi:[1,0,1]
	v_pk_fma_f16 v62, v46, v58, v63 op_sel:[0,1,0]
	v_pk_fma_f16 v45, v46, v59, v45 op_sel_hi:[1,0,1]
	v_pk_fma_f16 v46, v46, v59, v50 op_sel:[0,1,0]
	v_pk_fma_f16 v63, v47, v58, v74 op_sel_hi:[1,0,1]
	v_pk_fma_f16 v74, v47, v58, v77 op_sel:[0,1,0]
	v_pk_fma_f16 v76, v47, v59, v80 op_sel_hi:[1,0,1]
	v_pk_fma_f16 v47, v47, v59, v51 op_sel:[0,1,0]
	v_pk_fma_f16 v75, v48, v58, v75 op_sel_hi:[1,0,1]
	v_pk_fma_f16 v77, v48, v58, v78 op_sel:[0,1,0]
	v_pk_fma_f16 v78, v48, v59, v79 op_sel_hi:[1,0,1]
	v_pk_fma_f16 v48, v48, v59, v52 op_sel:[0,1,0]
	ds_read2_b64 v[50:53], v35 offset0:64 offset1:96
	v_pk_fma_f16 v33, v49, v58, v33 op_sel_hi:[1,0,1]
	v_pk_fma_f16 v54, v49, v58, v54 op_sel:[0,1,0]
	v_pk_fma_f16 v56, v49, v59, v56 op_sel_hi:[1,0,1]
	v_pk_fma_f16 v55, v49, v59, v55 op_sel:[0,1,0]
	s_waitcnt lgkmcnt(0)
	v_pk_fma_f16 v57, v50, v60, v57 op_sel_hi:[1,0,1]
	v_pk_fma_f16 v58, v50, v60, v62 op_sel:[0,1,0]
	v_pk_fma_f16 v45, v50, v61, v45 op_sel_hi:[1,0,1]
	v_pk_fma_f16 v50, v50, v61, v46 op_sel:[0,1,0]
	v_pk_fma_f16 v59, v51, v60, v63 op_sel_hi:[1,0,1]
	v_pk_fma_f16 v62, v51, v60, v74 op_sel:[0,1,0]
	v_pk_fma_f16 v63, v51, v61, v76 op_sel_hi:[1,0,1]
	v_pk_fma_f16 v51, v51, v61, v47 op_sel:[0,1,0]
	v_pk_fma_f16 v74, v52, v60, v75 op_sel_hi:[1,0,1]
	v_pk_fma_f16 v75, v52, v60, v77 op_sel:[0,1,0]
	v_pk_fma_f16 v76, v52, v61, v78 op_sel_hi:[1,0,1]
	v_pk_fma_f16 v52, v52, v61, v48 op_sel:[0,1,0]
	ds_read2_b64 v[46:49], v35 offset0:128 offset1:160
	;; [unrolled: 18-line block ×3, first 2 shown]
	v_pk_fma_f16 v33, v49, v70, v33 op_sel_hi:[1,0,1]
	v_pk_fma_f16 v35, v49, v70, v54 op_sel:[0,1,0]
	v_pk_fma_f16 v70, v49, v71, v56 op_sel_hi:[1,0,1]
	v_pk_fma_f16 v71, v49, v71, v55 op_sel:[0,1,0]
	s_waitcnt lgkmcnt(0)
	v_pk_fma_f16 v75, v50, v72, v57 op_sel_hi:[1,0,1]
	v_pk_fma_f16 v76, v50, v73, v46 op_sel:[0,1,0]
	v_pk_fma_f16 v77, v51, v73, v47 op_sel:[0,1,0]
	v_pk_fma_f16 v78, v52, v73, v48 op_sel:[0,1,0]
	ds_read2_b64 v[46:49], v26 offset1:32
	ds_read_b128 v[54:57], v36 offset:192
	v_pk_fma_f16 v58, v50, v72, v58 op_sel:[0,1,0]
	v_pk_fma_f16 v45, v50, v73, v45 op_sel_hi:[1,0,1]
	v_pk_fma_f16 v59, v51, v72, v59 op_sel_hi:[1,0,1]
	v_pk_fma_f16 v60, v51, v72, v60 op_sel:[0,1,0]
	v_pk_fma_f16 v61, v51, v73, v61 op_sel_hi:[1,0,1]
	v_pk_fma_f16 v62, v52, v72, v62 op_sel_hi:[1,0,1]
	;; [unrolled: 3-line block ×3, first 2 shown]
	v_pk_fma_f16 v35, v53, v72, v35 op_sel:[0,1,0]
	v_pk_fma_f16 v70, v53, v73, v70 op_sel_hi:[1,0,1]
	v_pk_fma_f16 v71, v53, v73, v71 op_sel:[0,1,0]
	s_waitcnt lgkmcnt(0)
	v_pk_fma_f16 v72, v46, v54, v75 op_sel_hi:[1,0,1]
	v_pk_fma_f16 v73, v46, v54, v58 op_sel:[0,1,0]
	v_pk_fma_f16 v45, v46, v55, v45 op_sel_hi:[1,0,1]
	v_pk_fma_f16 v46, v46, v55, v76 op_sel:[0,1,0]
	;; [unrolled: 2-line block ×3, first 2 shown]
	v_pk_fma_f16 v79, v47, v55, v61 op_sel_hi:[1,0,1]
	ds_read2_b64 v[58:61], v26 offset0:64 offset1:96
	v_pk_fma_f16 v47, v47, v55, v77 op_sel:[0,1,0]
	v_pk_fma_f16 v62, v48, v54, v62 op_sel_hi:[1,0,1]
	v_pk_fma_f16 v63, v48, v54, v63 op_sel:[0,1,0]
	v_pk_fma_f16 v74, v48, v55, v74 op_sel_hi:[1,0,1]
	v_pk_fma_f16 v48, v48, v55, v78 op_sel:[0,1,0]
	ds_read_b128 v[50:53], v36 offset:208
	v_pk_fma_f16 v33, v49, v54, v33 op_sel_hi:[1,0,1]
	v_pk_fma_f16 v35, v49, v54, v35 op_sel:[0,1,0]
	v_pk_fma_f16 v54, v49, v55, v70 op_sel_hi:[1,0,1]
	v_pk_fma_f16 v55, v49, v55, v71 op_sel:[0,1,0]
	s_waitcnt lgkmcnt(1)
	v_pk_fma_f16 v70, v58, v56, v72 op_sel_hi:[1,0,1]
	v_pk_fma_f16 v71, v58, v56, v73 op_sel:[0,1,0]
	v_pk_fma_f16 v45, v58, v57, v45 op_sel_hi:[1,0,1]
	v_pk_fma_f16 v58, v58, v57, v46 op_sel:[0,1,0]
	;; [unrolled: 2-line block ×6, first 2 shown]
	ds_read2_b64 v[46:49], v26 offset0:128 offset1:160
	v_pk_fma_f16 v33, v61, v56, v33 op_sel_hi:[1,0,1]
	v_pk_fma_f16 v35, v61, v56, v35 op_sel:[0,1,0]
	v_pk_fma_f16 v76, v61, v57, v54 op_sel_hi:[1,0,1]
	v_pk_fma_f16 v61, v61, v57, v55 op_sel:[0,1,0]
	ds_read2_b64 v[54:57], v26 offset0:192 offset1:224
	s_waitcnt lgkmcnt(1)
	v_pk_fma_f16 v70, v46, v50, v70 op_sel_hi:[1,0,1]
	v_pk_fma_f16 v71, v46, v50, v71 op_sel:[0,1,0]
	v_pk_fma_f16 v45, v46, v51, v45 op_sel_hi:[1,0,1]
	v_pk_fma_f16 v46, v46, v51, v58 op_sel:[0,1,0]
	;; [unrolled: 2-line block ×8, first 2 shown]
	s_waitcnt lgkmcnt(0)
	v_pk_fma_f16 v51, v54, v52, v70 op_sel_hi:[1,0,1]
	v_pk_fma_f16 v74, v54, v52, v71 op_sel:[0,1,0]
	v_pk_fma_f16 v45, v54, v53, v45 op_sel_hi:[1,0,1]
	v_pk_fma_f16 v54, v54, v53, v46 op_sel:[0,1,0]
	;; [unrolled: 2-line block ×6, first 2 shown]
	ds_read2_b64 v[46:49], v28 offset1:32
	ds_read_b128 v[58:61], v36 offset:224
	v_pk_fma_f16 v26, v57, v52, v26 op_sel_hi:[1,0,1]
	v_pk_fma_f16 v33, v57, v52, v33 op_sel:[0,1,0]
	v_pk_fma_f16 v35, v57, v53, v35 op_sel_hi:[1,0,1]
	v_pk_fma_f16 v57, v57, v53, v50 op_sel:[0,1,0]
	s_waitcnt lgkmcnt(0)
	v_pk_fma_f16 v79, v46, v58, v51 op_sel_hi:[1,0,1]
	ds_read2_b64 v[50:53], v28 offset0:64 offset1:96
	v_pk_fma_f16 v74, v46, v58, v74 op_sel:[0,1,0]
	v_pk_fma_f16 v45, v46, v59, v45 op_sel_hi:[1,0,1]
	v_pk_fma_f16 v46, v46, v59, v54 op_sel:[0,1,0]
	v_pk_fma_f16 v54, v47, v58, v75 op_sel_hi:[1,0,1]
	;; [unrolled: 2-line block ×5, first 2 shown]
	v_pk_fma_f16 v48, v48, v59, v56 op_sel:[0,1,0]
	ds_read_b128 v[70:73], v36 offset:240
	v_pk_fma_f16 v26, v49, v58, v26 op_sel_hi:[1,0,1]
	v_pk_fma_f16 v33, v49, v58, v33 op_sel:[0,1,0]
	v_pk_fma_f16 v35, v49, v59, v35 op_sel_hi:[1,0,1]
	v_pk_fma_f16 v56, v49, v59, v57 op_sel:[0,1,0]
	s_waitcnt lgkmcnt(1)
	v_pk_fma_f16 v57, v50, v60, v79 op_sel_hi:[1,0,1]
	v_pk_fma_f16 v58, v50, v60, v74 op_sel:[0,1,0]
	v_pk_fma_f16 v45, v50, v61, v45 op_sel_hi:[1,0,1]
	v_pk_fma_f16 v50, v50, v61, v46 op_sel:[0,1,0]
	;; [unrolled: 2-line block ×6, first 2 shown]
	ds_read2_b64 v[46:49], v28 offset0:128 offset1:160
	v_pk_fma_f16 v26, v53, v60, v26 op_sel_hi:[1,0,1]
	v_pk_fma_f16 v33, v53, v60, v33 op_sel:[0,1,0]
	v_pk_fma_f16 v35, v53, v61, v35 op_sel_hi:[1,0,1]
	v_pk_fma_f16 v53, v53, v61, v56 op_sel:[0,1,0]
	s_waitcnt lgkmcnt(0)
	v_pk_fma_f16 v60, v46, v70, v57 op_sel_hi:[1,0,1]
	v_pk_fma_f16 v61, v46, v70, v58 op_sel:[0,1,0]
	v_pk_fma_f16 v45, v46, v71, v45 op_sel_hi:[1,0,1]
	v_pk_fma_f16 v46, v46, v71, v50 op_sel:[0,1,0]
	;; [unrolled: 2-line block ×3, first 2 shown]
	ds_read2_b64 v[56:59], v28 offset0:192 offset1:224
	s_waitcnt lgkmcnt(0)
	s_barrier
	s_load_dword s8, s[0:1], 0x4
	v_pk_fma_f16 v74, v47, v71, v74 op_sel_hi:[1,0,1]
	v_pk_fma_f16 v47, v47, v71, v51 op_sel:[0,1,0]
	v_pk_fma_f16 v51, v48, v70, v55 op_sel_hi:[1,0,1]
	v_pk_fma_f16 v55, v48, v70, v62 op_sel:[0,1,0]
	s_waitcnt lgkmcnt(0)
	s_lshl_b32 s8, s8, 5
	v_pk_fma_f16 v62, v48, v71, v63 op_sel_hi:[1,0,1]
	v_pk_fma_f16 v63, v48, v71, v52 op_sel:[0,1,0]
	v_pk_fma_f16 v26, v49, v70, v26 op_sel_hi:[1,0,1]
	v_pk_fma_f16 v70, v49, v70, v33 op_sel:[0,1,0]
	v_pk_fma_f16 v75, v49, v71, v35 op_sel_hi:[1,0,1]
	v_pk_fma_f16 v71, v49, v71, v53 op_sel:[0,1,0]
	s_add_i32 s6, s8, s6
	v_pk_fma_f16 v53, v56, v72, v60 op_sel_hi:[1,0,1]
	v_pk_fma_f16 v49, v56, v72, v61 op_sel:[0,1,0]
	v_pk_fma_f16 v45, v56, v73, v45 op_sel_hi:[1,0,1]
	v_pk_fma_f16 v35, v56, v73, v46 op_sel:[0,1,0]
	;; [unrolled: 2-line block ×7, first 2 shown]
	v_pk_fma_f16 v47, v59, v73, v75 op_sel_hi:[1,0,1]
	s_cmp_ge_i32 s6, s30
	v_pk_fma_f16 v26, v59, v73, v71 op_sel:[0,1,0]
	s_cbranch_scc1 .LBB65_27
; %bb.26:                               ;   in Loop: Header=BB65_9 Depth=1
	v_mov_b32_e32 v57, v0
	v_mov_b32_e32 v58, v1
	;; [unrolled: 1-line block ×4, first 2 shown]
	s_branch .LBB65_9
.LBB65_27:
	v_cmp_lt_i32_e32 vcc, v67, v64
	v_cndmask_b32_e32 v8, v25, v67, vcc
	v_cmp_lt_i32_e32 vcc, v68, v64
	v_lshlrev_b32_e32 v11, 2, v8
	v_cndmask_b32_e32 v8, v25, v68, vcc
	v_cmp_lt_i32_e32 vcc, v69, v64
	v_lshlrev_b32_e32 v12, 2, v8
	v_cndmask_b32_e32 v8, v25, v69, vcc
	v_lshlrev_b32_e32 v13, 2, v8
	ds_bpermute_b32 v8, v11, v6
	ds_bpermute_b32 v9, v11, v7
	;; [unrolled: 1-line block ×4, first 2 shown]
	v_cmp_lt_i32_e32 vcc, v66, v64
	v_cndmask_b32_e32 v14, v25, v66, vcc
	s_waitcnt lgkmcnt(2)
	v_pk_add_f32 v[6:7], v[6:7], v[8:9]
	ds_bpermute_b32 v8, v12, v6
	s_waitcnt lgkmcnt(1)
	v_pk_add_f32 v[4:5], v[4:5], v[10:11]
	ds_bpermute_b32 v9, v12, v7
	ds_bpermute_b32 v10, v12, v4
	;; [unrolled: 1-line block ×3, first 2 shown]
	v_lshlrev_b32_e32 v12, 2, v14
	v_cmp_lt_i32_e32 vcc, v65, v64
	s_waitcnt lgkmcnt(2)
	v_pk_add_f32 v[6:7], v[6:7], v[8:9]
	ds_bpermute_b32 v8, v13, v6
	s_waitcnt lgkmcnt(1)
	v_pk_add_f32 v[4:5], v[4:5], v[10:11]
	ds_bpermute_b32 v9, v13, v7
	ds_bpermute_b32 v10, v13, v4
	;; [unrolled: 1-line block ×3, first 2 shown]
	v_cndmask_b32_e32 v13, v25, v65, vcc
	s_cmp_lg_u64 s[16:17], 0
	s_waitcnt lgkmcnt(2)
	v_pk_add_f32 v[6:7], v[6:7], v[8:9]
	ds_bpermute_b32 v8, v12, v6
	s_waitcnt lgkmcnt(1)
	v_pk_add_f32 v[4:5], v[4:5], v[10:11]
	ds_bpermute_b32 v9, v12, v7
	ds_bpermute_b32 v10, v12, v4
	ds_bpermute_b32 v11, v12, v5
	v_lshlrev_b32_e32 v12, 2, v13
	s_cselect_b64 s[0:1], -1, 0
	s_waitcnt lgkmcnt(2)
	v_pk_add_f32 v[6:7], v[6:7], v[8:9]
	ds_bpermute_b32 v8, v12, v6
	s_waitcnt lgkmcnt(1)
	v_pk_add_f32 v[4:5], v[4:5], v[10:11]
	ds_bpermute_b32 v9, v12, v7
	ds_bpermute_b32 v10, v12, v4
	;; [unrolled: 1-line block ×3, first 2 shown]
	s_cmp_eq_u32 s7, 0
	s_cselect_b64 s[8:9], -1, 0
	s_and_b64 s[0:1], s[8:9], s[0:1]
	s_waitcnt lgkmcnt(2)
	v_pk_add_f32 v[6:7], v[6:7], v[8:9]
	s_waitcnt lgkmcnt(0)
	v_pk_add_f32 v[4:5], v[4:5], v[10:11]
	s_and_b64 vcc, exec, s[0:1]
	s_cbranch_vccz .LBB65_29
; %bb.28:
	s_ashr_i32 s29, s28, 31
	s_lshl_b64 s[0:1], s[28:29], 2
	s_add_u32 s0, s16, s0
	s_addc_u32 s1, s17, s1
	v_mov_b32_e32 v8, 0
	global_load_dwordx2 v[12:13], v8, s[0:1]
	v_max_f32_e32 v8, v1, v1
	v_max_f32_e32 v10, v0, v0
	v_max_f32_e32 v11, v3, v3
	v_max_f32_e32 v15, v2, v2
	s_mov_b32 s6, 0x3fb8aa3b
	s_mov_b32 s0, 0xc2ce8ed0
	;; [unrolled: 1-line block ×3, first 2 shown]
	v_mov_b32_e32 v14, 0x7f800000
	s_waitcnt vmcnt(0)
	v_max_f32_e32 v24, v13, v13
	v_max_f32_e32 v25, v12, v12
	;; [unrolled: 1-line block ×4, first 2 shown]
	v_pk_add_f32 v[0:1], v[0:1], v[8:9] neg_lo:[0,1] neg_hi:[0,1]
	v_max_f32_e32 v11, v11, v24
	v_max_f32_e32 v10, v15, v25
	v_mul_f32_e32 v24, 0x3fb8aa3b, v1
	v_pk_add_f32 v[2:3], v[2:3], v[10:11] neg_lo:[0,1] neg_hi:[0,1]
	v_mul_f32_e32 v25, 0x3fb8aa3b, v0
	v_fma_f32 v31, v1, s6, -v24
	v_rndne_f32_e32 v32, v24
	v_mul_f32_e32 v27, 0x3fb8aa3b, v3
	v_fma_f32 v34, v0, s6, -v25
	v_rndne_f32_e32 v36, v25
	v_fmac_f32_e32 v31, 0x32a5705f, v1
	v_sub_f32_e32 v24, v24, v32
	v_mul_f32_e32 v29, 0x3fb8aa3b, v2
	v_fma_f32 v37, v3, s6, -v27
	v_rndne_f32_e32 v38, v27
	v_fmac_f32_e32 v34, 0x32a5705f, v0
	v_sub_f32_e32 v25, v25, v36
	v_add_f32_e32 v24, v24, v31
	v_fma_f32 v39, v2, s6, -v29
	v_rndne_f32_e32 v40, v29
	v_cvt_i32_f32_e32 v32, v32
	v_fmac_f32_e32 v37, 0x32a5705f, v3
	v_sub_f32_e32 v27, v27, v38
	v_add_f32_e32 v25, v25, v34
	v_exp_f32_e32 v24, v24
	v_cvt_i32_f32_e32 v36, v36
	v_fmac_f32_e32 v39, 0x32a5705f, v2
	v_sub_f32_e32 v29, v29, v40
	v_add_f32_e32 v27, v27, v37
	v_exp_f32_e32 v25, v25
	v_cvt_i32_f32_e32 v38, v38
	v_add_f32_e32 v29, v29, v39
	v_exp_f32_e32 v27, v27
	v_cvt_i32_f32_e32 v40, v40
	v_exp_f32_e32 v29, v29
	v_ldexp_f32 v24, v24, v32
	v_cmp_ngt_f32_e32 vcc, s0, v1
	v_ldexp_f32 v25, v25, v36
	v_cndmask_b32_e32 v24, 0, v24, vcc
	v_cmp_ngt_f32_e32 vcc, s0, v0
	v_ldexp_f32 v27, v27, v38
	v_cndmask_b32_e32 v25, 0, v25, vcc
	;; [unrolled: 3-line block ×3, first 2 shown]
	v_cmp_ngt_f32_e32 vcc, s0, v2
	v_cndmask_b32_e32 v29, 0, v29, vcc
	v_cmp_nlt_f32_e32 vcc, s1, v1
	v_sub_f32_e32 v15, v13, v9
	v_cndmask_b32_e32 v1, v14, v24, vcc
	v_cmp_nlt_f32_e32 vcc, s1, v0
	v_mul_f32_e32 v30, 0x3fb8aa3b, v15
	v_cndmask_b32_e32 v0, v14, v25, vcc
	v_cmp_nlt_f32_e32 vcc, s1, v3
	v_fma_f32 v41, v15, s6, -v30
	v_rndne_f32_e32 v42, v30
	v_cndmask_b32_e32 v3, v14, v27, vcc
	v_cmp_nlt_f32_e32 vcc, s1, v2
	v_fmac_f32_e32 v41, 0x32a5705f, v15
	v_sub_f32_e32 v30, v30, v42
	v_cndmask_b32_e32 v2, v14, v29, vcc
	v_cvt_f16_f32_e32 v24, v0
	v_add_f32_e32 v30, v30, v41
	v_cvt_f16_f32_e32 v27, v2
	v_cvt_i32_f32_e32 v42, v42
	v_exp_f32_e32 v30, v30
	v_cvt_f16_f32_e32 v25, v1
	v_cvt_f16_f32_e32 v29, v3
	v_pk_mul_f16 v53, v24, v53 op_sel_hi:[0,1]
	v_pk_mul_f16 v56, v24, v56 op_sel_hi:[0,1]
	v_pk_mul_f16 v54, v24, v54 op_sel_hi:[0,1]
	v_pk_mul_f16 v55, v24, v55 op_sel_hi:[0,1]
	v_sub_f32_e32 v24, v12, v10
	v_sub_f32_e32 v12, v12, v8
	v_pk_mul_f16 v45, v27, v45 op_sel_hi:[0,1]
	v_pk_mul_f16 v48, v27, v48 op_sel_hi:[0,1]
	;; [unrolled: 1-line block ×4, first 2 shown]
	v_mul_f32_e32 v27, 0x3fb8aa3b, v12
	v_pk_mul_f16 v49, v25, v49 op_sel_hi:[0,1]
	v_pk_mul_f16 v52, v25, v52 op_sel_hi:[0,1]
	;; [unrolled: 1-line block ×8, first 2 shown]
	v_sub_f32_e32 v25, v13, v11
	v_ldexp_f32 v13, v30, v42
	v_fma_f32 v29, v12, s6, -v27
	v_rndne_f32_e32 v30, v27
	v_fmac_f32_e32 v29, 0x32a5705f, v12
	v_sub_f32_e32 v27, v27, v30
	v_add_f32_e32 v27, v27, v29
	v_exp_f32_e32 v27, v27
	v_cvt_i32_f32_e32 v29, v30
	v_cmp_ngt_f32_e32 vcc, s0, v15
	v_cndmask_b32_e32 v13, 0, v13, vcc
	v_cmp_nlt_f32_e32 vcc, s1, v15
	v_ldexp_f32 v15, v27, v29
	v_mul_f32_e32 v27, 0x3fb8aa3b, v25
	v_fma_f32 v29, v25, s6, -v27
	v_rndne_f32_e32 v30, v27
	v_fmac_f32_e32 v29, 0x32a5705f, v25
	v_sub_f32_e32 v27, v27, v30
	v_add_f32_e32 v27, v27, v29
	v_exp_f32_e32 v27, v27
	v_cvt_i32_f32_e32 v29, v30
	v_cndmask_b32_e32 v13, v14, v13, vcc
	v_cmp_ngt_f32_e32 vcc, s0, v12
	v_cndmask_b32_e32 v15, 0, v15, vcc
	v_cmp_nlt_f32_e32 vcc, s1, v12
	v_cndmask_b32_e32 v12, v14, v15, vcc
	v_ldexp_f32 v15, v27, v29
	v_mul_f32_e32 v27, 0x3fb8aa3b, v24
	v_fma_f32 v29, v24, s6, -v27
	v_rndne_f32_e32 v30, v27
	v_fmac_f32_e32 v29, 0x32a5705f, v24
	v_sub_f32_e32 v27, v27, v30
	v_add_f32_e32 v27, v27, v29
	v_exp_f32_e32 v27, v27
	v_cvt_i32_f32_e32 v29, v30
	v_cmp_ngt_f32_e32 vcc, s0, v25
	v_cndmask_b32_e32 v15, 0, v15, vcc
	v_cmp_nlt_f32_e32 vcc, s1, v25
	v_cndmask_b32_e32 v15, v14, v15, vcc
	v_ldexp_f32 v25, v27, v29
	v_cmp_ngt_f32_e32 vcc, s0, v24
	v_cndmask_b32_e32 v25, 0, v25, vcc
	v_cmp_nlt_f32_e32 vcc, s1, v24
	v_cndmask_b32_e32 v14, v14, v25, vcc
	v_pk_fma_f32 v[4:5], v[4:5], v[2:3], v[14:15]
	v_pk_fma_f32 v[6:7], v[6:7], v[0:1], v[12:13]
	v_pk_mov_b32 v[0:1], v[8:9], v[8:9] op_sel:[0,1]
	v_pk_mov_b32 v[2:3], v[10:11], v[10:11] op_sel:[0,1]
.LBB65_29:
	v_cmp_gt_i32_e32 vcc, s2, v23
	s_and_saveexec_b64 s[0:1], vcc
	s_cbranch_execz .LBB65_48
; %bb.30:
	s_load_dword s6, s[4:5], 0xd4
	v_mov_b32_e32 v8, 1.0
	s_waitcnt lgkmcnt(0)
	s_cmp_lg_u32 s6, 1
	s_cselect_b64 s[4:5], -1, 0
	s_cmp_eq_u32 s6, 1
	s_cselect_b64 s[8:9], -1, 0
	s_and_b64 vcc, exec, s[4:5]
	s_cbranch_vccnz .LBB65_32
; %bb.31:
	v_div_scale_f32 v8, s[0:1], v6, v6, 1.0
	v_rcp_f32_e32 v9, v8
	v_div_scale_f32 v10, vcc, 1.0, v6, 1.0
	v_fma_f32 v11, -v8, v9, 1.0
	v_fmac_f32_e32 v9, v11, v9
	v_mul_f32_e32 v11, v10, v9
	v_fma_f32 v12, -v8, v11, v10
	v_fmac_f32_e32 v11, v12, v9
	v_fma_f32 v8, -v8, v11, v10
	v_div_fmas_f32 v8, v8, v9, v11
	v_div_fixup_f32 v8, v8, v6, 1.0
.LBB65_32:
	s_mul_i32 s10, s33, s2
	s_add_i32 s10, s10, s14
	v_add_u32_e32 v9, s10, v21
	v_mul_lo_u32 v9, v9, s3
	v_add_u32_e32 v10, s28, v9
	v_mul_lo_u32 v10, s6, v10
	v_add_u32_e32 v10, s7, v10
	v_cvt_f32_f16_sdwa v15, v53 dst_sel:DWORD dst_unused:UNUSED_PAD src0_sel:WORD_1
	v_cvt_f32_f16_e32 v14, v53
	v_cvt_f32_f16_sdwa v25, v56 dst_sel:DWORD dst_unused:UNUSED_PAD src0_sel:WORD_1
	v_cvt_f32_f16_e32 v24, v56
	v_cmp_eq_u32_e32 vcc, 0, v22
	v_lshl_add_u32 v22, v10, 8, v20
	v_mov_b32_e32 v23, 0
	v_lshlrev_b64 v[12:13], 2, v[22:23]
	v_mov_b32_e32 v11, s21
	v_add_co_u32_e64 v30, s[0:1], s20, v12
	v_addc_co_u32_e64 v31, s[0:1], v11, v13, s[0:1]
	v_pk_mul_f32 v[12:13], v[8:9], v[14:15] op_sel_hi:[0,1]
	v_pk_mul_f32 v[14:15], v[8:9], v[24:25] op_sel_hi:[0,1]
	v_add_u32_e32 v22, 0x80, v22
	global_store_dwordx4 v[30:31], v[12:15], off
	s_and_b64 s[4:5], vcc, s[4:5]
	v_lshlrev_b64 v[12:13], 2, v[22:23]
	v_cvt_f32_f16_sdwa v15, v54 dst_sel:DWORD dst_unused:UNUSED_PAD src0_sel:WORD_1
	v_cvt_f32_f16_e32 v14, v54
	v_cvt_f32_f16_sdwa v23, v55 dst_sel:DWORD dst_unused:UNUSED_PAD src0_sel:WORD_1
	v_cvt_f32_f16_e32 v22, v55
	v_add_co_u32_e64 v24, s[0:1], s20, v12
	v_addc_co_u32_e64 v25, s[0:1], v11, v13, s[0:1]
	v_pk_mul_f32 v[12:13], v[8:9], v[14:15] op_sel_hi:[0,1]
	v_pk_mul_f32 v[14:15], v[8:9], v[22:23] op_sel_hi:[0,1]
	global_store_dwordx4 v[24:25], v[12:15], off
	s_and_saveexec_b64 s[0:1], s[4:5]
	s_cbranch_execz .LBB65_34
; %bb.33:
	v_ashrrev_i32_e32 v11, 31, v10
	v_lshlrev_b64 v[10:11], 3, v[10:11]
	v_mov_b32_e32 v8, s23
	v_add_co_u32_e32 v10, vcc, s22, v10
	v_addc_co_u32_e32 v11, vcc, v8, v11, vcc
	v_mov_b32_e32 v12, v0
	v_mov_b32_e32 v13, v6
	global_store_dwordx2 v[10:11], v[12:13], off
.LBB65_34:
	s_or_b64 exec, exec, s[0:1]
	v_cndmask_b32_e64 v0, 0, 1, s[8:9]
	v_cmp_ne_u32_e64 s[0:1], 1, v0
	s_andn2_b64 vcc, exec, s[8:9]
	v_mov_b32_e32 v0, 1.0
	s_cbranch_vccnz .LBB65_36
; %bb.35:
	v_div_scale_f32 v0, s[8:9], v7, v7, 1.0
	v_rcp_f32_e32 v6, v0
	v_div_scale_f32 v8, vcc, 1.0, v7, 1.0
	v_fma_f32 v10, -v0, v6, 1.0
	v_fmac_f32_e32 v6, v10, v6
	v_mul_f32_e32 v10, v8, v6
	v_fma_f32 v11, -v0, v10, v8
	v_fmac_f32_e32 v10, v11, v6
	v_fma_f32 v0, -v0, v10, v8
	v_div_fmas_f32 v0, v0, v6, v10
	v_div_fixup_f32 v0, v0, v7, 1.0
.LBB65_36:
	s_add_i32 s11, s28, 1
	v_add_u32_e32 v6, s11, v9
	v_mul_lo_u32 v6, s6, v6
	v_add_u32_e32 v8, s7, v6
	v_cvt_f32_f16_sdwa v13, v49 dst_sel:DWORD dst_unused:UNUSED_PAD src0_sel:WORD_1
	v_cvt_f32_f16_e32 v12, v49
	v_cvt_f32_f16_sdwa v23, v52 dst_sel:DWORD dst_unused:UNUSED_PAD src0_sel:WORD_1
	v_cvt_f32_f16_e32 v22, v52
	v_lshl_add_u32 v14, v8, 8, v20
	v_mov_b32_e32 v15, 0
	v_lshlrev_b64 v[10:11], 2, v[14:15]
	v_mov_b32_e32 v6, s21
	v_add_co_u32_e32 v24, vcc, s20, v10
	v_addc_co_u32_e32 v25, vcc, v6, v11, vcc
	v_pk_mul_f32 v[10:11], v[0:1], v[12:13] op_sel_hi:[0,1]
	v_pk_mul_f32 v[12:13], v[0:1], v[22:23] op_sel_hi:[0,1]
	v_add_u32_e32 v14, 0x80, v14
	global_store_dwordx4 v[24:25], v[10:13], off
	s_nop 0
	v_lshlrev_b64 v[10:11], 2, v[14:15]
	v_cvt_f32_f16_sdwa v13, v50 dst_sel:DWORD dst_unused:UNUSED_PAD src0_sel:WORD_1
	v_cvt_f32_f16_e32 v12, v50
	v_cvt_f32_f16_sdwa v15, v51 dst_sel:DWORD dst_unused:UNUSED_PAD src0_sel:WORD_1
	v_cvt_f32_f16_e32 v14, v51
	v_add_co_u32_e32 v22, vcc, s20, v10
	v_addc_co_u32_e32 v23, vcc, v6, v11, vcc
	v_pk_mul_f32 v[10:11], v[0:1], v[12:13] op_sel_hi:[0,1]
	v_pk_mul_f32 v[12:13], v[0:1], v[14:15] op_sel_hi:[0,1]
	global_store_dwordx4 v[22:23], v[10:13], off
	s_and_saveexec_b64 s[8:9], s[4:5]
	s_cbranch_execz .LBB65_38
; %bb.37:
	v_ashrrev_i32_e32 v9, 31, v8
	v_lshlrev_b64 v[8:9], 3, v[8:9]
	v_mov_b32_e32 v0, s23
	v_add_co_u32_e32 v8, vcc, s22, v8
	v_addc_co_u32_e32 v9, vcc, v0, v9, vcc
	v_mov_b32_e32 v6, v1
	global_store_dwordx2 v[8:9], v[6:7], off
.LBB65_38:
	s_or_b64 exec, exec, s[8:9]
	v_cmp_gt_i32_e32 vcc, s2, v19
	s_and_b64 exec, exec, vcc
	s_cbranch_execz .LBB65_48
; %bb.39:
	s_and_b64 vcc, exec, s[0:1]
	v_mov_b32_e32 v6, 1.0
	s_cbranch_vccnz .LBB65_41
; %bb.40:
	v_div_scale_f32 v0, s[8:9], v4, v4, 1.0
	v_rcp_f32_e32 v1, v0
	v_div_scale_f32 v6, vcc, 1.0, v4, 1.0
	v_fma_f32 v7, -v0, v1, 1.0
	v_fmac_f32_e32 v1, v7, v1
	v_mul_f32_e32 v7, v6, v1
	v_fma_f32 v8, -v0, v7, v6
	v_fmac_f32_e32 v7, v8, v1
	v_fma_f32 v0, -v0, v7, v6
	v_div_fmas_f32 v0, v0, v1, v7
	v_div_fixup_f32 v6, v0, v4, 1.0
.LBB65_41:
	v_add_u32_e32 v0, s10, v18
	v_mul_lo_u32 v0, v0, s3
	v_add_u32_e32 v0, s28, v0
	v_mul_lo_u32 v0, s6, v0
	v_add_u32_e32 v0, s7, v0
	v_cvt_f32_f16_sdwa v11, v45 dst_sel:DWORD dst_unused:UNUSED_PAD src0_sel:WORD_1
	v_cvt_f32_f16_e32 v10, v45
	v_cvt_f32_f16_sdwa v15, v48 dst_sel:DWORD dst_unused:UNUSED_PAD src0_sel:WORD_1
	v_cvt_f32_f16_e32 v14, v48
	v_lshl_add_u32 v12, v0, 8, v20
	v_mov_b32_e32 v13, 0
	v_lshlrev_b64 v[8:9], 2, v[12:13]
	v_mov_b32_e32 v1, s21
	v_add_co_u32_e32 v18, vcc, s20, v8
	v_addc_co_u32_e32 v19, vcc, v1, v9, vcc
	v_pk_mul_f32 v[8:9], v[6:7], v[10:11] op_sel_hi:[0,1]
	v_pk_mul_f32 v[10:11], v[6:7], v[14:15] op_sel_hi:[0,1]
	v_add_u32_e32 v12, 0x80, v12
	global_store_dwordx4 v[18:19], v[8:11], off
	s_nop 0
	v_lshlrev_b64 v[8:9], 2, v[12:13]
	v_cvt_f32_f16_sdwa v11, v46 dst_sel:DWORD dst_unused:UNUSED_PAD src0_sel:WORD_1
	v_cvt_f32_f16_e32 v10, v46
	v_cvt_f32_f16_sdwa v13, v47 dst_sel:DWORD dst_unused:UNUSED_PAD src0_sel:WORD_1
	v_cvt_f32_f16_e32 v12, v47
	v_add_co_u32_e32 v14, vcc, s20, v8
	v_addc_co_u32_e32 v15, vcc, v1, v9, vcc
	v_pk_mul_f32 v[8:9], v[6:7], v[10:11] op_sel_hi:[0,1]
	v_pk_mul_f32 v[10:11], v[6:7], v[12:13] op_sel_hi:[0,1]
	global_store_dwordx4 v[14:15], v[8:11], off
	s_and_saveexec_b64 s[8:9], s[4:5]
	s_cbranch_execz .LBB65_43
; %bb.42:
	v_ashrrev_i32_e32 v1, 31, v0
	v_lshlrev_b64 v[0:1], 3, v[0:1]
	v_mov_b32_e32 v6, s23
	v_add_co_u32_e32 v0, vcc, s22, v0
	v_addc_co_u32_e32 v1, vcc, v6, v1, vcc
	v_mov_b32_e32 v6, v2
	v_mov_b32_e32 v7, v4
	global_store_dwordx2 v[0:1], v[6:7], off
.LBB65_43:
	s_or_b64 exec, exec, s[8:9]
	v_cmp_gt_i32_e32 vcc, s2, v17
	s_and_b64 exec, exec, vcc
	s_cbranch_execz .LBB65_48
; %bb.44:
	s_and_b64 vcc, exec, s[0:1]
	v_mov_b32_e32 v2, 1.0
	s_cbranch_vccnz .LBB65_46
; %bb.45:
	v_div_scale_f32 v0, s[0:1], v5, v5, 1.0
	v_rcp_f32_e32 v1, v0
	v_div_scale_f32 v2, vcc, 1.0, v5, 1.0
	v_fma_f32 v4, -v0, v1, 1.0
	v_fmac_f32_e32 v1, v4, v1
	v_mul_f32_e32 v4, v2, v1
	v_fma_f32 v6, -v0, v4, v2
	v_fmac_f32_e32 v4, v6, v1
	v_fma_f32 v0, -v0, v4, v2
	v_div_fmas_f32 v0, v0, v1, v4
	v_div_fixup_f32 v2, v0, v5, 1.0
.LBB65_46:
	v_add_u32_e32 v0, s10, v16
	v_mul_lo_u32 v0, v0, s3
	v_add_u32_e32 v0, s11, v0
	v_mul_lo_u32 v0, s6, v0
	v_add_u32_e32 v0, s7, v0
	v_cvt_f32_f16_sdwa v9, v35 dst_sel:DWORD dst_unused:UNUSED_PAD src0_sel:WORD_1
	v_cvt_f32_f16_e32 v8, v35
	v_cvt_f32_f16_sdwa v13, v33 dst_sel:DWORD dst_unused:UNUSED_PAD src0_sel:WORD_1
	v_cvt_f32_f16_e32 v12, v33
	v_lshl_add_u32 v10, v0, 8, v20
	v_mov_b32_e32 v11, 0
	v_lshlrev_b64 v[6:7], 2, v[10:11]
	v_mov_b32_e32 v1, s21
	v_add_co_u32_e32 v14, vcc, s20, v6
	v_addc_co_u32_e32 v15, vcc, v1, v7, vcc
	v_pk_mul_f32 v[6:7], v[2:3], v[8:9] op_sel_hi:[0,1]
	v_pk_mul_f32 v[8:9], v[2:3], v[12:13] op_sel_hi:[0,1]
	v_add_u32_e32 v10, 0x80, v10
	global_store_dwordx4 v[14:15], v[6:9], off
	s_nop 0
	v_lshlrev_b64 v[6:7], 2, v[10:11]
	v_cvt_f32_f16_sdwa v9, v28 dst_sel:DWORD dst_unused:UNUSED_PAD src0_sel:WORD_1
	v_cvt_f32_f16_e32 v8, v28
	v_cvt_f32_f16_sdwa v11, v26 dst_sel:DWORD dst_unused:UNUSED_PAD src0_sel:WORD_1
	v_cvt_f32_f16_e32 v10, v26
	v_add_co_u32_e32 v12, vcc, s20, v6
	v_addc_co_u32_e32 v13, vcc, v1, v7, vcc
	v_pk_mul_f32 v[6:7], v[2:3], v[8:9] op_sel_hi:[0,1]
	v_pk_mul_f32 v[8:9], v[2:3], v[10:11] op_sel_hi:[0,1]
	global_store_dwordx4 v[12:13], v[6:9], off
	s_and_b64 exec, exec, s[4:5]
	s_cbranch_execz .LBB65_48
; %bb.47:
	v_ashrrev_i32_e32 v1, 31, v0
	v_lshlrev_b64 v[0:1], 3, v[0:1]
	v_mov_b32_e32 v2, s23
	v_add_co_u32_e32 v0, vcc, s22, v0
	v_addc_co_u32_e32 v1, vcc, v2, v1, vcc
	v_mov_b32_e32 v4, v3
	global_store_dwordx2 v[0:1], v[4:5], off
.LBB65_48:
	s_endpgm
	.section	.rodata,"a",@progbits
	.p2align	6, 0x0
	.amdhsa_kernel _ZL15flash_attn_tileILi256ELi256ELi16ELi2ELb1EEvPKcS1_S1_S1_S1_PKiPfP15HIP_vector_typeIfLj2EEffffjfiS5_IjLj3EEiiiiiiiiiiiliiliiiiil
		.amdhsa_group_segment_fixed_size 27136
		.amdhsa_private_segment_fixed_size 0
		.amdhsa_kernarg_size 464
		.amdhsa_user_sgpr_count 6
		.amdhsa_user_sgpr_private_segment_buffer 1
		.amdhsa_user_sgpr_dispatch_ptr 0
		.amdhsa_user_sgpr_queue_ptr 0
		.amdhsa_user_sgpr_kernarg_segment_ptr 1
		.amdhsa_user_sgpr_dispatch_id 0
		.amdhsa_user_sgpr_flat_scratch_init 0
		.amdhsa_user_sgpr_kernarg_preload_length 0
		.amdhsa_user_sgpr_kernarg_preload_offset 0
		.amdhsa_user_sgpr_private_segment_size 0
		.amdhsa_uses_dynamic_stack 0
		.amdhsa_system_sgpr_private_segment_wavefront_offset 0
		.amdhsa_system_sgpr_workgroup_id_x 1
		.amdhsa_system_sgpr_workgroup_id_y 1
		.amdhsa_system_sgpr_workgroup_id_z 1
		.amdhsa_system_sgpr_workgroup_info 0
		.amdhsa_system_vgpr_workitem_id 1
		.amdhsa_next_free_vgpr 109
		.amdhsa_next_free_sgpr 42
		.amdhsa_accum_offset 112
		.amdhsa_reserve_vcc 1
		.amdhsa_reserve_flat_scratch 0
		.amdhsa_float_round_mode_32 0
		.amdhsa_float_round_mode_16_64 0
		.amdhsa_float_denorm_mode_32 3
		.amdhsa_float_denorm_mode_16_64 3
		.amdhsa_dx10_clamp 1
		.amdhsa_ieee_mode 1
		.amdhsa_fp16_overflow 0
		.amdhsa_tg_split 0
		.amdhsa_exception_fp_ieee_invalid_op 0
		.amdhsa_exception_fp_denorm_src 0
		.amdhsa_exception_fp_ieee_div_zero 0
		.amdhsa_exception_fp_ieee_overflow 0
		.amdhsa_exception_fp_ieee_underflow 0
		.amdhsa_exception_fp_ieee_inexact 0
		.amdhsa_exception_int_div_zero 0
	.end_amdhsa_kernel
	.section	.text._ZL15flash_attn_tileILi256ELi256ELi16ELi2ELb1EEvPKcS1_S1_S1_S1_PKiPfP15HIP_vector_typeIfLj2EEffffjfiS5_IjLj3EEiiiiiiiiiiiliiliiiiil,"axG",@progbits,_ZL15flash_attn_tileILi256ELi256ELi16ELi2ELb1EEvPKcS1_S1_S1_S1_PKiPfP15HIP_vector_typeIfLj2EEffffjfiS5_IjLj3EEiiiiiiiiiiiliiliiiiil,comdat
.Lfunc_end65:
	.size	_ZL15flash_attn_tileILi256ELi256ELi16ELi2ELb1EEvPKcS1_S1_S1_S1_PKiPfP15HIP_vector_typeIfLj2EEffffjfiS5_IjLj3EEiiiiiiiiiiiliiliiiiil, .Lfunc_end65-_ZL15flash_attn_tileILi256ELi256ELi16ELi2ELb1EEvPKcS1_S1_S1_S1_PKiPfP15HIP_vector_typeIfLj2EEffffjfiS5_IjLj3EEiiiiiiiiiiiliiliiiiil
                                        ; -- End function
	.section	.AMDGPU.csdata,"",@progbits
; Kernel info:
; codeLenInByte = 18108
; NumSgprs: 46
; NumVgprs: 109
; NumAgprs: 0
; TotalNumVgprs: 109
; ScratchSize: 0
; MemoryBound: 0
; FloatMode: 240
; IeeeMode: 1
; LDSByteSize: 27136 bytes/workgroup (compile time only)
; SGPRBlocks: 5
; VGPRBlocks: 13
; NumSGPRsForWavesPerEU: 46
; NumVGPRsForWavesPerEU: 109
; AccumOffset: 112
; Occupancy: 2
; WaveLimiterHint : 1
; COMPUTE_PGM_RSRC2:SCRATCH_EN: 0
; COMPUTE_PGM_RSRC2:USER_SGPR: 6
; COMPUTE_PGM_RSRC2:TRAP_HANDLER: 0
; COMPUTE_PGM_RSRC2:TGID_X_EN: 1
; COMPUTE_PGM_RSRC2:TGID_Y_EN: 1
; COMPUTE_PGM_RSRC2:TGID_Z_EN: 1
; COMPUTE_PGM_RSRC2:TIDIG_COMP_CNT: 1
; COMPUTE_PGM_RSRC3_GFX90A:ACCUM_OFFSET: 27
; COMPUTE_PGM_RSRC3_GFX90A:TG_SPLIT: 0
	.section	.text._ZL15flash_attn_tileILi256ELi256ELi8ELi2ELb1EEvPKcS1_S1_S1_S1_PKiPfP15HIP_vector_typeIfLj2EEffffjfiS5_IjLj3EEiiiiiiiiiiiliiliiiiil,"axG",@progbits,_ZL15flash_attn_tileILi256ELi256ELi8ELi2ELb1EEvPKcS1_S1_S1_S1_PKiPfP15HIP_vector_typeIfLj2EEffffjfiS5_IjLj3EEiiiiiiiiiiiliiliiiiil,comdat
	.globl	_ZL15flash_attn_tileILi256ELi256ELi8ELi2ELb1EEvPKcS1_S1_S1_S1_PKiPfP15HIP_vector_typeIfLj2EEffffjfiS5_IjLj3EEiiiiiiiiiiiliiliiiiil ; -- Begin function _ZL15flash_attn_tileILi256ELi256ELi8ELi2ELb1EEvPKcS1_S1_S1_S1_PKiPfP15HIP_vector_typeIfLj2EEffffjfiS5_IjLj3EEiiiiiiiiiiiliiliiiiil
	.p2align	8
	.type	_ZL15flash_attn_tileILi256ELi256ELi8ELi2ELb1EEvPKcS1_S1_S1_S1_PKiPfP15HIP_vector_typeIfLj2EEffffjfiS5_IjLj3EEiiiiiiiiiiiliiliiiiil,@function
_ZL15flash_attn_tileILi256ELi256ELi8ELi2ELb1EEvPKcS1_S1_S1_S1_PKiPfP15HIP_vector_typeIfLj2EEffffjfiS5_IjLj3EEiiiiiiiiiiiliiliiiiil: ; @_ZL15flash_attn_tileILi256ELi256ELi8ELi2ELb1EEvPKcS1_S1_S1_S1_PKiPfP15HIP_vector_typeIfLj2EEffffjfiS5_IjLj3EEiiiiiiiiiiiliiliiiiil
; %bb.0:
	s_load_dwordx4 s[0:3], s[4:5], 0x5c
	s_load_dwordx2 s[30:31], s[4:5], 0x80
	s_load_dwordx2 s[36:37], s[4:5], 0xb8
	s_mov_b64 s[34:35], 0
	s_waitcnt lgkmcnt(0)
	s_lshr_b32 s9, s3, 31
	s_add_i32 s9, s3, s9
	s_ashr_i32 s9, s9, 1
	v_cvt_f32_u32_e32 v1, s9
	s_sub_i32 s10, 0, s9
	v_rcp_iflag_f32_e32 v1, v1
	v_mul_f32_e32 v1, 0x4f7ffffe, v1
	v_cvt_u32_f32_e32 v1, v1
	v_readfirstlane_b32 s11, v1
	s_mul_i32 s10, s10, s11
	s_mul_hi_u32 s10, s11, s10
	s_add_i32 s11, s11, s10
	s_mul_hi_u32 s10, s8, s11
	s_mul_i32 s11, s10, s9
	s_sub_i32 s11, s8, s11
	s_add_i32 s12, s10, 1
	s_sub_i32 s13, s11, s9
	s_cmp_ge_u32 s11, s9
	s_cselect_b32 s10, s12, s10
	s_cselect_b32 s11, s13, s11
	s_add_i32 s12, s10, 1
	s_cmp_ge_u32 s11, s9
	s_cselect_b32 s33, s12, s10
	s_abs_i32 s9, s31
	v_cvt_f32_u32_e32 v1, s9
	s_lshl_b32 s8, s8, 1
	s_mul_i32 s12, s33, s3
	s_sub_i32 s13, 0, s9
	v_rcp_iflag_f32_e32 v1, v1
	s_sub_i32 s28, s8, s12
	s_abs_i32 s11, s3
	s_xor_b32 s10, s3, s31
	v_mul_f32_e32 v1, 0x4f7ffffe, v1
	v_cvt_u32_f32_e32 v1, v1
	s_ashr_i32 s10, s10, 31
	v_readfirstlane_b32 s8, v1
	s_mul_i32 s13, s13, s8
	s_mul_hi_u32 s12, s8, s13
	s_add_i32 s8, s8, s12
	s_mul_hi_u32 s8, s11, s8
	s_mul_i32 s12, s8, s9
	s_sub_i32 s11, s11, s12
	s_add_i32 s13, s8, 1
	s_sub_i32 s12, s11, s9
	s_cmp_ge_u32 s11, s9
	s_cselect_b32 s8, s13, s8
	s_cselect_b32 s11, s12, s11
	s_add_i32 s12, s8, 1
	s_cmp_ge_u32 s11, s9
	s_cselect_b32 s8, s12, s8
	s_xor_b32 s8, s8, s10
	s_sub_i32 s31, s8, s10
	s_abs_i32 s29, s31
	v_cvt_f32_u32_e32 v1, s29
	s_load_dwordx16 s[8:23], s[4:5], 0x0
	v_rcp_iflag_f32_e32 v1, v1
	s_waitcnt lgkmcnt(0)
	s_cmp_eq_u64 s[14:15], 0
	v_mul_f32_e32 v1, 0x4f7ffffe, v1
	v_cvt_u32_f32_e32 v1, v1
	v_readfirstlane_b32 s38, v1
	s_cbranch_scc1 .LBB66_2
; %bb.1:
	s_abs_i32 s26, s36
	v_cvt_f32_u32_e32 v1, s26
	s_sub_i32 s35, 0, s26
	s_abs_i32 s34, s33
	s_ashr_i32 s27, s33, 31
	v_rcp_iflag_f32_e32 v1, v1
	s_load_dwordx2 s[24:25], s[4:5], 0xc8
	v_mul_f32_e32 v1, 0x4f7ffffe, v1
	v_cvt_u32_f32_e32 v1, v1
	v_readfirstlane_b32 s36, v1
	s_mul_i32 s35, s35, s36
	s_mul_hi_u32 s35, s36, s35
	s_add_i32 s36, s36, s35
	s_mul_hi_u32 s35, s34, s36
	s_mul_i32 s35, s35, s26
	s_sub_i32 s34, s34, s35
	s_sub_i32 s35, s34, s26
	s_cmp_ge_u32 s34, s26
	s_cselect_b32 s34, s35, s34
	s_sub_i32 s35, s34, s26
	s_cmp_ge_u32 s34, s26
	s_cselect_b32 s26, s35, s34
	s_xor_b32 s26, s26, s27
	s_sub_i32 s26, s26, s27
	s_ashr_i32 s27, s26, 31
	s_waitcnt lgkmcnt(0)
	s_mul_i32 s25, s26, s25
	s_mul_hi_u32 s34, s26, s24
	s_add_i32 s25, s34, s25
	s_mul_i32 s27, s27, s24
	s_add_i32 s25, s25, s27
	s_mul_i32 s26, s26, s24
	s_add_u32 s34, s14, s26
	s_addc_u32 s35, s15, s25
.LBB66_2:
	s_load_dwordx4 s[24:27], s[4:5], 0x70
	v_bfe_u32 v4, v0, 10, 10
	v_lshl_add_u32 v9, s6, 3, v4
	v_mul_hi_u32 v1, s0, v9
	v_add_u32_e32 v1, v9, v1
	s_waitcnt lgkmcnt(0)
	s_mul_i32 s14, s33, s26
	s_ashr_i32 s26, s14, 31
	s_mul_i32 s15, s28, s25
	s_add_u32 s8, s8, s14
	s_addc_u32 s9, s9, s26
	s_ashr_i32 s14, s15, 31
	v_lshrrev_b32_e32 v1, s1, v1
	s_add_u32 s8, s8, s15
	v_mul_lo_u32 v1, v1, s2
	s_addc_u32 s9, s9, s14
	v_sub_u32_e32 v5, v9, v1
	s_ashr_i32 s14, s24, 31
	v_mov_b32_e32 v1, s24
	v_alignbit_b32 v1, s14, v1, 2
	v_mad_u64_u32 v[2:3], s[0:1], v1, v5, 0
	v_mov_b32_e32 v6, v3
	s_lshr_b32 s0, s14, 2
	v_mad_u64_u32 v[6:7], s[0:1], s0, v5, v[6:7]
	v_mov_b32_e32 v3, v6
	v_and_b32_e32 v8, 0x3ff, v0
	v_lshlrev_b64 v[0:1], 2, v[2:3]
	v_mov_b32_e32 v2, s9
	v_add_co_u32_e32 v0, vcc, s8, v0
	v_addc_co_u32_e32 v1, vcc, v2, v1, vcc
	v_lshlrev_b32_e32 v2, 4, v8
	v_add_co_u32_e32 v6, vcc, v0, v2
	v_addc_co_u32_e32 v7, vcc, 0, v1, vcc
	s_ashr_i32 s0, s25, 31
	s_and_b32 s1, s25, -4
	global_load_dwordx4 v[0:3], v[6:7], off
	global_load_dwordx4 v[10:13], v[6:7], off offset:512
	v_mov_b32_e32 v14, s0
	v_add_co_u32_e32 v6, vcc, s1, v6
	v_addc_co_u32_e32 v7, vcc, v7, v14, vcc
	global_load_dwordx4 v[14:17], v[6:7], off
	global_load_dwordx4 v[18:21], v[6:7], off offset:512
	s_load_dword s0, s[4:5], 0x40
	s_mov_b32 s1, 0
	v_lshlrev_b32_e32 v7, 8, v4
	v_lshlrev_b32_e32 v6, 1, v8
	v_add_lshl_u32 v7, v6, v7, 2
	v_add_u32_e32 v7, 0x2000, v7
	s_cmp_eq_u64 s[18:19], 0
	s_waitcnt vmcnt(3) lgkmcnt(0)
	v_pk_mul_f32 v[0:1], v[0:1], s[0:1] op_sel_hi:[1,0]
	v_pk_mul_f32 v[2:3], v[2:3], s[0:1] op_sel_hi:[1,0]
	s_waitcnt vmcnt(2)
	v_pk_mul_f32 v[10:11], v[10:11], s[0:1] op_sel_hi:[1,0]
	v_pk_mul_f32 v[12:13], v[12:13], s[0:1] op_sel_hi:[1,0]
	v_cvt_f16_f32_e32 v22, v1
	v_cvt_f16_f32_e32 v23, v0
	;; [unrolled: 1-line block ×8, first 2 shown]
	s_waitcnt vmcnt(1)
	v_pk_mul_f32 v[0:1], v[14:15], s[0:1] op_sel_hi:[1,0]
	v_pk_mul_f32 v[2:3], v[16:17], s[0:1] op_sel_hi:[1,0]
	s_waitcnt vmcnt(0)
	v_pk_mul_f32 v[10:11], v[18:19], s[0:1] op_sel_hi:[1,0]
	v_pk_mul_f32 v[12:13], v[20:21], s[0:1] op_sel_hi:[1,0]
	v_cvt_f16_f32_e32 v14, v1
	v_cvt_f16_f32_e32 v15, v0
	;; [unrolled: 1-line block ×8, first 2 shown]
	v_pack_b32_f16 v1, v25, v24
	v_pack_b32_f16 v0, v23, v22
	;; [unrolled: 1-line block ×4, first 2 shown]
	ds_write2_b64 v7, v[0:1], v[2:3] offset0:64 offset1:96
	v_pack_b32_f16 v1, v17, v16
	v_pack_b32_f16 v0, v15, v14
	;; [unrolled: 1-line block ×4, first 2 shown]
	ds_write2_b64 v7, v[0:1], v[2:3] offset0:128 offset1:160
	s_waitcnt lgkmcnt(0)
	s_barrier
	s_cbranch_scc1 .LBB66_4
; %bb.3:
	s_load_dword s0, s[4:5], 0xd0
	s_waitcnt lgkmcnt(0)
	s_mul_i32 s0, s0, s33
	s_add_i32 s0, s0, s6
	s_lshl_b64 s[0:1], s[0:1], 2
	s_add_u32 s0, s18, s0
	s_addc_u32 s1, s19, s1
	s_load_dword s30, s[0:1], 0x0
.LBB66_4:
	s_lshl_b32 s6, s7, 5
	v_lshlrev_b32_e32 v25, 2, v8
	s_waitcnt lgkmcnt(0)
	s_cmp_lt_i32 s6, s30
	v_mbcnt_lo_u32_b32 v7, -1, 0
	s_cbranch_scc1 .LBB66_6
; %bb.5:
	v_mbcnt_hi_u32_b32 v15, -1, v7
	v_and_b32_e32 v0, 0x60, v15
	s_mov_b32 s0, 0xfeffffff
	s_mov_b32 s14, 0
	v_add_u32_e32 v47, 32, v0
	v_xor_b32_e32 v48, 16, v15
	v_xor_b32_e32 v46, 8, v15
	;; [unrolled: 1-line block ×5, first 2 shown]
	s_mov_b32 s1, s0
	s_mov_b64 s[8:9], 0
	s_branch .LBB66_7
.LBB66_6:
	s_mov_b64 s[8:9], -1
                                        ; implicit-def: $sgpr14
                                        ; implicit-def: $sgpr0_sgpr1
                                        ; implicit-def: $vgpr15
                                        ; implicit-def: $vgpr47
                                        ; implicit-def: $vgpr48
                                        ; implicit-def: $vgpr46
                                        ; implicit-def: $vgpr49
                                        ; implicit-def: $vgpr50
                                        ; implicit-def: $vgpr51
.LBB66_7:
	s_andn2_b64 vcc, exec, s[8:9]
	v_mov_b32_e32 v13, s14
	v_mov_b32_e32 v44, s14
	v_pk_mov_b32 v[10:11], s[0:1], s[0:1] op_sel:[0,1]
	v_mov_b32_e32 v43, s14
	v_mov_b32_e32 v12, s14
	;; [unrolled: 1-line block ×8, first 2 shown]
	s_cbranch_vccnz .LBB66_18
; %bb.8:
	s_sub_i32 s0, 0, s29
	s_mul_i32 s0, s0, s38
	s_mul_hi_u32 s0, s38, s0
	s_add_i32 s38, s38, s0
	s_load_dwordx4 s[24:27], s[4:5], 0x98
	s_load_dword s14, s[4:5], 0x54
	s_load_dwordx2 s[0:1], s[4:5], 0x8c
	s_abs_i32 s19, s28
	s_mul_hi_u32 s36, s19, s38
	s_waitcnt lgkmcnt(0)
	s_ashr_i32 s15, s26, 2
	s_ashr_i32 s26, s37, 1
	;; [unrolled: 1-line block ×4, first 2 shown]
	s_mul_i32 s25, s33, s25
	s_mul_hi_u32 s37, s33, s24
	s_add_i32 s25, s37, s25
	s_mul_i32 s37, s0, s24
	s_ashr_i32 s38, s28, 31
	s_ashr_i32 s31, s31, 31
	s_add_i32 s25, s25, s37
	s_mul_i32 s24, s33, s24
	s_add_u32 s10, s10, s24
	s_addc_u32 s11, s11, s25
	s_mul_i32 s25, s36, s29
	s_sub_i32 s19, s19, s25
	s_xor_b32 s24, s38, s31
	s_add_i32 s25, s36, 1
	s_sub_i32 s31, s19, s29
	s_cmp_ge_u32 s19, s29
	s_cselect_b32 s25, s25, s36
	s_cselect_b32 s19, s31, s19
	s_add_i32 s31, s25, 1
	s_cmp_ge_u32 s19, s29
	s_load_dwordx2 s[8:9], s[4:5], 0xa8
	s_cselect_b32 s19, s31, s25
	s_xor_b32 s19, s19, s24
	s_sub_i32 s19, s19, s24
	s_mul_i32 s1, s19, s1
	s_ashr_i32 s24, s1, 31
	s_add_u32 s10, s10, s1
	s_waitcnt lgkmcnt(0)
	s_mul_i32 s1, s33, s9
	s_mul_hi_u32 s9, s33, s8
	s_addc_u32 s11, s11, s24
	s_add_i32 s1, s9, s1
	s_mul_i32 s0, s0, s8
	s_add_i32 s1, s1, s0
	s_mul_i32 s0, s33, s8
	s_add_u32 s0, s12, s0
	s_mul_i32 s19, s19, s27
	v_lshrrev_b32_e32 v0, 4, v8
	s_addc_u32 s1, s13, s1
	s_ashr_i32 s8, s19, 31
	v_lshl_add_u32 v2, v4, 1, v0
	v_and_b32_e32 v0, 60, v25
	s_add_u32 s12, s0, s19
	v_lshlrev_b32_e32 v3, 2, v0
	s_movk_i32 s0, 0x110
	s_addc_u32 s13, s1, s8
	v_mad_u32_u24 v26, v2, s0, v3
	v_mov_b32_e32 v10, 0x2200
	v_mad_u64_u32 v[14:15], s[0:1], v5, s26, v[8:9]
	v_mov_b32_e32 v5, 0x4200
	v_lshlrev_b32_e32 v32, 2, v25
	v_mul_lo_u32 v2, s18, v2
	v_lshl_add_u32 v29, v4, 10, v10
	v_lshl_add_u32 v30, v4, 7, v5
	;; [unrolled: 1-line block ×3, first 2 shown]
	v_mul_lo_u32 v4, s15, v4
	v_lshl_add_u32 v12, s18, 4, v2
	v_lshl_add_u32 v22, s15, 3, v4
	v_mov_b32_e32 v1, 0
	v_ashrrev_i32_e32 v3, 31, v2
	v_ashrrev_i32_e32 v13, 31, v12
	;; [unrolled: 1-line block ×4, first 2 shown]
	s_add_u32 s0, s4, 0xd0
	v_mov_b32_e32 v10, 0xfeffffff
	v_add_u32_e32 v27, 0x1100, v26
	v_mul_u32_u24_e32 v28, 0x110, v8
	v_lshl_add_u32 v31, v6, 1, v30
	v_add_u32_e32 v34, 0x1000, v33
	v_lshlrev_b32_e32 v35, 2, v6
	s_addc_u32 s1, s5, 0
	v_lshlrev_b64 v[16:17], 2, v[2:3]
	v_lshlrev_b32_e32 v36, 2, v0
	v_lshlrev_b64 v[18:19], 2, v[12:13]
	v_mov_b32_e32 v37, s35
	s_mov_b32 s19, 0x3f200000
	s_mov_b32 s24, 0x3fb8aa3b
	;; [unrolled: 1-line block ×4, first 2 shown]
	v_mov_b32_e32 v38, 0xbd5c1c4e
	v_mov_b32_e32 v39, 0x3e088382
	;; [unrolled: 1-line block ×3, first 2 shown]
	v_mbcnt_hi_u32_b32 v15, -1, v7
	s_brev_b32 s27, -2
	v_lshlrev_b64 v[20:21], 2, v[4:5]
	v_lshlrev_b64 v[22:23], 2, v[22:23]
	v_mov_b32_e32 v41, 0x7f800000
	v_mov_b32_e32 v43, 0
	;; [unrolled: 1-line block ×11, first 2 shown]
	s_branch .LBB66_10
.LBB66_9:                               ;   in Loop: Header=BB66_10 Depth=1
	s_or_b64 exec, exec, s[8:9]
	v_cvt_f32_f16_e32 v5, v5
	v_bfi_b32 v45, s27, v57, v45
	v_max_f32_e32 v57, v11, v11
	s_mul_hi_i32 s9, s6, s15
	v_fmac_f32_e32 v5, s14, v45
	v_add_f32_e32 v45, 0x40051340, v5
	v_max_f32_e32 v45, v57, v45
	ds_bpermute_b32 v56, v56, v45
	s_mul_i32 s8, s6, s15
	s_lshl_b64 s[8:9], s[8:9], 2
	s_add_u32 s8, s12, s8
	s_addc_u32 s9, s13, s9
	s_waitcnt lgkmcnt(0)
	v_max_f32_e32 v56, v56, v56
	v_max_f32_e32 v45, v45, v56
	ds_bpermute_b32 v54, v54, v45
	v_mov_b32_e32 v56, s9
	s_waitcnt lgkmcnt(0)
	s_barrier
	v_max_f32_e32 v54, v54, v54
	v_max_f32_e32 v45, v45, v54
	ds_bpermute_b32 v52, v52, v45
	v_add_co_u32_e32 v54, vcc, s8, v20
	v_addc_co_u32_e32 v56, vcc, v56, v21, vcc
	s_waitcnt lgkmcnt(0)
	v_max_f32_e32 v52, v52, v52
	v_max_f32_e32 v45, v45, v52
	ds_bpermute_b32 v52, v53, v45
	v_add_co_u32_e32 v60, vcc, v54, v32
	v_addc_co_u32_e32 v61, vcc, 0, v56, vcc
	s_waitcnt lgkmcnt(0)
	v_max_f32_e32 v52, v52, v52
	v_max_f32_e32 v45, v45, v52
	v_mov_b32_e32 v52, s9
	v_add_co_u32_e32 v53, vcc, s8, v22
	v_addc_co_u32_e32 v52, vcc, v52, v23, vcc
	v_add_co_u32_e32 v62, vcc, v53, v32
	ds_bpermute_b32 v64, v55, v45
	v_addc_co_u32_e32 v63, vcc, 0, v52, vcc
	global_load_dwordx4 v[52:55], v[60:61], off
	global_load_dwordx4 v[56:59], v[62:63], off
	v_mov_b32_e32 v60, v10
	s_waitcnt lgkmcnt(0)
	v_max_f32_e32 v10, v64, v64
	v_max_f32_e32 v7, v7, v7
	;; [unrolled: 1-line block ×3, first 2 shown]
	v_mov_b32_e32 v61, v11
	v_max_f32_e32 v11, v45, v10
	v_max_f32_e32 v10, v6, v7
	v_pk_add_f32 v[4:5], v[4:5], v[10:11] neg_lo:[0,1] neg_hi:[0,1]
	v_mul_f32_e32 v6, 0x3fb8aa3b, v5
	v_fma_f32 v7, v5, s24, -v6
	v_rndne_f32_e32 v45, v6
	v_fmac_f32_e32 v7, 0x32a5705f, v5
	v_sub_f32_e32 v6, v6, v45
	v_add_f32_e32 v6, v6, v7
	v_exp_f32_e32 v6, v6
	v_cvt_i32_f32_e32 v7, v45
	v_cmp_ngt_f32_e32 vcc, s25, v5
	v_add_u32_e32 v102, 0x800, v35
	s_or_b32 s8, s6, 16
	v_ldexp_f32 v6, v6, v7
	v_mul_f32_e32 v7, 0x3fb8aa3b, v4
	v_fma_f32 v45, v4, s24, -v7
	v_rndne_f32_e32 v62, v7
	v_fmac_f32_e32 v45, 0x32a5705f, v4
	v_sub_f32_e32 v7, v7, v62
	v_add_f32_e32 v7, v7, v45
	v_exp_f32_e32 v7, v7
	v_cvt_i32_f32_e32 v45, v62
	v_cndmask_b32_e32 v6, 0, v6, vcc
	v_cmp_nlt_f32_e32 vcc, s26, v5
	v_cndmask_b32_e32 v5, v41, v6, vcc
	v_ldexp_f32 v6, v7, v45
	v_cmp_ngt_f32_e32 vcc, s25, v4
	v_cndmask_b32_e32 v6, 0, v6, vcc
	v_cmp_nlt_f32_e32 vcc, s26, v4
	v_cndmask_b32_e32 v4, v41, v6, vcc
	v_cvt_f16_f32_e32 v6, v5
	v_cvt_f16_f32_e32 v7, v4
	s_mul_hi_i32 s9, s8, s15
	s_mul_i32 s8, s8, s15
	s_lshl_b64 s[8:9], s[8:9], 2
	v_pack_b32_f16 v45, v7, v6
	v_pk_add_f32 v[6:7], v[60:61], v[10:11] neg_lo:[0,1] neg_hi:[0,1]
	v_mul_f32_e32 v60, 0x3fb8aa3b, v7
	v_fma_f32 v61, v7, s24, -v60
	v_rndne_f32_e32 v62, v60
	v_fmac_f32_e32 v61, 0x32a5705f, v7
	v_sub_f32_e32 v60, v60, v62
	v_add_f32_e32 v60, v60, v61
	v_cvt_i32_f32_e32 v61, v62
	v_mul_f32_e32 v62, 0x3fb8aa3b, v6
	v_fma_f32 v63, v6, s24, -v62
	v_rndne_f32_e32 v64, v62
	v_fmac_f32_e32 v63, 0x32a5705f, v6
	v_sub_f32_e32 v62, v62, v64
	v_exp_f32_e32 v60, v60
	v_add_f32_e32 v62, v62, v63
	v_exp_f32_e32 v62, v62
	v_cvt_i32_f32_e32 v63, v64
	v_ldexp_f32 v60, v60, v61
	v_cmp_ngt_f32_e32 vcc, s25, v7
	v_cndmask_b32_e32 v60, 0, v60, vcc
	v_ldexp_f32 v61, v62, v63
	v_cmp_ngt_f32_e32 vcc, s25, v6
	v_cndmask_b32_e32 v61, 0, v61, vcc
	v_cmp_nlt_f32_e32 vcc, s26, v6
	v_cndmask_b32_e32 v6, v41, v61, vcc
	v_cmp_nlt_f32_e32 vcc, s26, v7
	v_cvt_f16_f32_e32 v64, v6
	v_cndmask_b32_e32 v7, v41, v60, vcc
	v_cvt_f16_f32_e32 v65, v7
	ds_write_b32 v31, v45
	s_waitcnt vmcnt(1)
	ds_write_b128 v33, v[52:55]
	s_waitcnt vmcnt(0)
	ds_write_b128 v34, v[56:59]
	s_waitcnt lgkmcnt(0)
	s_barrier
	ds_read2_b64 v[52:55], v35 offset1:32
	ds_read_b128 v[56:59], v30
	v_pk_mul_f16 v66, v64, v44 op_sel_hi:[0,1]
	v_pk_mul_f16 v44, v65, v0 op_sel_hi:[0,1]
	v_pk_fma_f32 v[12:13], v[12:13], v[6:7], v[4:5]
	v_pk_mul_f16 v67, v64, v2 op_sel_hi:[0,1]
	s_waitcnt lgkmcnt(0)
	v_pk_mul_f16 v45, v52, v56 op_sel_hi:[1,0]
	v_pk_fma_f16 v70, v64, v43, v45 op_sel_hi:[0,1,1]
	v_pk_mul_f16 v43, v52, v56 op_sel:[0,1]
	v_pk_fma_f16 v52, v65, v42, v43 op_sel_hi:[0,1,1]
	v_pk_mul_f16 v42, v53, v56 op_sel_hi:[1,0]
	v_pk_mul_f16 v68, v65, v3 op_sel_hi:[0,1]
	;; [unrolled: 1-line block ×3, first 2 shown]
	ds_read_b128 v[60:63], v30 offset:16
	ds_read_b128 v[4:7], v30 offset:32
	;; [unrolled: 1-line block ×3, first 2 shown]
	v_pk_fma_f16 v24, v64, v24, v42 op_sel_hi:[0,1,1]
	v_pk_fma_f16 v53, v53, v56, v44 op_sel:[0,1,0]
	ds_read2_b64 v[42:45], v35 offset0:64 offset1:96
	v_pk_fma_f16 v64, v54, v56, v66 op_sel_hi:[1,0,1]
	v_pk_fma_f16 v65, v54, v56, v68 op_sel:[0,1,0]
	v_pk_fma_f16 v66, v55, v56, v67 op_sel_hi:[1,0,1]
	v_pk_fma_f16 v56, v55, v56, v69 op_sel:[0,1,0]
	s_waitcnt lgkmcnt(0)
	v_pk_fma_f16 v67, v42, v57, v70 op_sel_hi:[1,0,1]
	v_pk_fma_f16 v42, v42, v57, v52 op_sel:[0,1,0]
	v_pk_fma_f16 v24, v43, v57, v24 op_sel_hi:[1,0,1]
	v_pk_fma_f16 v43, v43, v57, v53 op_sel:[0,1,0]
	ds_read2_b64 v[52:55], v35 offset0:128 offset1:160
	v_pk_fma_f16 v64, v44, v57, v64 op_sel_hi:[1,0,1]
	v_pk_fma_f16 v65, v44, v57, v65 op_sel:[0,1,0]
	v_pk_fma_f16 v66, v45, v57, v66 op_sel_hi:[1,0,1]
	v_pk_fma_f16 v56, v45, v57, v56 op_sel:[0,1,0]
	s_waitcnt lgkmcnt(0)
	v_pk_fma_f16 v57, v52, v58, v67 op_sel_hi:[1,0,1]
	v_pk_fma_f16 v52, v52, v58, v42 op_sel:[0,1,0]
	;; [unrolled: 10-line block ×3, first 2 shown]
	v_pk_fma_f16 v24, v43, v59, v24 op_sel_hi:[1,0,1]
	v_pk_fma_f16 v43, v43, v59, v53 op_sel:[0,1,0]
	ds_read2_b64 v[52:55], v102 offset1:32
	v_pk_fma_f16 v58, v44, v59, v64 op_sel_hi:[1,0,1]
	v_pk_fma_f16 v64, v44, v59, v65 op_sel:[0,1,0]
	v_pk_fma_f16 v65, v45, v59, v66 op_sel_hi:[1,0,1]
	v_pk_fma_f16 v56, v45, v59, v56 op_sel:[0,1,0]
	s_waitcnt lgkmcnt(0)
	v_pk_fma_f16 v57, v52, v60, v57 op_sel_hi:[1,0,1]
	v_pk_fma_f16 v52, v52, v60, v42 op_sel:[0,1,0]
	v_pk_fma_f16 v24, v53, v60, v24 op_sel_hi:[1,0,1]
	v_pk_fma_f16 v53, v53, v60, v43 op_sel:[0,1,0]
	ds_read2_b64 v[42:45], v102 offset0:64 offset1:96
	s_add_u32 s8, s12, s8
	v_pk_fma_f16 v58, v54, v60, v58 op_sel_hi:[1,0,1]
	v_pk_fma_f16 v59, v54, v60, v64 op_sel:[0,1,0]
	v_pk_fma_f16 v64, v55, v60, v65 op_sel_hi:[1,0,1]
	v_pk_fma_f16 v56, v55, v60, v56 op_sel:[0,1,0]
	s_addc_u32 s9, s13, s9
	s_waitcnt lgkmcnt(0)
	v_pk_fma_f16 v57, v42, v61, v57 op_sel_hi:[1,0,1]
	v_pk_fma_f16 v103, v42, v61, v52 op_sel:[0,1,0]
	v_pk_fma_f16 v24, v43, v61, v24 op_sel_hi:[1,0,1]
	v_pk_fma_f16 v104, v43, v61, v53 op_sel:[0,1,0]
	;; [unrolled: 2-line block ×4, first 2 shown]
	v_mov_b32_e32 v60, s9
	v_add_co_u32_e32 v61, vcc, s8, v20
	v_addc_co_u32_e32 v92, vcc, v60, v21, vcc
	ds_read2_b64 v[52:55], v102 offset0:128 offset1:160
	v_add_co_u32_e32 v60, vcc, v61, v32
	v_addc_co_u32_e32 v61, vcc, 0, v92, vcc
	v_mov_b32_e32 v92, s9
	v_add_co_u32_e32 v93, vcc, s8, v22
	v_addc_co_u32_e32 v92, vcc, v92, v23, vcc
	v_add_u32_e32 v110, 0x1000, v35
	v_add_u32_e32 v111, 0x1800, v35
	v_add_co_u32_e32 v100, vcc, v93, v32
	s_waitcnt lgkmcnt(0)
	v_pk_fma_f16 v109, v52, v62, v57 op_sel_hi:[1,0,1]
	ds_read2_b64 v[42:45], v102 offset0:192 offset1:224
	ds_read2_b64 v[56:59], v110 offset1:32
	ds_read2_b64 v[64:67], v110 offset0:64 offset1:96
	ds_read2_b64 v[68:71], v110 offset0:128 offset1:160
	;; [unrolled: 1-line block ×3, first 2 shown]
	ds_read2_b64 v[76:79], v111 offset1:32
	ds_read2_b64 v[80:83], v111 offset0:64 offset1:96
	ds_read2_b64 v[84:87], v111 offset0:128 offset1:160
	;; [unrolled: 1-line block ×3, first 2 shown]
	s_waitcnt lgkmcnt(0)
	s_barrier
	v_addc_co_u32_e32 v101, vcc, 0, v92, vcc
	global_load_dwordx4 v[92:95], v[60:61], off
	global_load_dwordx4 v[96:99], v[100:101], off
	v_pk_fma_f16 v52, v52, v62, v103 op_sel:[0,1,0]
	v_pk_fma_f16 v24, v53, v62, v24 op_sel_hi:[1,0,1]
	v_pk_fma_f16 v53, v53, v62, v104 op_sel:[0,1,0]
	v_pk_fma_f16 v60, v54, v62, v105 op_sel_hi:[1,0,1]
	;; [unrolled: 2-line block ×37, first 2 shown]
	v_pk_fma_f16 v65, v91, v3, v42 op_sel_hi:[1,0,1]
	s_waitcnt vmcnt(1)
	ds_write_b128 v33, v[92:95]
	s_waitcnt vmcnt(0)
	ds_write_b128 v34, v[96:99]
	s_waitcnt lgkmcnt(0)
	s_barrier
	ds_read2_b64 v[4:7], v35 offset1:32
	ds_read_b128 v[42:45], v30 offset:64
	v_pk_fma_f16 v0, v87, v2, v0 op_sel:[0,1,0]
	v_pk_fma_f16 v60, v88, v3, v1 op_sel_hi:[1,0,1]
	v_pk_fma_f16 v24, v90, v3, v24 op_sel:[0,1,0]
	v_pk_fma_f16 v66, v91, v3, v0 op_sel:[0,1,0]
	ds_read_b128 v[0:3], v30 offset:80
	ds_read_b128 v[52:55], v30 offset:96
	ds_read_b128 v[56:59], v30 offset:112
	s_waitcnt lgkmcnt(3)
	v_pk_fma_f16 v67, v4, v42, v60 op_sel_hi:[1,0,1]
	v_pk_fma_f16 v4, v4, v42, v61 op_sel:[0,1,0]
	v_pk_fma_f16 v68, v5, v42, v62 op_sel_hi:[1,0,1]
	v_pk_fma_f16 v5, v5, v42, v63 op_sel:[0,1,0]
	ds_read2_b64 v[60:63], v35 offset0:64 offset1:96
	v_pk_fma_f16 v64, v6, v42, v64 op_sel_hi:[1,0,1]
	v_pk_fma_f16 v24, v6, v42, v24 op_sel:[0,1,0]
	v_pk_fma_f16 v65, v7, v42, v65 op_sel_hi:[1,0,1]
	v_pk_fma_f16 v42, v7, v42, v66 op_sel:[0,1,0]
	s_waitcnt lgkmcnt(0)
	v_pk_fma_f16 v66, v60, v43, v67 op_sel_hi:[1,0,1]
	v_pk_fma_f16 v60, v60, v43, v4 op_sel:[0,1,0]
	v_pk_fma_f16 v67, v61, v43, v68 op_sel_hi:[1,0,1]
	v_pk_fma_f16 v61, v61, v43, v5 op_sel:[0,1,0]
	ds_read2_b64 v[4:7], v35 offset0:128 offset1:160
	v_pk_fma_f16 v64, v62, v43, v64 op_sel_hi:[1,0,1]
	v_pk_fma_f16 v24, v62, v43, v24 op_sel:[0,1,0]
	v_pk_fma_f16 v65, v63, v43, v65 op_sel_hi:[1,0,1]
	v_pk_fma_f16 v42, v63, v43, v42 op_sel:[0,1,0]
	;; [unrolled: 10-line block ×3, first 2 shown]
	s_waitcnt lgkmcnt(0)
	v_pk_fma_f16 v43, v60, v45, v43 op_sel_hi:[1,0,1]
	v_pk_fma_f16 v44, v60, v45, v4 op_sel:[0,1,0]
	v_pk_fma_f16 v60, v61, v45, v66 op_sel_hi:[1,0,1]
	v_pk_fma_f16 v61, v61, v45, v5 op_sel:[0,1,0]
	ds_read2_b64 v[4:7], v102 offset1:32
	v_pk_fma_f16 v64, v62, v45, v64 op_sel_hi:[1,0,1]
	v_pk_fma_f16 v24, v62, v45, v24 op_sel:[0,1,0]
	v_pk_fma_f16 v62, v63, v45, v65 op_sel_hi:[1,0,1]
	v_pk_fma_f16 v63, v63, v45, v42 op_sel:[0,1,0]
	s_waitcnt lgkmcnt(0)
	v_pk_fma_f16 v65, v4, v0, v43 op_sel_hi:[1,0,1]
	v_pk_fma_f16 v4, v4, v0, v44 op_sel:[0,1,0]
	ds_read2_b64 v[42:45], v102 offset0:64 offset1:96
	v_pk_fma_f16 v60, v5, v0, v60 op_sel_hi:[1,0,1]
	v_pk_fma_f16 v5, v5, v0, v61 op_sel:[0,1,0]
	v_pk_fma_f16 v61, v6, v0, v64 op_sel_hi:[1,0,1]
	v_pk_fma_f16 v24, v6, v0, v24 op_sel:[0,1,0]
	v_pk_fma_f16 v62, v7, v0, v62 op_sel_hi:[1,0,1]
	v_pk_fma_f16 v0, v7, v0, v63 op_sel:[0,1,0]
	s_waitcnt lgkmcnt(0)
	v_pk_fma_f16 v63, v42, v1, v65 op_sel_hi:[1,0,1]
	v_pk_fma_f16 v42, v42, v1, v4 op_sel:[0,1,0]
	v_pk_fma_f16 v60, v43, v1, v60 op_sel_hi:[1,0,1]
	v_pk_fma_f16 v43, v43, v1, v5 op_sel:[0,1,0]
	ds_read2_b64 v[4:7], v102 offset0:128 offset1:160
	v_pk_fma_f16 v61, v44, v1, v61 op_sel_hi:[1,0,1]
	v_pk_fma_f16 v24, v44, v1, v24 op_sel:[0,1,0]
	v_pk_fma_f16 v62, v45, v1, v62 op_sel_hi:[1,0,1]
	v_pk_fma_f16 v0, v45, v1, v0 op_sel:[0,1,0]
	s_waitcnt lgkmcnt(0)
	v_pk_fma_f16 v1, v4, v2, v63 op_sel_hi:[1,0,1]
	v_pk_fma_f16 v4, v4, v2, v42 op_sel:[0,1,0]
	v_pk_fma_f16 v60, v5, v2, v60 op_sel_hi:[1,0,1]
	v_pk_fma_f16 v5, v5, v2, v43 op_sel:[0,1,0]
	ds_read2_b64 v[42:45], v102 offset0:192 offset1:224
	v_pk_fma_f16 v61, v6, v2, v61 op_sel_hi:[1,0,1]
	v_pk_fma_f16 v24, v6, v2, v24 op_sel:[0,1,0]
	v_pk_fma_f16 v62, v7, v2, v62 op_sel_hi:[1,0,1]
	v_pk_fma_f16 v0, v7, v2, v0 op_sel:[0,1,0]
	s_waitcnt lgkmcnt(0)
	v_pk_fma_f16 v1, v42, v3, v1 op_sel_hi:[1,0,1]
	v_pk_fma_f16 v2, v42, v3, v4 op_sel:[0,1,0]
	v_pk_fma_f16 v42, v43, v3, v60 op_sel_hi:[1,0,1]
	v_pk_fma_f16 v43, v43, v3, v5 op_sel:[0,1,0]
	ds_read2_b64 v[4:7], v110 offset1:32
	v_pk_fma_f16 v60, v44, v3, v61 op_sel_hi:[1,0,1]
	v_pk_fma_f16 v24, v44, v3, v24 op_sel:[0,1,0]
	v_pk_fma_f16 v44, v45, v3, v62 op_sel_hi:[1,0,1]
	v_pk_fma_f16 v45, v45, v3, v0 op_sel:[0,1,0]
	s_waitcnt lgkmcnt(0)
	v_pk_fma_f16 v61, v4, v52, v1 op_sel_hi:[1,0,1]
	v_pk_fma_f16 v4, v4, v52, v2 op_sel:[0,1,0]
	ds_read2_b64 v[0:3], v110 offset0:64 offset1:96
	v_pk_fma_f16 v42, v5, v52, v42 op_sel_hi:[1,0,1]
	v_pk_fma_f16 v5, v5, v52, v43 op_sel:[0,1,0]
	v_pk_fma_f16 v43, v6, v52, v60 op_sel_hi:[1,0,1]
	v_pk_fma_f16 v24, v6, v52, v24 op_sel:[0,1,0]
	;; [unrolled: 2-line block ×3, first 2 shown]
	s_waitcnt lgkmcnt(0)
	v_pk_fma_f16 v52, v0, v53, v61 op_sel_hi:[1,0,1]
	v_pk_fma_f16 v0, v0, v53, v4 op_sel:[0,1,0]
	v_pk_fma_f16 v42, v1, v53, v42 op_sel_hi:[1,0,1]
	v_pk_fma_f16 v1, v1, v53, v5 op_sel:[0,1,0]
	ds_read2_b64 v[4:7], v110 offset0:128 offset1:160
	v_pk_fma_f16 v43, v2, v53, v43 op_sel_hi:[1,0,1]
	v_pk_fma_f16 v24, v2, v53, v24 op_sel:[0,1,0]
	v_pk_fma_f16 v44, v3, v53, v44 op_sel_hi:[1,0,1]
	v_pk_fma_f16 v45, v3, v53, v45 op_sel:[0,1,0]
	s_waitcnt lgkmcnt(0)
	v_pk_fma_f16 v52, v4, v54, v52 op_sel_hi:[1,0,1]
	v_pk_fma_f16 v4, v4, v54, v0 op_sel:[0,1,0]
	v_pk_fma_f16 v42, v5, v54, v42 op_sel_hi:[1,0,1]
	v_pk_fma_f16 v5, v5, v54, v1 op_sel:[0,1,0]
	ds_read2_b64 v[0:3], v110 offset0:192 offset1:224
	v_pk_fma_f16 v43, v6, v54, v43 op_sel_hi:[1,0,1]
	v_pk_fma_f16 v24, v6, v54, v24 op_sel:[0,1,0]
	v_pk_fma_f16 v44, v7, v54, v44 op_sel_hi:[1,0,1]
	v_pk_fma_f16 v45, v7, v54, v45 op_sel:[0,1,0]
	s_waitcnt lgkmcnt(0)
	v_pk_fma_f16 v52, v0, v55, v52 op_sel_hi:[1,0,1]
	v_pk_fma_f16 v0, v0, v55, v4 op_sel:[0,1,0]
	v_pk_fma_f16 v42, v1, v55, v42 op_sel_hi:[1,0,1]
	v_pk_fma_f16 v1, v1, v55, v5 op_sel:[0,1,0]
	ds_read2_b64 v[4:7], v111 offset1:32
	v_pk_fma_f16 v43, v2, v55, v43 op_sel_hi:[1,0,1]
	v_pk_fma_f16 v24, v2, v55, v24 op_sel:[0,1,0]
	v_pk_fma_f16 v44, v3, v55, v44 op_sel_hi:[1,0,1]
	v_pk_fma_f16 v45, v3, v55, v45 op_sel:[0,1,0]
	s_waitcnt lgkmcnt(0)
	v_pk_fma_f16 v52, v4, v56, v52 op_sel_hi:[1,0,1]
	v_pk_fma_f16 v4, v4, v56, v0 op_sel:[0,1,0]
	v_pk_fma_f16 v42, v5, v56, v42 op_sel_hi:[1,0,1]
	v_pk_fma_f16 v5, v5, v56, v1 op_sel:[0,1,0]
	ds_read2_b64 v[0:3], v111 offset0:64 offset1:96
	v_pk_fma_f16 v43, v6, v56, v43 op_sel_hi:[1,0,1]
	v_pk_fma_f16 v24, v6, v56, v24 op_sel:[0,1,0]
	v_pk_fma_f16 v44, v7, v56, v44 op_sel_hi:[1,0,1]
	v_pk_fma_f16 v45, v7, v56, v45 op_sel:[0,1,0]
	s_waitcnt lgkmcnt(0)
	v_pk_fma_f16 v52, v0, v57, v52 op_sel_hi:[1,0,1]
	v_pk_fma_f16 v0, v0, v57, v4 op_sel:[0,1,0]
	v_pk_fma_f16 v42, v1, v57, v42 op_sel_hi:[1,0,1]
	v_pk_fma_f16 v1, v1, v57, v5 op_sel:[0,1,0]
	ds_read2_b64 v[4:7], v111 offset0:128 offset1:160
	;; [unrolled: 10-line block ×3, first 2 shown]
	s_waitcnt lgkmcnt(0)
	s_barrier
	s_load_dword s8, s[0:1], 0x4
	v_pk_fma_f16 v54, v6, v58, v43 op_sel_hi:[1,0,1]
	v_pk_fma_f16 v6, v6, v58, v24 op_sel:[0,1,0]
	v_pk_fma_f16 v55, v7, v58, v44 op_sel_hi:[1,0,1]
	v_pk_fma_f16 v7, v7, v58, v45 op_sel:[0,1,0]
	s_waitcnt lgkmcnt(0)
	s_lshl_b32 s8, s8, 5
	s_add_i32 s6, s8, s6
	v_pk_fma_f16 v43, v2, v59, v52 op_sel_hi:[1,0,1]
	v_pk_fma_f16 v42, v2, v59, v0 op_sel:[0,1,0]
	v_pk_fma_f16 v24, v3, v59, v53 op_sel_hi:[1,0,1]
	v_pk_fma_f16 v0, v3, v59, v1 op_sel:[0,1,0]
	v_pk_fma_f16 v44, v4, v59, v54 op_sel_hi:[1,0,1]
	v_pk_fma_f16 v3, v4, v59, v6 op_sel:[0,1,0]
	v_pk_fma_f16 v2, v5, v59, v55 op_sel_hi:[1,0,1]
	s_cmp_ge_i32 s6, s30
	v_pk_fma_f16 v1, v5, v59, v7 op_sel:[0,1,0]
	s_cbranch_scc1 .LBB66_18
.LBB66_10:                              ; =>This Inner Loop Header: Depth=1
	s_mul_hi_i32 s9, s6, s18
	s_mul_i32 s8, s6, s18
	s_lshl_b64 s[8:9], s[8:9], 2
	s_add_u32 s8, s10, s8
	s_addc_u32 s9, s11, s9
	v_mov_b32_e32 v4, s9
	v_add_co_u32_e32 v5, vcc, s8, v16
	v_addc_co_u32_e32 v6, vcc, v4, v17, vcc
	v_add_co_u32_e32 v4, vcc, v5, v36
	v_addc_co_u32_e32 v5, vcc, 0, v6, vcc
	v_mov_b32_e32 v6, s9
	v_add_co_u32_e32 v7, vcc, s8, v18
	v_addc_co_u32_e32 v45, vcc, v6, v19, vcc
	v_add_co_u32_e32 v6, vcc, v7, v36
	v_addc_co_u32_e32 v7, vcc, 0, v45, vcc
	global_load_dwordx4 v[46:49], v[4:5], off
	global_load_dwordx4 v[50:53], v[6:7], off
	v_mov_b32_e32 v45, 0
	s_waitcnt vmcnt(1)
	ds_write_b128 v26, v[46:49]
	s_waitcnt vmcnt(0)
	ds_write_b128 v27, v[50:53]
	s_waitcnt lgkmcnt(0)
	s_barrier
	ds_read_b128 v[48:51], v28
	ds_read_b128 v[52:55], v29
	v_mov_b32_e32 v46, 0
	ds_read_b128 v[56:59], v29 offset:512
	s_waitcnt lgkmcnt(1)
	;;#ASMSTART
	v_dot2_f32_f16 v46, v48, v52, v46
	;;#ASMEND
	;;#ASMSTART
	v_dot2_f32_f16 v46, v49, v53, v46
	;;#ASMEND
	;;#ASMSTART
	v_dot2_f32_f16 v46, v50, v54, v46
	;;#ASMEND
	;;#ASMSTART
	v_dot2_f32_f16 v46, v51, v55, v46
	;;#ASMEND
	s_waitcnt lgkmcnt(0)
	;;#ASMSTART
	v_dot2_f32_f16 v45, v48, v56, v45
	;;#ASMEND
	;;#ASMSTART
	v_dot2_f32_f16 v45, v49, v57, v45
	;;#ASMEND
	;;#ASMSTART
	v_dot2_f32_f16 v45, v50, v58, v45
	;;#ASMEND
	;;#ASMSTART
	v_dot2_f32_f16 v45, v51, v59, v45
	;;#ASMEND
	ds_read_b128 v[48:51], v28 offset:16
	ds_read_b128 v[52:55], v29 offset:16
	ds_read_b128 v[56:59], v29 offset:528
	s_waitcnt lgkmcnt(1)
	;;#ASMSTART
	v_dot2_f32_f16 v46, v48, v52, v46
	;;#ASMEND
	;;#ASMSTART
	v_dot2_f32_f16 v46, v49, v53, v46
	;;#ASMEND
	;;#ASMSTART
	v_dot2_f32_f16 v46, v50, v54, v46
	;;#ASMEND
	;;#ASMSTART
	v_dot2_f32_f16 v46, v51, v55, v46
	;;#ASMEND
	s_waitcnt lgkmcnt(0)
	;;#ASMSTART
	v_dot2_f32_f16 v45, v48, v56, v45
	;;#ASMEND
	;;#ASMSTART
	v_dot2_f32_f16 v45, v49, v57, v45
	;;#ASMEND
	;;#ASMSTART
	v_dot2_f32_f16 v45, v50, v58, v45
	;;#ASMEND
	;;#ASMSTART
	v_dot2_f32_f16 v45, v51, v59, v45
	;;#ASMEND
	ds_read_b128 v[48:51], v28 offset:32
	ds_read_b128 v[52:55], v29 offset:32
	;; [unrolled: 29-line block ×15, first 2 shown]
	ds_read_b128 v[56:59], v29 offset:752
	s_waitcnt lgkmcnt(1)
	;;#ASMSTART
	v_dot2_f32_f16 v46, v48, v52, v46
	;;#ASMEND
	;;#ASMSTART
	v_dot2_f32_f16 v46, v49, v53, v46
	;;#ASMEND
	;;#ASMSTART
	v_dot2_f32_f16 v46, v50, v54, v46
	;;#ASMEND
	;;#ASMSTART
	v_dot2_f32_f16 v46, v51, v55, v46
	;;#ASMEND
	s_waitcnt lgkmcnt(0)
	;;#ASMSTART
	v_dot2_f32_f16 v45, v48, v56, v45
	;;#ASMEND
	;;#ASMSTART
	v_dot2_f32_f16 v45, v49, v57, v45
	;;#ASMEND
	;; [unrolled: 3-line block ×4, first 2 shown]
	s_barrier
	global_load_dwordx4 v[48:51], v[4:5], off offset:256
	global_load_dwordx4 v[52:55], v[6:7], off offset:256
	s_waitcnt vmcnt(1)
	ds_write_b128 v26, v[48:51]
	s_waitcnt vmcnt(0)
	ds_write_b128 v27, v[52:55]
	s_waitcnt lgkmcnt(0)
	s_barrier
	ds_read_b128 v[4:7], v28
	ds_read_b128 v[48:51], v29 offset:256
	ds_read_b128 v[52:55], v29 offset:768
	s_waitcnt lgkmcnt(1)
	;;#ASMSTART
	v_dot2_f32_f16 v46, v4, v48, v46
	;;#ASMEND
	;;#ASMSTART
	v_dot2_f32_f16 v46, v5, v49, v46
	;;#ASMEND
	;;#ASMSTART
	v_dot2_f32_f16 v46, v6, v50, v46
	;;#ASMEND
	;;#ASMSTART
	v_dot2_f32_f16 v46, v7, v51, v46
	;;#ASMEND
	s_waitcnt lgkmcnt(0)
	;;#ASMSTART
	v_dot2_f32_f16 v45, v4, v52, v45
	;;#ASMEND
	;;#ASMSTART
	v_dot2_f32_f16 v45, v5, v53, v45
	;;#ASMEND
	;;#ASMSTART
	v_dot2_f32_f16 v45, v6, v54, v45
	;;#ASMEND
	;;#ASMSTART
	v_dot2_f32_f16 v45, v7, v55, v45
	;;#ASMEND
	ds_read_b128 v[4:7], v28 offset:16
	ds_read_b128 v[48:51], v29 offset:272
	ds_read_b128 v[52:55], v29 offset:784
	s_waitcnt lgkmcnt(1)
	;;#ASMSTART
	v_dot2_f32_f16 v46, v4, v48, v46
	;;#ASMEND
	;;#ASMSTART
	v_dot2_f32_f16 v46, v5, v49, v46
	;;#ASMEND
	;;#ASMSTART
	v_dot2_f32_f16 v46, v6, v50, v46
	;;#ASMEND
	;;#ASMSTART
	v_dot2_f32_f16 v46, v7, v51, v46
	;;#ASMEND
	s_waitcnt lgkmcnt(0)
	;;#ASMSTART
	v_dot2_f32_f16 v45, v4, v52, v45
	;;#ASMEND
	;;#ASMSTART
	v_dot2_f32_f16 v45, v5, v53, v45
	;;#ASMEND
	;;#ASMSTART
	v_dot2_f32_f16 v45, v6, v54, v45
	;;#ASMEND
	;;#ASMSTART
	v_dot2_f32_f16 v45, v7, v55, v45
	;;#ASMEND
	ds_read_b128 v[4:7], v28 offset:32
	;; [unrolled: 29-line block ×14, first 2 shown]
	ds_read_b128 v[48:51], v29 offset:480
	v_add_u32_e32 v52, s6, v14
	v_ashrrev_i32_e32 v53, 31, v52
	v_lshlrev_b64 v[56:57], 1, v[52:53]
	ds_read_b128 v[52:55], v29 offset:992
	s_waitcnt lgkmcnt(1)
	;;#ASMSTART
	v_dot2_f32_f16 v46, v4, v48, v46
	;;#ASMEND
	;;#ASMSTART
	v_dot2_f32_f16 v46, v5, v49, v46
	;;#ASMEND
	;; [unrolled: 3-line block ×4, first 2 shown]
	s_waitcnt lgkmcnt(0)
	;;#ASMSTART
	v_dot2_f32_f16 v45, v4, v52, v45
	;;#ASMEND
	;;#ASMSTART
	v_dot2_f32_f16 v45, v5, v53, v45
	;;#ASMEND
	;; [unrolled: 3-line block ×4, first 2 shown]
	ds_read_b128 v[4:7], v28 offset:240
	ds_read_b128 v[48:51], v29 offset:496
	;; [unrolled: 1-line block ×3, first 2 shown]
	s_waitcnt lgkmcnt(1)
	;;#ASMSTART
	v_dot2_f32_f16 v46, v4, v48, v46
	;;#ASMEND
	;;#ASMSTART
	v_dot2_f32_f16 v46, v5, v49, v46
	;;#ASMEND
	;; [unrolled: 3-line block ×4, first 2 shown]
	s_waitcnt lgkmcnt(0)
	;;#ASMSTART
	v_dot2_f32_f16 v45, v4, v52, v45
	;;#ASMEND
	v_add_co_u32_e32 v56, vcc, s34, v56
	;;#ASMSTART
	v_dot2_f32_f16 v45, v5, v53, v45
	;;#ASMEND
	v_addc_co_u32_e32 v57, vcc, v37, v57, vcc
	;;#ASMSTART
	v_dot2_f32_f16 v45, v6, v54, v45
	;;#ASMEND
	;;#ASMSTART
	v_dot2_f32_f16 v45, v7, v55, v45
	;;#ASMEND
	flat_load_ushort v5, v[56:57]
	v_cmp_nlt_f32_e64 s[8:9], |v46|, s19
                                        ; implicit-def: $vgpr4
	s_and_saveexec_b64 s[36:37], s[8:9]
	s_xor_b64 s[8:9], exec, s[36:37]
	s_cbranch_execz .LBB66_12
; %bb.11:                               ;   in Loop: Header=BB66_10 Depth=1
	v_add_f32_e64 v4, |v46|, |v46|
	v_mul_f32_e32 v6, 0x3fb8aa3b, v4
	v_rndne_f32_e32 v7, v6
	v_sub_f32_e32 v47, v6, v7
	v_fma_f32 v6, v4, s24, -v6
	v_fmac_f32_e32 v6, 0x32a5705f, v4
	v_add_f32_e32 v6, v47, v6
	v_cvt_i32_f32_e32 v7, v7
	v_exp_f32_e32 v6, v6
	v_cmp_ngt_f32_e32 vcc, s25, v4
	v_ldexp_f32 v6, v6, v7
	v_cndmask_b32_e32 v6, 0, v6, vcc
	v_cmp_nlt_f32_e32 vcc, s26, v4
	v_cndmask_b32_e32 v4, v41, v6, vcc
	v_add_f32_e32 v4, 1.0, v4
	v_rcp_f32_e32 v4, v4
	v_fma_f32 v4, v4, -2.0, 1.0
.LBB66_12:                              ;   in Loop: Header=BB66_10 Depth=1
	s_andn2_saveexec_b64 s[8:9], s[8:9]
; %bb.13:                               ;   in Loop: Header=BB66_10 Depth=1
	v_mul_f32_e32 v4, v46, v46
	v_mov_b32_e32 v6, 0x3ca908c9
	v_fmac_f32_e32 v6, 0xbbbac73d, v4
	v_fma_f32 v6, v4, v6, v38
	v_fma_f32 v6, v4, v6, v39
	;; [unrolled: 1-line block ×3, first 2 shown]
	v_mul_f32_e64 v6, |v46|, v6
	v_fma_f32 v4, v4, v6, |v46|
; %bb.14:                               ;   in Loop: Header=BB66_10 Depth=1
	s_or_b64 exec, exec, s[8:9]
	v_and_b32_e32 v6, 0x60, v15
	v_add_u32_e32 v47, 32, v6
	v_xor_b32_e32 v48, 16, v15
	v_cmp_lt_i32_e32 vcc, v48, v47
	v_bfi_b32 v4, s27, v4, v46
	v_cndmask_b32_e32 v6, v15, v48, vcc
	s_waitcnt vmcnt(0) lgkmcnt(0)
	v_fma_mix_f32 v4, v4, s14, v5 op_sel_hi:[0,0,1]
	v_lshlrev_b32_e32 v56, 2, v6
	v_add_f32_e32 v6, 0x40051340, v4
	v_max_f32_e32 v7, v10, v10
	v_max_f32_e32 v6, v7, v6
	ds_bpermute_b32 v7, v56, v6
	v_xor_b32_e32 v46, 8, v15
	v_cmp_lt_i32_e32 vcc, v46, v47
	v_cndmask_b32_e32 v49, v15, v46, vcc
	v_lshlrev_b32_e32 v54, 2, v49
	s_waitcnt lgkmcnt(0)
	v_max_f32_e32 v7, v7, v7
	v_max_f32_e32 v6, v6, v7
	ds_bpermute_b32 v7, v54, v6
	v_xor_b32_e32 v49, 4, v15
	v_cmp_lt_i32_e32 vcc, v49, v47
	v_cndmask_b32_e32 v50, v15, v49, vcc
	v_lshlrev_b32_e32 v52, 2, v50
	s_waitcnt lgkmcnt(0)
	;; [unrolled: 8-line block ×4, first 2 shown]
	v_max_f32_e32 v7, v7, v7
	v_max_f32_e32 v6, v6, v7
	ds_bpermute_b32 v7, v55, v6
	v_cmp_nlt_f32_e64 s[8:9], |v45|, s19
                                        ; implicit-def: $vgpr57
	s_and_saveexec_b64 s[36:37], s[8:9]
	s_xor_b64 s[8:9], exec, s[36:37]
	s_cbranch_execz .LBB66_16
; %bb.15:                               ;   in Loop: Header=BB66_10 Depth=1
	v_add_f32_e64 v57, |v45|, |v45|
	v_mul_f32_e32 v58, 0x3fb8aa3b, v57
	v_rndne_f32_e32 v59, v58
	v_sub_f32_e32 v60, v58, v59
	v_fma_f32 v58, v57, s24, -v58
	v_fmac_f32_e32 v58, 0x32a5705f, v57
	v_add_f32_e32 v58, v60, v58
	v_cvt_i32_f32_e32 v59, v59
	v_exp_f32_e32 v58, v58
	v_cmp_ngt_f32_e32 vcc, s25, v57
	v_ldexp_f32 v58, v58, v59
	v_cndmask_b32_e32 v58, 0, v58, vcc
	v_cmp_nlt_f32_e32 vcc, s26, v57
	v_cndmask_b32_e32 v57, v41, v58, vcc
	v_add_f32_e32 v57, 1.0, v57
	v_rcp_f32_e32 v57, v57
	v_fma_f32 v57, v57, -2.0, 1.0
.LBB66_16:                              ;   in Loop: Header=BB66_10 Depth=1
	s_andn2_saveexec_b64 s[8:9], s[8:9]
	s_cbranch_execz .LBB66_9
; %bb.17:                               ;   in Loop: Header=BB66_10 Depth=1
	v_mul_f32_e32 v57, v45, v45
	v_mov_b32_e32 v58, 0x3ca908c9
	v_fmac_f32_e32 v58, 0xbbbac73d, v57
	v_fma_f32 v58, v57, v58, v38
	v_fma_f32 v58, v57, v58, v39
	;; [unrolled: 1-line block ×3, first 2 shown]
	v_mul_f32_e64 v58, |v45|, v58
	v_fma_f32 v57, v57, v58, |v45|
	s_branch .LBB66_9
.LBB66_18:
	v_cmp_lt_i32_e32 vcc, v48, v47
	v_cndmask_b32_e32 v4, v15, v48, vcc
	v_lshlrev_b32_e32 v5, 2, v4
	ds_bpermute_b32 v4, v5, v12
	ds_bpermute_b32 v5, v5, v13
	v_cmp_lt_i32_e32 vcc, v46, v47
	v_cndmask_b32_e32 v6, v15, v46, vcc
	v_lshlrev_b32_e32 v7, 2, v6
	v_cmp_lt_i32_e32 vcc, v49, v47
	s_waitcnt lgkmcnt(0)
	v_pk_add_f32 v[4:5], v[12:13], v[4:5]
	ds_bpermute_b32 v6, v7, v4
	ds_bpermute_b32 v7, v7, v5
	v_cndmask_b32_e32 v12, v15, v49, vcc
	v_lshlrev_b32_e32 v12, 2, v12
	v_cmp_lt_i32_e32 vcc, v50, v47
	s_cmp_lg_u64 s[16:17], 0
	s_waitcnt lgkmcnt(0)
	v_pk_add_f32 v[4:5], v[4:5], v[6:7]
	ds_bpermute_b32 v6, v12, v4
	ds_bpermute_b32 v7, v12, v5
	v_cndmask_b32_e32 v12, v15, v50, vcc
	v_lshlrev_b32_e32 v12, 2, v12
	v_cmp_lt_i32_e32 vcc, v51, v47
	s_cselect_b64 s[0:1], -1, 0
	s_waitcnt lgkmcnt(0)
	v_pk_add_f32 v[4:5], v[4:5], v[6:7]
	ds_bpermute_b32 v6, v12, v4
	ds_bpermute_b32 v7, v12, v5
	v_cndmask_b32_e32 v12, v15, v51, vcc
	v_lshlrev_b32_e32 v12, 2, v12
	s_cmp_eq_u32 s7, 0
	s_cselect_b64 s[8:9], -1, 0
	s_waitcnt lgkmcnt(0)
	v_pk_add_f32 v[4:5], v[4:5], v[6:7]
	ds_bpermute_b32 v6, v12, v4
	ds_bpermute_b32 v7, v12, v5
	s_and_b64 s[0:1], s[8:9], s[0:1]
	s_and_b64 vcc, exec, s[0:1]
	s_waitcnt lgkmcnt(0)
	v_pk_add_f32 v[4:5], v[4:5], v[6:7]
	s_cbranch_vccz .LBB66_20
; %bb.19:
	s_ashr_i32 s29, s28, 31
	s_lshl_b64 s[0:1], s[28:29], 2
	s_add_u32 s0, s16, s0
	s_addc_u32 s1, s17, s1
	v_mov_b32_e32 v6, 0
	global_load_dwordx2 v[6:7], v6, s[0:1]
	v_max_f32_e32 v12, v11, v11
	v_max_f32_e32 v14, v10, v10
	s_mov_b32 s0, 0x3fb8aa3b
	s_mov_b32 s1, 0xc2ce8ed0
	;; [unrolled: 1-line block ×3, first 2 shown]
	v_mov_b32_e32 v15, 0x7f800000
	s_waitcnt vmcnt(0)
	v_max_f32_e32 v13, v7, v7
	v_max_f32_e32 v16, v6, v6
	;; [unrolled: 1-line block ×4, first 2 shown]
	v_pk_add_f32 v[10:11], v[10:11], v[12:13] neg_lo:[0,1] neg_hi:[0,1]
	v_mul_f32_e32 v14, 0x3fb8aa3b, v11
	v_pk_add_f32 v[6:7], v[6:7], v[12:13] neg_lo:[0,1] neg_hi:[0,1]
	v_mul_f32_e32 v16, 0x3fb8aa3b, v10
	v_fma_f32 v19, v11, s0, -v14
	v_rndne_f32_e32 v20, v14
	v_mul_f32_e32 v17, 0x3fb8aa3b, v7
	v_fma_f32 v21, v10, s0, -v16
	v_rndne_f32_e32 v22, v16
	v_fmac_f32_e32 v19, 0x32a5705f, v11
	v_sub_f32_e32 v14, v14, v20
	v_mul_f32_e32 v18, 0x3fb8aa3b, v6
	v_fma_f32 v23, v7, s0, -v17
	v_rndne_f32_e32 v26, v17
	v_fmac_f32_e32 v21, 0x32a5705f, v10
	v_sub_f32_e32 v16, v16, v22
	v_add_f32_e32 v14, v14, v19
	v_fma_f32 v27, v6, s0, -v18
	v_rndne_f32_e32 v28, v18
	v_cvt_i32_f32_e32 v20, v20
	v_fmac_f32_e32 v23, 0x32a5705f, v7
	v_sub_f32_e32 v17, v17, v26
	v_add_f32_e32 v16, v16, v21
	v_exp_f32_e32 v14, v14
	v_cvt_i32_f32_e32 v22, v22
	v_fmac_f32_e32 v27, 0x32a5705f, v6
	v_sub_f32_e32 v18, v18, v28
	v_add_f32_e32 v17, v17, v23
	v_exp_f32_e32 v16, v16
	v_cvt_i32_f32_e32 v26, v26
	v_add_f32_e32 v18, v18, v27
	v_exp_f32_e32 v17, v17
	v_cvt_i32_f32_e32 v28, v28
	v_exp_f32_e32 v18, v18
	v_ldexp_f32 v14, v14, v20
	v_cmp_ngt_f32_e32 vcc, s1, v11
	v_ldexp_f32 v16, v16, v22
	v_cndmask_b32_e32 v14, 0, v14, vcc
	v_cmp_ngt_f32_e32 vcc, s1, v10
	v_ldexp_f32 v17, v17, v26
	v_cndmask_b32_e32 v16, 0, v16, vcc
	;; [unrolled: 3-line block ×3, first 2 shown]
	v_cmp_ngt_f32_e32 vcc, s1, v6
	v_cndmask_b32_e32 v18, 0, v18, vcc
	v_cmp_nlt_f32_e32 vcc, s6, v11
	v_cndmask_b32_e32 v11, v15, v14, vcc
	v_cmp_nlt_f32_e32 vcc, s6, v10
	v_cndmask_b32_e32 v10, v15, v16, vcc
	v_cmp_nlt_f32_e32 vcc, s6, v7
	v_cndmask_b32_e32 v7, v15, v17, vcc
	v_cmp_nlt_f32_e32 vcc, s6, v6
	v_cndmask_b32_e32 v6, v15, v18, vcc
	v_cvt_f16_f32_e32 v14, v10
	v_pk_fma_f32 v[4:5], v[4:5], v[10:11], v[6:7]
	v_cvt_f16_f32_e32 v6, v11
	v_pk_mov_b32 v[10:11], v[12:13], v[12:13] op_sel:[0,1]
	v_pk_mul_f16 v43, v14, v43 op_sel_hi:[0,1]
	v_pk_mul_f16 v24, v14, v24 op_sel_hi:[0,1]
	;; [unrolled: 1-line block ×8, first 2 shown]
.LBB66_20:
	v_cmp_gt_i32_e32 vcc, s2, v9
	s_and_saveexec_b64 s[0:1], vcc
	s_cbranch_execz .LBB66_29
; %bb.21:
	s_load_dword s6, s[4:5], 0xd4
	v_mov_b32_e32 v12, 1.0
	s_waitcnt lgkmcnt(0)
	s_cmp_lg_u32 s6, 1
	s_cselect_b64 s[0:1], -1, 0
	s_cmp_eq_u32 s6, 1
	s_cselect_b64 s[4:5], -1, 0
	s_and_b64 vcc, exec, s[0:1]
	s_cbranch_vccnz .LBB66_23
; %bb.22:
	v_div_scale_f32 v6, s[8:9], v4, v4, 1.0
	v_rcp_f32_e32 v7, v6
	v_div_scale_f32 v12, vcc, 1.0, v4, 1.0
	v_fma_f32 v13, -v6, v7, 1.0
	v_fmac_f32_e32 v7, v13, v7
	v_mul_f32_e32 v13, v12, v7
	v_fma_f32 v14, -v6, v13, v12
	v_fmac_f32_e32 v13, v14, v7
	v_fma_f32 v6, -v6, v13, v12
	v_div_fmas_f32 v6, v6, v7, v13
	v_div_fixup_f32 v12, v6, v4, 1.0
.LBB66_23:
	s_mul_i32 s33, s33, s2
	v_add_u32_e32 v6, s33, v9
	v_mul_lo_u32 v6, v6, s3
	v_add_u32_e32 v6, s28, v6
	v_mul_lo_u32 v6, s6, v6
	v_add_u32_e32 v6, s7, v6
	v_cvt_f32_f16_sdwa v17, v43 dst_sel:DWORD dst_unused:UNUSED_PAD src0_sel:WORD_1
	v_cvt_f32_f16_e32 v16, v43
	v_cvt_f32_f16_sdwa v19, v24 dst_sel:DWORD dst_unused:UNUSED_PAD src0_sel:WORD_1
	v_cvt_f32_f16_e32 v18, v24
	v_cmp_eq_u32_e32 vcc, 0, v8
	v_lshl_add_u32 v8, v6, 8, v25
	v_mov_b32_e32 v9, 0
	v_lshlrev_b64 v[14:15], 2, v[8:9]
	s_and_b64 s[0:1], vcc, s[0:1]
	v_mov_b32_e32 v7, s21
	v_add_co_u32_e32 v20, vcc, s20, v14
	v_addc_co_u32_e32 v21, vcc, v7, v15, vcc
	v_pk_mul_f32 v[14:15], v[12:13], v[16:17] op_sel_hi:[0,1]
	v_pk_mul_f32 v[16:17], v[12:13], v[18:19] op_sel_hi:[0,1]
	global_store_dwordx4 v[20:21], v[14:17], off
	v_add_u32_e32 v8, 0x80, v8
	v_cvt_f32_f16_sdwa v15, v44 dst_sel:DWORD dst_unused:UNUSED_PAD src0_sel:WORD_1
	v_cvt_f32_f16_e32 v14, v44
	v_cvt_f32_f16_sdwa v17, v2 dst_sel:DWORD dst_unused:UNUSED_PAD src0_sel:WORD_1
	v_cvt_f32_f16_e32 v16, v2
	v_lshlrev_b64 v[8:9], 2, v[8:9]
	v_add_co_u32_e32 v8, vcc, s20, v8
	v_addc_co_u32_e32 v9, vcc, v7, v9, vcc
	v_pk_mul_f32 v[14:15], v[12:13], v[14:15] op_sel_hi:[0,1]
	v_pk_mul_f32 v[16:17], v[12:13], v[16:17] op_sel_hi:[0,1]
	global_store_dwordx4 v[8:9], v[14:17], off
	s_and_saveexec_b64 s[2:3], s[0:1]
	s_cbranch_execz .LBB66_25
; %bb.24:
	v_ashrrev_i32_e32 v7, 31, v6
	v_lshlrev_b64 v[8:9], 3, v[6:7]
	v_mov_b32_e32 v2, s23
	v_add_co_u32_e32 v8, vcc, s22, v8
	v_addc_co_u32_e32 v9, vcc, v2, v9, vcc
	v_mov_b32_e32 v12, v10
	v_mov_b32_e32 v13, v4
	global_store_dwordx2 v[8:9], v[12:13], off
.LBB66_25:
	s_or_b64 exec, exec, s[2:3]
	s_andn2_b64 vcc, exec, s[4:5]
	v_mov_b32_e32 v4, 1.0
	s_cbranch_vccnz .LBB66_27
; %bb.26:
	v_div_scale_f32 v2, s[2:3], v5, v5, 1.0
	v_rcp_f32_e32 v4, v2
	v_div_scale_f32 v7, vcc, 1.0, v5, 1.0
	v_fma_f32 v8, -v2, v4, 1.0
	v_fmac_f32_e32 v4, v8, v4
	v_mul_f32_e32 v8, v7, v4
	v_fma_f32 v9, -v2, v8, v7
	v_fmac_f32_e32 v8, v9, v4
	v_fma_f32 v2, -v2, v8, v7
	v_div_fmas_f32 v2, v2, v4, v8
	v_div_fixup_f32 v4, v2, v5, 1.0
.LBB66_27:
	v_add_u32_e32 v2, s6, v6
	v_cvt_f32_f16_sdwa v9, v42 dst_sel:DWORD dst_unused:UNUSED_PAD src0_sel:WORD_1
	v_cvt_f32_f16_e32 v8, v42
	v_cvt_f32_f16_sdwa v15, v0 dst_sel:DWORD dst_unused:UNUSED_PAD src0_sel:WORD_1
	v_cvt_f32_f16_e32 v14, v0
	v_lshl_add_u32 v12, v2, 8, v25
	v_mov_b32_e32 v13, 0
	v_lshlrev_b64 v[6:7], 2, v[12:13]
	v_mov_b32_e32 v10, s21
	v_add_co_u32_e32 v16, vcc, s20, v6
	v_addc_co_u32_e32 v17, vcc, v10, v7, vcc
	v_pk_mul_f32 v[6:7], v[4:5], v[8:9] op_sel_hi:[0,1]
	v_pk_mul_f32 v[8:9], v[4:5], v[14:15] op_sel_hi:[0,1]
	v_add_u32_e32 v12, 0x80, v12
	global_store_dwordx4 v[16:17], v[6:9], off
	s_nop 0
	v_lshlrev_b64 v[6:7], 2, v[12:13]
	v_cvt_f32_f16_sdwa v9, v3 dst_sel:DWORD dst_unused:UNUSED_PAD src0_sel:WORD_1
	v_cvt_f32_f16_e32 v8, v3
	v_cvt_f32_f16_sdwa v13, v1 dst_sel:DWORD dst_unused:UNUSED_PAD src0_sel:WORD_1
	v_cvt_f32_f16_e32 v12, v1
	v_add_co_u32_e32 v0, vcc, s20, v6
	v_addc_co_u32_e32 v1, vcc, v10, v7, vcc
	v_pk_mul_f32 v[6:7], v[4:5], v[8:9] op_sel_hi:[0,1]
	v_pk_mul_f32 v[8:9], v[4:5], v[12:13] op_sel_hi:[0,1]
	global_store_dwordx4 v[0:1], v[6:9], off
	s_and_b64 exec, exec, s[0:1]
	s_cbranch_execz .LBB66_29
; %bb.28:
	v_ashrrev_i32_e32 v3, 31, v2
	v_lshlrev_b64 v[0:1], 3, v[2:3]
	v_mov_b32_e32 v2, s23
	v_add_co_u32_e32 v0, vcc, s22, v0
	v_addc_co_u32_e32 v1, vcc, v2, v1, vcc
	v_mov_b32_e32 v4, v11
	global_store_dwordx2 v[0:1], v[4:5], off
.LBB66_29:
	s_endpgm
	.section	.rodata,"a",@progbits
	.p2align	6, 0x0
	.amdhsa_kernel _ZL15flash_attn_tileILi256ELi256ELi8ELi2ELb1EEvPKcS1_S1_S1_S1_PKiPfP15HIP_vector_typeIfLj2EEffffjfiS5_IjLj3EEiiiiiiiiiiiliiliiiiil
		.amdhsa_group_segment_fixed_size 17920
		.amdhsa_private_segment_fixed_size 0
		.amdhsa_kernarg_size 464
		.amdhsa_user_sgpr_count 6
		.amdhsa_user_sgpr_private_segment_buffer 1
		.amdhsa_user_sgpr_dispatch_ptr 0
		.amdhsa_user_sgpr_queue_ptr 0
		.amdhsa_user_sgpr_kernarg_segment_ptr 1
		.amdhsa_user_sgpr_dispatch_id 0
		.amdhsa_user_sgpr_flat_scratch_init 0
		.amdhsa_user_sgpr_kernarg_preload_length 0
		.amdhsa_user_sgpr_kernarg_preload_offset 0
		.amdhsa_user_sgpr_private_segment_size 0
		.amdhsa_uses_dynamic_stack 0
		.amdhsa_system_sgpr_private_segment_wavefront_offset 0
		.amdhsa_system_sgpr_workgroup_id_x 1
		.amdhsa_system_sgpr_workgroup_id_y 1
		.amdhsa_system_sgpr_workgroup_id_z 1
		.amdhsa_system_sgpr_workgroup_info 0
		.amdhsa_system_vgpr_workitem_id 1
		.amdhsa_next_free_vgpr 112
		.amdhsa_next_free_sgpr 39
		.amdhsa_accum_offset 112
		.amdhsa_reserve_vcc 1
		.amdhsa_reserve_flat_scratch 0
		.amdhsa_float_round_mode_32 0
		.amdhsa_float_round_mode_16_64 0
		.amdhsa_float_denorm_mode_32 3
		.amdhsa_float_denorm_mode_16_64 3
		.amdhsa_dx10_clamp 1
		.amdhsa_ieee_mode 1
		.amdhsa_fp16_overflow 0
		.amdhsa_tg_split 0
		.amdhsa_exception_fp_ieee_invalid_op 0
		.amdhsa_exception_fp_denorm_src 0
		.amdhsa_exception_fp_ieee_div_zero 0
		.amdhsa_exception_fp_ieee_overflow 0
		.amdhsa_exception_fp_ieee_underflow 0
		.amdhsa_exception_fp_ieee_inexact 0
		.amdhsa_exception_int_div_zero 0
	.end_amdhsa_kernel
	.section	.text._ZL15flash_attn_tileILi256ELi256ELi8ELi2ELb1EEvPKcS1_S1_S1_S1_PKiPfP15HIP_vector_typeIfLj2EEffffjfiS5_IjLj3EEiiiiiiiiiiiliiliiiiil,"axG",@progbits,_ZL15flash_attn_tileILi256ELi256ELi8ELi2ELb1EEvPKcS1_S1_S1_S1_PKiPfP15HIP_vector_typeIfLj2EEffffjfiS5_IjLj3EEiiiiiiiiiiiliiliiiiil,comdat
.Lfunc_end66:
	.size	_ZL15flash_attn_tileILi256ELi256ELi8ELi2ELb1EEvPKcS1_S1_S1_S1_PKiPfP15HIP_vector_typeIfLj2EEffffjfiS5_IjLj3EEiiiiiiiiiiiliiliiiiil, .Lfunc_end66-_ZL15flash_attn_tileILi256ELi256ELi8ELi2ELb1EEvPKcS1_S1_S1_S1_PKiPfP15HIP_vector_typeIfLj2EEffffjfiS5_IjLj3EEiiiiiiiiiiiliiliiiiil
                                        ; -- End function
	.section	.AMDGPU.csdata,"",@progbits
; Kernel info:
; codeLenInByte = 10220
; NumSgprs: 43
; NumVgprs: 112
; NumAgprs: 0
; TotalNumVgprs: 112
; ScratchSize: 0
; MemoryBound: 0
; FloatMode: 240
; IeeeMode: 1
; LDSByteSize: 17920 bytes/workgroup (compile time only)
; SGPRBlocks: 5
; VGPRBlocks: 13
; NumSGPRsForWavesPerEU: 43
; NumVGPRsForWavesPerEU: 112
; AccumOffset: 112
; Occupancy: 3
; WaveLimiterHint : 1
; COMPUTE_PGM_RSRC2:SCRATCH_EN: 0
; COMPUTE_PGM_RSRC2:USER_SGPR: 6
; COMPUTE_PGM_RSRC2:TRAP_HANDLER: 0
; COMPUTE_PGM_RSRC2:TGID_X_EN: 1
; COMPUTE_PGM_RSRC2:TGID_Y_EN: 1
; COMPUTE_PGM_RSRC2:TGID_Z_EN: 1
; COMPUTE_PGM_RSRC2:TIDIG_COMP_CNT: 1
; COMPUTE_PGM_RSRC3_GFX90A:ACCUM_OFFSET: 27
; COMPUTE_PGM_RSRC3_GFX90A:TG_SPLIT: 0
	.section	.text._ZL15flash_attn_tileILi256ELi256ELi4ELi2ELb1EEvPKcS1_S1_S1_S1_PKiPfP15HIP_vector_typeIfLj2EEffffjfiS5_IjLj3EEiiiiiiiiiiiliiliiiiil,"axG",@progbits,_ZL15flash_attn_tileILi256ELi256ELi4ELi2ELb1EEvPKcS1_S1_S1_S1_PKiPfP15HIP_vector_typeIfLj2EEffffjfiS5_IjLj3EEiiiiiiiiiiiliiliiiiil,comdat
	.globl	_ZL15flash_attn_tileILi256ELi256ELi4ELi2ELb1EEvPKcS1_S1_S1_S1_PKiPfP15HIP_vector_typeIfLj2EEffffjfiS5_IjLj3EEiiiiiiiiiiiliiliiiiil ; -- Begin function _ZL15flash_attn_tileILi256ELi256ELi4ELi2ELb1EEvPKcS1_S1_S1_S1_PKiPfP15HIP_vector_typeIfLj2EEffffjfiS5_IjLj3EEiiiiiiiiiiiliiliiiiil
	.p2align	8
	.type	_ZL15flash_attn_tileILi256ELi256ELi4ELi2ELb1EEvPKcS1_S1_S1_S1_PKiPfP15HIP_vector_typeIfLj2EEffffjfiS5_IjLj3EEiiiiiiiiiiiliiliiiiil,@function
_ZL15flash_attn_tileILi256ELi256ELi4ELi2ELb1EEvPKcS1_S1_S1_S1_PKiPfP15HIP_vector_typeIfLj2EEffffjfiS5_IjLj3EEiiiiiiiiiiiliiliiiiil: ; @_ZL15flash_attn_tileILi256ELi256ELi4ELi2ELb1EEvPKcS1_S1_S1_S1_PKiPfP15HIP_vector_typeIfLj2EEffffjfiS5_IjLj3EEiiiiiiiiiiiliiliiiiil
; %bb.0:
	s_load_dwordx4 s[0:3], s[4:5], 0x5c
	s_load_dwordx2 s[28:29], s[4:5], 0x80
	s_load_dwordx2 s[34:35], s[4:5], 0xb8
	s_mov_b64 s[30:31], 0
	s_waitcnt lgkmcnt(0)
	s_lshr_b32 s9, s3, 31
	s_add_i32 s9, s3, s9
	s_ashr_i32 s9, s9, 1
	v_cvt_f32_u32_e32 v1, s9
	s_sub_i32 s10, 0, s9
	v_rcp_iflag_f32_e32 v1, v1
	v_mul_f32_e32 v1, 0x4f7ffffe, v1
	v_cvt_u32_f32_e32 v1, v1
	v_readfirstlane_b32 s11, v1
	s_mul_i32 s10, s10, s11
	s_mul_hi_u32 s10, s11, s10
	s_add_i32 s11, s11, s10
	s_mul_hi_u32 s10, s8, s11
	s_mul_i32 s11, s10, s9
	s_sub_i32 s11, s8, s11
	s_add_i32 s12, s10, 1
	s_sub_i32 s13, s11, s9
	s_cmp_ge_u32 s11, s9
	s_cselect_b32 s10, s12, s10
	s_cselect_b32 s11, s13, s11
	s_add_i32 s12, s10, 1
	s_cmp_ge_u32 s11, s9
	s_cselect_b32 s33, s12, s10
	s_abs_i32 s9, s29
	v_cvt_f32_u32_e32 v1, s9
	s_lshl_b32 s8, s8, 1
	s_mul_i32 s12, s33, s3
	s_xor_b32 s10, s3, s29
	v_rcp_iflag_f32_e32 v1, v1
	s_sub_i32 s13, 0, s9
	s_sub_i32 s29, s8, s12
	s_abs_i32 s11, s3
	v_mul_f32_e32 v1, 0x4f7ffffe, v1
	v_cvt_u32_f32_e32 v1, v1
	s_ashr_i32 s10, s10, 31
	v_readfirstlane_b32 s8, v1
	s_mul_i32 s13, s13, s8
	s_mul_hi_u32 s12, s8, s13
	s_add_i32 s8, s8, s12
	s_mul_hi_u32 s8, s11, s8
	s_mul_i32 s12, s8, s9
	s_sub_i32 s11, s11, s12
	s_add_i32 s13, s8, 1
	s_sub_i32 s12, s11, s9
	s_cmp_ge_u32 s11, s9
	s_cselect_b32 s8, s13, s8
	s_cselect_b32 s11, s12, s11
	s_add_i32 s12, s8, 1
	s_cmp_ge_u32 s11, s9
	s_cselect_b32 s8, s12, s8
	s_xor_b32 s8, s8, s10
	s_sub_i32 s37, s8, s10
	s_abs_i32 s36, s37
	v_cvt_f32_u32_e32 v1, s36
	s_load_dwordx16 s[8:23], s[4:5], 0x0
	v_rcp_iflag_f32_e32 v1, v1
	s_waitcnt lgkmcnt(0)
	s_cmp_eq_u64 s[14:15], 0
	v_mul_f32_e32 v1, 0x4f7ffffe, v1
	v_cvt_u32_f32_e32 v1, v1
	v_readfirstlane_b32 s24, v1
	s_cbranch_scc1 .LBB67_2
; %bb.1:
	s_abs_i32 s25, s34
	v_cvt_f32_u32_e32 v1, s25
	s_sub_i32 s34, 0, s25
	s_abs_i32 s31, s33
	s_ashr_i32 s30, s33, 31
	v_rcp_iflag_f32_e32 v1, v1
	s_load_dwordx2 s[26:27], s[4:5], 0xc8
	v_mul_f32_e32 v1, 0x4f7ffffe, v1
	v_cvt_u32_f32_e32 v1, v1
	v_readfirstlane_b32 s38, v1
	s_mul_i32 s34, s34, s38
	s_mul_hi_u32 s34, s38, s34
	s_add_i32 s38, s38, s34
	s_mul_hi_u32 s34, s31, s38
	s_mul_i32 s34, s34, s25
	s_sub_i32 s31, s31, s34
	s_sub_i32 s34, s31, s25
	s_cmp_ge_u32 s31, s25
	s_cselect_b32 s31, s34, s31
	s_sub_i32 s34, s31, s25
	s_cmp_ge_u32 s31, s25
	s_cselect_b32 s25, s34, s31
	s_xor_b32 s25, s25, s30
	s_sub_i32 s25, s25, s30
	s_ashr_i32 s30, s25, 31
	s_waitcnt lgkmcnt(0)
	s_mul_i32 s27, s25, s27
	s_mul_hi_u32 s31, s25, s26
	s_add_i32 s27, s31, s27
	s_mul_i32 s30, s30, s26
	s_add_i32 s27, s27, s30
	s_mul_i32 s25, s25, s26
	s_add_u32 s30, s14, s25
	s_addc_u32 s31, s15, s27
.LBB67_2:
	s_load_dwordx4 s[40:43], s[4:5], 0x70
	v_bfe_u32 v1, v0, 10, 10
	v_lshrrev_b32_e32 v2, 1, v1
	v_lshl_add_u32 v34, s6, 2, v2
	v_mul_hi_u32 v2, s0, v34
	s_waitcnt lgkmcnt(0)
	s_mul_i32 s14, s33, s42
	s_ashr_i32 s25, s14, 31
	s_mul_i32 s15, s29, s41
	s_add_u32 s8, s8, s14
	s_addc_u32 s9, s9, s25
	s_ashr_i32 s14, s15, 31
	s_add_u32 s8, s8, s15
	s_addc_u32 s9, s9, s14
	s_ashr_i32 s14, s41, 31
	v_mov_b32_e32 v3, s41
	v_add_u32_e32 v2, v34, v2
	v_and_b32_e32 v13, 1, v1
	v_alignbit_b32 v3, s14, v3, 2
	v_lshrrev_b32_e32 v2, s1, v2
	s_lshr_b32 s15, s14, 2
	v_mul_lo_u32 v4, v3, v13
	v_mul_lo_u32 v2, v2, s2
	s_ashr_i32 s14, s40, 31
	v_mov_b32_e32 v3, s40
	v_sub_u32_e32 v2, v34, v2
	v_alignbit_b32 v3, s14, v3, 2
	v_mad_u64_u32 v[6:7], s[0:1], v3, v2, 0
	v_mul_lo_u32 v5, s15, v13
	v_mov_b32_e32 v8, v7
	s_lshr_b32 s0, s14, 2
	v_mad_u64_u32 v[8:9], s[0:1], s0, v2, v[8:9]
	v_lshlrev_b64 v[4:5], 2, v[4:5]
	v_mov_b32_e32 v7, v8
	v_and_b32_e32 v12, 0x3ff, v0
	v_mov_b32_e32 v0, s9
	v_add_co_u32_e32 v3, vcc, s8, v4
	v_addc_co_u32_e32 v0, vcc, v0, v5, vcc
	v_lshlrev_b64 v[4:5], 2, v[6:7]
	v_add_co_u32_e32 v3, vcc, v3, v4
	v_addc_co_u32_e32 v0, vcc, v0, v5, vcc
	v_lshlrev_b32_e32 v4, 4, v12
	v_add_co_u32_e32 v14, vcc, v3, v4
	v_addc_co_u32_e32 v15, vcc, 0, v0, vcc
	global_load_dwordx4 v[4:7], v[14:15], off
	global_load_dwordx4 v[8:11], v[14:15], off offset:512
	s_load_dword s0, s[4:5], 0x40
	s_mov_b32 s1, 0
	v_lshlrev_b32_e32 v0, 7, v1
	v_lshlrev_b32_e32 v3, 1, v12
	v_add_lshl_u32 v3, v3, v0, 2
	v_add_u32_e32 v3, 0x4000, v3
	s_cmp_eq_u64 s[18:19], 0
	s_waitcnt vmcnt(1) lgkmcnt(0)
	v_pk_mul_f32 v[4:5], v[4:5], s[0:1] op_sel_hi:[1,0]
	v_pk_mul_f32 v[6:7], v[6:7], s[0:1] op_sel_hi:[1,0]
	s_waitcnt vmcnt(0)
	v_pk_mul_f32 v[8:9], v[8:9], s[0:1] op_sel_hi:[1,0]
	v_pk_mul_f32 v[10:11], v[10:11], s[0:1] op_sel_hi:[1,0]
	v_cvt_f16_f32_e32 v14, v5
	v_cvt_f16_f32_e32 v4, v4
	;; [unrolled: 1-line block ×8, first 2 shown]
	v_pack_b32_f16 v5, v6, v5
	v_pack_b32_f16 v4, v4, v14
	;; [unrolled: 1-line block ×4, first 2 shown]
	ds_write2_b64 v3, v[4:5], v[6:7] offset0:128 offset1:160
	s_waitcnt lgkmcnt(0)
	s_barrier
	s_cbranch_scc1 .LBB67_4
; %bb.3:
	s_load_dword s0, s[4:5], 0xd0
	s_waitcnt lgkmcnt(0)
	s_mul_i32 s0, s0, s33
	s_add_i32 s0, s0, s6
	s_lshl_b64 s[0:1], s[0:1], 2
	s_add_u32 s0, s18, s0
	s_addc_u32 s1, s19, s1
	s_load_dword s28, s[0:1], 0x0
.LBB67_4:
	s_lshl_b32 s6, s7, 6
	v_lshlrev_b32_e32 v35, 2, v12
	s_waitcnt lgkmcnt(0)
	s_cmp_lt_i32 s6, s28
	v_mbcnt_lo_u32_b32 v3, -1, 0
	s_cbranch_scc1 .LBB67_6
; %bb.5:
	v_mbcnt_hi_u32_b32 v15, -1, v3
	v_and_b32_e32 v4, 0x60, v15
	s_mov_b32 s8, 0
	v_add_u32_e32 v58, 32, v4
	v_xor_b32_e32 v55, 16, v15
	v_xor_b32_e32 v56, 8, v15
	;; [unrolled: 1-line block ×5, first 2 shown]
	s_mov_b64 s[0:1], 0
	s_mov_b32 s9, 0xfeffffff
	s_branch .LBB67_7
.LBB67_6:
	s_mov_b64 s[0:1], -1
                                        ; implicit-def: $sgpr9
                                        ; implicit-def: $sgpr8
                                        ; implicit-def: $vgpr15
                                        ; implicit-def: $vgpr58
                                        ; implicit-def: $vgpr55
                                        ; implicit-def: $vgpr56
                                        ; implicit-def: $vgpr57
                                        ; implicit-def: $vgpr59
                                        ; implicit-def: $vgpr60
.LBB67_7:
	s_andn2_b64 vcc, exec, s[0:1]
	v_mov_b32_e32 v32, s9
	v_mov_b32_e32 v61, s8
	;; [unrolled: 1-line block ×6, first 2 shown]
	s_cbranch_vccnz .LBB67_19
; %bb.8:
	s_sub_i32 s0, 0, s36
	s_mul_i32 s0, s0, s24
	s_mul_hi_u32 s0, s24, s0
	s_abs_i32 s19, s29
	s_add_i32 s24, s24, s0
	s_mul_hi_u32 s34, s19, s24
	s_load_dwordx4 s[24:27], s[4:5], 0x98
	s_load_dword s14, s[4:5], 0x54
	s_load_dwordx2 s[0:1], s[4:5], 0x8c
	s_ashr_i32 s38, s29, 31
	s_ashr_i32 s37, s37, 31
	s_waitcnt lgkmcnt(0)
	s_ashr_i32 s15, s26, 2
	s_ashr_i32 s26, s35, 1
	;; [unrolled: 1-line block ×4, first 2 shown]
	s_mul_i32 s25, s33, s25
	s_mul_hi_u32 s35, s33, s24
	s_add_i32 s25, s35, s25
	s_mul_i32 s35, s0, s24
	s_add_i32 s25, s25, s35
	s_mul_i32 s24, s33, s24
	s_add_u32 s10, s10, s24
	s_addc_u32 s11, s11, s25
	s_mul_i32 s25, s34, s36
	s_sub_i32 s19, s19, s25
	s_xor_b32 s24, s38, s37
	s_add_i32 s25, s34, 1
	s_sub_i32 s35, s19, s36
	s_cmp_ge_u32 s19, s36
	s_cselect_b32 s25, s25, s34
	s_cselect_b32 s19, s35, s19
	s_add_i32 s34, s25, 1
	s_cmp_ge_u32 s19, s36
	s_load_dwordx2 s[8:9], s[4:5], 0xa8
	s_cselect_b32 s19, s34, s25
	s_xor_b32 s19, s19, s24
	s_sub_i32 s19, s19, s24
	s_mul_i32 s1, s19, s1
	s_ashr_i32 s24, s1, 31
	s_add_u32 s10, s10, s1
	s_waitcnt lgkmcnt(0)
	s_mul_i32 s1, s33, s9
	s_mul_hi_u32 s9, s33, s8
	s_addc_u32 s11, s11, s24
	s_add_i32 s1, s9, s1
	s_mul_i32 s0, s0, s8
	s_add_i32 s1, s1, s0
	s_mul_i32 s0, s33, s8
	s_add_u32 s0, s12, s0
	s_mul_i32 s19, s19, s27
	v_lshrrev_b32_e32 v4, 4, v12
	s_addc_u32 s1, s13, s1
	s_ashr_i32 s8, s19, 31
	v_lshl_add_u32 v5, v1, 1, v4
	v_and_b32_e32 v4, 60, v35
	s_add_u32 s12, s0, s19
	v_lshlrev_b32_e32 v6, 2, v4
	s_movk_i32 s0, 0x110
	s_addc_u32 s13, s1, s8
	v_mad_u32_u24 v33, v5, s0, v6
	v_mul_lo_u32 v6, s18, v5
	s_lshl_b32 s0, s18, 4
	v_add_u32_e32 v18, s0, v6
	v_add_u32_e32 v20, s0, v18
	;; [unrolled: 1-line block ×3, first 2 shown]
	v_mad_u64_u32 v[14:15], s[0:1], v2, s26, v[12:13]
	v_add_u32_e32 v41, 0x5400, v0
	v_mul_lo_u32 v0, s15, v1
	s_lshl_b32 s0, s15, 3
	v_add_u32_e32 v26, s0, v0
	v_add_u32_e32 v28, s0, v26
	v_lshlrev_b32_e32 v5, 9, v1
	v_add_u32_e32 v30, s0, v28
	v_ashrrev_i32_e32 v7, 31, v6
	v_ashrrev_i32_e32 v19, 31, v18
	;; [unrolled: 1-line block ×4, first 2 shown]
	v_lshl_add_u32 v43, v35, 2, v5
	v_ashrrev_i32_e32 v1, 31, v0
	v_ashrrev_i32_e32 v27, 31, v26
	;; [unrolled: 1-line block ×4, first 2 shown]
	s_add_u32 s0, s4, 0xd0
	v_mov_b32_e32 v8, 0
	v_add_u32_e32 v36, 0x1100, v33
	v_add_u32_e32 v37, 0x2200, v33
	;; [unrolled: 1-line block ×4, first 2 shown]
	v_mul_u32_u24_e32 v40, 0x110, v12
	v_lshl_add_u32 v42, v12, 1, v41
	v_add_u32_e32 v44, 0x1000, v43
	v_add_u32_e32 v45, 0x2000, v43
	;; [unrolled: 1-line block ×3, first 2 shown]
	v_lshlrev_b32_e32 v47, 3, v12
	s_addc_u32 s1, s5, 0
	v_mov_b32_e32 v11, 0xfeffffff
	v_lshlrev_b64 v[16:17], 2, v[6:7]
	v_lshlrev_b32_e32 v48, 2, v4
	v_lshlrev_b64 v[18:19], 2, v[18:19]
	v_lshlrev_b64 v[20:21], 2, v[20:21]
	;; [unrolled: 1-line block ×3, first 2 shown]
	s_mov_b32 s19, 0x3f200000
	s_mov_b32 s24, 0x3fb8aa3b
	;; [unrolled: 1-line block ×4, first 2 shown]
	v_mov_b32_e32 v49, 0xbd5c1c4e
	v_mov_b32_e32 v50, 0x3e088382
	;; [unrolled: 1-line block ×3, first 2 shown]
	s_brev_b32 s27, -2
	v_mbcnt_hi_u32_b32 v15, -1, v3
	v_lshlrev_b64 v[24:25], 2, v[0:1]
	v_lshlrev_b64 v[26:27], 2, v[26:27]
	v_lshlrev_b64 v[28:29], 2, v[28:29]
	v_lshlrev_b64 v[30:31], 2, v[30:31]
	v_mov_b32_e32 v52, 0x7f800000
	v_mov_b32_e32 v9, 0
	;; [unrolled: 1-line block ×5, first 2 shown]
.LBB67_9:                               ; =>This Inner Loop Header: Depth=1
	s_mul_hi_i32 s9, s6, s18
	s_mul_i32 s8, s6, s18
	s_lshl_b64 s[8:9], s[8:9], 2
	s_add_u32 s8, s10, s8
	s_addc_u32 s9, s11, s9
	v_mov_b32_e32 v0, s9
	v_add_co_u32_e32 v1, vcc, s8, v16
	v_addc_co_u32_e32 v2, vcc, v0, v17, vcc
	v_add_co_u32_e32 v0, vcc, v1, v48
	v_addc_co_u32_e32 v1, vcc, 0, v2, vcc
	v_mov_b32_e32 v2, s9
	v_add_co_u32_e32 v3, vcc, s8, v18
	v_addc_co_u32_e32 v4, vcc, v2, v19, vcc
	v_add_co_u32_e32 v2, vcc, v3, v48
	v_addc_co_u32_e32 v3, vcc, 0, v4, vcc
	;; [unrolled: 5-line block ×3, first 2 shown]
	v_mov_b32_e32 v6, s9
	v_add_co_u32_e32 v7, vcc, s8, v22
	v_addc_co_u32_e32 v32, vcc, v6, v23, vcc
	v_add_co_u32_e32 v6, vcc, v7, v48
	global_load_dwordx4 v[56:59], v[0:1], off
	global_load_dwordx4 v[60:63], v[2:3], off
	v_addc_co_u32_e32 v7, vcc, 0, v32, vcc
	global_load_dwordx4 v[64:67], v[4:5], off
	global_load_dwordx4 v[68:71], v[6:7], off
	v_mov_b32_e32 v32, 0
	v_mov_b32_e32 v55, 0
	s_waitcnt vmcnt(3)
	ds_write_b128 v33, v[56:59]
	s_waitcnt vmcnt(2)
	ds_write_b128 v36, v[60:63]
	;; [unrolled: 2-line block ×4, first 2 shown]
	s_waitcnt lgkmcnt(0)
	s_barrier
	ds_read_b128 v[56:59], v40
	ds_read_b128 v[60:63], v39
	ds_read_b128 v[64:67], v40 offset:8704
	s_waitcnt lgkmcnt(1)
	;;#ASMSTART
	v_dot2_f32_f16 v32, v56, v60, v32
	;;#ASMEND
	;;#ASMSTART
	v_dot2_f32_f16 v32, v57, v61, v32
	;;#ASMEND
	;;#ASMSTART
	v_dot2_f32_f16 v32, v58, v62, v32
	;;#ASMEND
	;;#ASMSTART
	v_dot2_f32_f16 v32, v59, v63, v32
	;;#ASMEND
	s_waitcnt lgkmcnt(0)
	;;#ASMSTART
	v_dot2_f32_f16 v55, v64, v60, v55
	;;#ASMEND
	;;#ASMSTART
	v_dot2_f32_f16 v55, v65, v61, v55
	;;#ASMEND
	;;#ASMSTART
	v_dot2_f32_f16 v55, v66, v62, v55
	;;#ASMEND
	;;#ASMSTART
	v_dot2_f32_f16 v55, v67, v63, v55
	;;#ASMEND
	ds_read_b128 v[56:59], v40 offset:16
	ds_read_b128 v[60:63], v39 offset:16
	ds_read_b128 v[64:67], v40 offset:8720
	s_waitcnt lgkmcnt(1)
	;;#ASMSTART
	v_dot2_f32_f16 v32, v56, v60, v32
	;;#ASMEND
	;;#ASMSTART
	v_dot2_f32_f16 v32, v57, v61, v32
	;;#ASMEND
	;;#ASMSTART
	v_dot2_f32_f16 v32, v58, v62, v32
	;;#ASMEND
	;;#ASMSTART
	v_dot2_f32_f16 v32, v59, v63, v32
	;;#ASMEND
	s_waitcnt lgkmcnt(0)
	;;#ASMSTART
	v_dot2_f32_f16 v55, v64, v60, v55
	;;#ASMEND
	;;#ASMSTART
	v_dot2_f32_f16 v55, v65, v61, v55
	;;#ASMEND
	;;#ASMSTART
	v_dot2_f32_f16 v55, v66, v62, v55
	;;#ASMEND
	;;#ASMSTART
	v_dot2_f32_f16 v55, v67, v63, v55
	;;#ASMEND
	ds_read_b128 v[56:59], v40 offset:32
	ds_read_b128 v[60:63], v39 offset:32
	;; [unrolled: 29-line block ×15, first 2 shown]
	ds_read_b128 v[64:67], v40 offset:8944
	s_waitcnt lgkmcnt(1)
	;;#ASMSTART
	v_dot2_f32_f16 v32, v56, v60, v32
	;;#ASMEND
	;;#ASMSTART
	v_dot2_f32_f16 v32, v57, v61, v32
	;;#ASMEND
	;; [unrolled: 3-line block ×4, first 2 shown]
	s_waitcnt lgkmcnt(0)
	;;#ASMSTART
	v_dot2_f32_f16 v55, v64, v60, v55
	;;#ASMEND
	;;#ASMSTART
	v_dot2_f32_f16 v55, v65, v61, v55
	;;#ASMEND
	;; [unrolled: 3-line block ×4, first 2 shown]
	s_barrier
	global_load_dwordx4 v[56:59], v[0:1], off offset:256
	global_load_dwordx4 v[60:63], v[2:3], off offset:256
	global_load_dwordx4 v[64:67], v[4:5], off offset:256
	global_load_dwordx4 v[68:71], v[6:7], off offset:256
	s_waitcnt vmcnt(3)
	ds_write_b128 v33, v[56:59]
	s_waitcnt vmcnt(2)
	ds_write_b128 v36, v[60:63]
	s_waitcnt vmcnt(1)
	ds_write_b128 v37, v[64:67]
	s_waitcnt vmcnt(0)
	ds_write_b128 v38, v[68:71]
	s_waitcnt lgkmcnt(0)
	s_barrier
	ds_read_b128 v[0:3], v40
	ds_read_b128 v[4:7], v39 offset:256
	ds_read_b128 v[56:59], v40 offset:8704
	s_waitcnt lgkmcnt(1)
	;;#ASMSTART
	v_dot2_f32_f16 v32, v0, v4, v32
	;;#ASMEND
	;;#ASMSTART
	v_dot2_f32_f16 v32, v1, v5, v32
	;;#ASMEND
	;;#ASMSTART
	v_dot2_f32_f16 v32, v2, v6, v32
	;;#ASMEND
	;;#ASMSTART
	v_dot2_f32_f16 v32, v3, v7, v32
	;;#ASMEND
	s_waitcnt lgkmcnt(0)
	;;#ASMSTART
	v_dot2_f32_f16 v55, v56, v4, v55
	;;#ASMEND
	;;#ASMSTART
	v_dot2_f32_f16 v55, v57, v5, v55
	;;#ASMEND
	;;#ASMSTART
	v_dot2_f32_f16 v55, v58, v6, v55
	;;#ASMEND
	;;#ASMSTART
	v_dot2_f32_f16 v55, v59, v7, v55
	;;#ASMEND
	ds_read_b128 v[0:3], v40 offset:16
	ds_read_b128 v[4:7], v39 offset:272
	ds_read_b128 v[56:59], v40 offset:8720
	s_waitcnt lgkmcnt(1)
	;;#ASMSTART
	v_dot2_f32_f16 v32, v0, v4, v32
	;;#ASMEND
	;;#ASMSTART
	v_dot2_f32_f16 v32, v1, v5, v32
	;;#ASMEND
	;;#ASMSTART
	v_dot2_f32_f16 v32, v2, v6, v32
	;;#ASMEND
	;;#ASMSTART
	v_dot2_f32_f16 v32, v3, v7, v32
	;;#ASMEND
	s_waitcnt lgkmcnt(0)
	;;#ASMSTART
	v_dot2_f32_f16 v55, v56, v4, v55
	;;#ASMEND
	;;#ASMSTART
	v_dot2_f32_f16 v55, v57, v5, v55
	;;#ASMEND
	;;#ASMSTART
	v_dot2_f32_f16 v55, v58, v6, v55
	;;#ASMEND
	;;#ASMSTART
	v_dot2_f32_f16 v55, v59, v7, v55
	;;#ASMEND
	ds_read_b128 v[0:3], v40 offset:32
	;; [unrolled: 29-line block ×15, first 2 shown]
	ds_read_b128 v[4:7], v39 offset:496
	ds_read_b128 v[56:59], v40 offset:8944
	s_waitcnt lgkmcnt(1)
	;;#ASMSTART
	v_dot2_f32_f16 v32, v0, v4, v32
	;;#ASMEND
	;;#ASMSTART
	v_dot2_f32_f16 v32, v1, v5, v32
	;;#ASMEND
	;; [unrolled: 3-line block ×4, first 2 shown]
	s_waitcnt lgkmcnt(0)
	;;#ASMSTART
	v_dot2_f32_f16 v55, v56, v4, v55
	;;#ASMEND
	;;#ASMSTART
	v_dot2_f32_f16 v55, v57, v5, v55
	;;#ASMEND
	;; [unrolled: 3-line block ×3, first 2 shown]
	v_cmp_nlt_f32_e64 s[8:9], |v32|, s19
	;;#ASMSTART
	v_dot2_f32_f16 v55, v59, v7, v55
	;;#ASMEND
                                        ; implicit-def: $vgpr3
	s_and_saveexec_b64 s[34:35], s[8:9]
	s_xor_b64 s[8:9], exec, s[34:35]
	s_cbranch_execz .LBB67_11
; %bb.10:                               ;   in Loop: Header=BB67_9 Depth=1
	v_add_f32_e64 v0, |v32|, |v32|
	v_mul_f32_e32 v1, 0x3fb8aa3b, v0
	v_rndne_f32_e32 v2, v1
	v_sub_f32_e32 v3, v1, v2
	v_fma_f32 v1, v0, s24, -v1
	v_fmac_f32_e32 v1, 0x32a5705f, v0
	v_add_f32_e32 v1, v3, v1
	v_cvt_i32_f32_e32 v2, v2
	v_exp_f32_e32 v1, v1
	v_cmp_ngt_f32_e32 vcc, s25, v0
	v_ldexp_f32 v1, v1, v2
	v_cndmask_b32_e32 v1, 0, v1, vcc
	v_cmp_nlt_f32_e32 vcc, s26, v0
	v_cndmask_b32_e32 v0, v52, v1, vcc
	v_add_f32_e32 v0, 1.0, v0
	v_rcp_f32_e32 v0, v0
	v_fma_f32 v3, v0, -2.0, 1.0
.LBB67_11:                              ;   in Loop: Header=BB67_9 Depth=1
	s_andn2_saveexec_b64 s[8:9], s[8:9]
; %bb.12:                               ;   in Loop: Header=BB67_9 Depth=1
	v_mul_f32_e32 v0, v32, v32
	v_mov_b32_e32 v1, 0x3ca908c9
	v_fmac_f32_e32 v1, 0xbbbac73d, v0
	v_fma_f32 v1, v0, v1, v49
	v_fma_f32 v1, v0, v1, v50
	v_fma_f32 v1, v0, v1, v51
	v_mul_f32_e64 v1, |v32|, v1
	v_fma_f32 v3, v0, v1, |v32|
; %bb.13:                               ;   in Loop: Header=BB67_9 Depth=1
	s_or_b64 exec, exec, s[8:9]
	v_add_u32_e32 v0, s6, v14
	v_ashrrev_i32_e32 v1, 31, v0
	v_lshlrev_b64 v[0:1], 1, v[0:1]
	v_mov_b32_e32 v2, s31
	v_add_co_u32_e32 v0, vcc, s30, v0
	v_addc_co_u32_e32 v1, vcc, v2, v1, vcc
	flat_load_ushort v2, v[0:1]
	v_cmp_nlt_f32_e64 s[8:9], |v55|, s19
                                        ; implicit-def: $vgpr4
	s_and_saveexec_b64 s[34:35], s[8:9]
	s_xor_b64 s[8:9], exec, s[34:35]
	s_cbranch_execz .LBB67_15
; %bb.14:                               ;   in Loop: Header=BB67_9 Depth=1
	v_add_f32_e64 v4, |v55|, |v55|
	v_mul_f32_e32 v5, 0x3fb8aa3b, v4
	v_rndne_f32_e32 v6, v5
	v_sub_f32_e32 v7, v5, v6
	v_fma_f32 v5, v4, s24, -v5
	v_fmac_f32_e32 v5, 0x32a5705f, v4
	v_add_f32_e32 v5, v7, v5
	v_cvt_i32_f32_e32 v6, v6
	v_exp_f32_e32 v5, v5
	v_cmp_ngt_f32_e32 vcc, s25, v4
	v_ldexp_f32 v5, v5, v6
	v_cndmask_b32_e32 v5, 0, v5, vcc
	v_cmp_nlt_f32_e32 vcc, s26, v4
	v_cndmask_b32_e32 v4, v52, v5, vcc
	v_add_f32_e32 v4, 1.0, v4
	v_rcp_f32_e32 v4, v4
	v_fma_f32 v4, v4, -2.0, 1.0
.LBB67_15:                              ;   in Loop: Header=BB67_9 Depth=1
	s_andn2_saveexec_b64 s[8:9], s[8:9]
; %bb.16:                               ;   in Loop: Header=BB67_9 Depth=1
	v_mul_f32_e32 v4, v55, v55
	v_mov_b32_e32 v5, 0x3ca908c9
	v_fmac_f32_e32 v5, 0xbbbac73d, v4
	v_fma_f32 v5, v4, v5, v49
	v_fma_f32 v5, v4, v5, v50
	;; [unrolled: 1-line block ×3, first 2 shown]
	v_mul_f32_e64 v5, |v55|, v5
	v_fma_f32 v4, v4, v5, |v55|
; %bb.17:                               ;   in Loop: Header=BB67_9 Depth=1
	s_or_b64 exec, exec, s[8:9]
	flat_load_ushort v0, v[0:1] offset:64
	v_bfi_b32 v1, s27, v3, v32
	v_bfi_b32 v3, s27, v4, v55
	v_and_b32_e32 v4, 0x60, v15
	v_xor_b32_e32 v55, 16, v15
	s_mul_hi_i32 s9, s6, s15
	s_mul_i32 s8, s6, s15
	v_add_u32_e32 v58, 32, v4
	v_xor_b32_e32 v56, 8, v15
	s_lshl_b64 s[8:9], s[8:9], 2
	v_cmp_lt_i32_e32 vcc, v55, v58
	s_waitcnt vmcnt(0) lgkmcnt(0)
	v_fma_mix_f32 v74, v1, s14, v2 op_sel_hi:[0,0,1]
	v_cndmask_b32_e32 v2, v15, v55, vcc
	v_cmp_lt_i32_e32 vcc, v56, v58
	s_add_u32 s8, s12, s8
	v_cndmask_b32_e32 v4, v15, v56, vcc
	s_addc_u32 s9, s13, s9
	v_lshlrev_b32_e32 v32, 2, v4
	v_mov_b32_e32 v4, s9
	v_add_co_u32_e32 v59, vcc, s8, v24
	v_addc_co_u32_e32 v4, vcc, v4, v25, vcc
	v_mov_b32_e32 v5, s9
	v_add_co_u32_e32 v62, vcc, s8, v26
	v_addc_co_u32_e32 v5, vcc, v5, v27, vcc
	;; [unrolled: 3-line block ×3, first 2 shown]
	v_mov_b32_e32 v7, s9
	v_add_co_u32_e32 v65, vcc, s8, v30
	v_lshlrev_b32_e32 v150, 2, v35
	v_addc_co_u32_e32 v7, vcc, v7, v31, vcc
	v_add_co_u32_e32 v60, vcc, v59, v150
	v_addc_co_u32_e32 v61, vcc, 0, v4, vcc
	v_add_f32_e32 v1, 0x40051340, v74
	v_add_co_u32_e32 v62, vcc, v62, v150
	v_lshlrev_b32_e32 v2, 2, v2
	v_addc_co_u32_e32 v63, vcc, 0, v5, vcc
	v_add_co_u32_e32 v70, vcc, v64, v150
	v_addc_co_u32_e32 v71, vcc, 0, v6, vcc
	v_add_co_u32_e32 v72, vcc, v65, v150
	s_barrier
	v_addc_co_u32_e32 v73, vcc, 0, v7, vcc
	v_xor_b32_e32 v57, 4, v15
	v_cmp_lt_i32_e32 vcc, v57, v58
	v_add_u32_e32 v158, 0x800, v47
	v_add_u32_e32 v159, 0x1000, v47
	;; [unrolled: 1-line block ×3, first 2 shown]
	s_or_b32 s8, s6, 32
	s_mul_hi_i32 s9, s8, s15
	s_mul_i32 s8, s8, s15
	s_lshl_b64 s[8:9], s[8:9], 2
	s_add_u32 s8, s12, s8
	s_addc_u32 s9, s13, s9
	v_add_u32_e32 v162, 0x2000, v47
	v_add_u32_e32 v163, 0x2800, v47
	;; [unrolled: 1-line block ×4, first 2 shown]
	v_fma_mix_f32 v75, v3, s14, v0 op_sel_hi:[0,0,1]
	v_add_f32_e32 v0, 0x40051340, v75
	v_max3_f32 v59, v11, v1, v0
	ds_bpermute_b32 v64, v2, v59
	global_load_dwordx4 v[0:3], v[60:61], off
	global_load_dwordx4 v[4:7], v[62:63], off
	s_waitcnt lgkmcnt(0)
	v_max_f32_e32 v60, v64, v64
	global_load_dwordx4 v[62:65], v[70:71], off
	global_load_dwordx4 v[66:69], v[72:73], off
	v_max_f32_e32 v59, v59, v60
	ds_bpermute_b32 v32, v32, v59
	v_cndmask_b32_e32 v60, v15, v57, vcc
	v_lshlrev_b32_e32 v60, 2, v60
	s_waitcnt lgkmcnt(0)
	v_max_f32_e32 v32, v32, v32
	v_max_f32_e32 v32, v59, v32
	ds_bpermute_b32 v60, v60, v32
	v_xor_b32_e32 v59, 2, v15
	v_cmp_lt_i32_e32 vcc, v59, v58
	v_cndmask_b32_e32 v61, v15, v59, vcc
	v_lshlrev_b32_e32 v61, 2, v61
	s_waitcnt lgkmcnt(0)
	v_max_f32_e32 v60, v60, v60
	v_max_f32_e32 v32, v32, v60
	ds_bpermute_b32 v61, v61, v32
	v_xor_b32_e32 v60, 1, v15
	v_cmp_lt_i32_e32 vcc, v60, v58
	v_cndmask_b32_e32 v70, v15, v60, vcc
	v_lshlrev_b32_e32 v70, 2, v70
	s_waitcnt lgkmcnt(0)
	v_max_f32_e32 v61, v61, v61
	v_max_f32_e32 v32, v32, v61
	ds_bpermute_b32 v61, v70, v32
	s_waitcnt lgkmcnt(0)
	v_max_f32_e32 v61, v61, v61
	v_max_f32_e32 v32, v32, v61
	v_sub_f32_e32 v61, v74, v32
	v_sub_f32_e32 v70, v75, v32
	v_mul_f32_e32 v71, 0x3fb8aa3b, v61
	v_mul_f32_e32 v72, 0x3fb8aa3b, v70
	v_fma_f32 v74, v61, s24, -v71
	v_rndne_f32_e32 v75, v71
	v_fma_f32 v76, v70, s24, -v72
	v_rndne_f32_e32 v77, v72
	v_fmac_f32_e32 v74, 0x32a5705f, v61
	v_sub_f32_e32 v71, v71, v75
	v_fmac_f32_e32 v76, 0x32a5705f, v70
	v_sub_f32_e32 v72, v72, v77
	v_add_f32_e32 v71, v71, v74
	v_cvt_i32_f32_e32 v75, v75
	v_add_f32_e32 v72, v72, v76
	v_exp_f32_e32 v71, v71
	v_cvt_i32_f32_e32 v77, v77
	v_exp_f32_e32 v72, v72
	v_sub_f32_e32 v11, v11, v32
	v_mul_f32_e32 v73, 0x3fb8aa3b, v11
	v_fma_f32 v78, v11, s24, -v73
	v_rndne_f32_e32 v79, v73
	v_ldexp_f32 v71, v71, v75
	v_cmp_ngt_f32_e32 vcc, s25, v61
	v_fmac_f32_e32 v78, 0x32a5705f, v11
	v_sub_f32_e32 v73, v73, v79
	v_ldexp_f32 v72, v72, v77
	v_cndmask_b32_e32 v71, 0, v71, vcc
	v_cmp_ngt_f32_e32 vcc, s25, v70
	v_add_f32_e32 v73, v73, v78
	v_cndmask_b32_e32 v72, 0, v72, vcc
	v_cmp_nlt_f32_e32 vcc, s26, v61
	v_cvt_i32_f32_e32 v79, v79
	v_exp_f32_e32 v73, v73
	v_cndmask_b32_e32 v61, v52, v71, vcc
	v_cmp_nlt_f32_e32 vcc, s26, v70
	v_cvt_f16_f32_e32 v71, v61
	v_cndmask_b32_e32 v70, v52, v72, vcc
	v_add_f32_e32 v61, v61, v70
	v_cvt_f16_f32_e32 v70, v70
	v_ldexp_f32 v72, v73, v79
	v_cmp_ngt_f32_e32 vcc, s25, v11
	v_cndmask_b32_e32 v72, 0, v72, vcc
	v_cmp_nlt_f32_e32 vcc, s26, v11
	v_cndmask_b32_e32 v11, v52, v72, vcc
	v_cvt_f16_f32_e32 v74, v11
	v_fmac_f32_e32 v61, v10, v11
	ds_write_b16 v42, v71
	ds_write_b16 v42, v70 offset:64
	s_waitcnt vmcnt(3)
	ds_write_b128 v43, v[0:3]
	s_waitcnt vmcnt(2)
	ds_write_b128 v44, v[4:7]
	;; [unrolled: 2-line block ×4, first 2 shown]
	s_waitcnt lgkmcnt(0)
	s_barrier
	ds_read2_b64 v[62:65], v47 offset1:32
	ds_read_b128 v[66:69], v41
	v_pk_mul_f16 v75, v74, v9 op_sel_hi:[0,1]
	v_pk_mul_f16 v76, v74, v8 op_sel_hi:[0,1]
	ds_read_b128 v[8:11], v41 offset:16
	ds_read_b128 v[4:7], v41 offset:32
	;; [unrolled: 1-line block ×3, first 2 shown]
	ds_read2_b64 v[70:73], v47 offset0:64 offset1:96
	s_waitcnt lgkmcnt(4)
	v_pk_mul_f16 v62, v62, v66 op_sel_hi:[1,0]
	v_pk_fma_f16 v54, v54, v74, v62 op_sel_hi:[1,0,1]
	v_pk_mul_f16 v62, v63, v66 op_sel_hi:[1,0]
	v_pk_fma_f16 v53, v53, v74, v62 op_sel_hi:[1,0,1]
	v_pk_fma_f16 v74, v64, v66, v75 op_sel_hi:[1,0,1]
	;; [unrolled: 1-line block ×3, first 2 shown]
	ds_read2_b64 v[62:65], v47 offset0:128 offset1:160
	s_waitcnt lgkmcnt(1)
	v_pk_fma_f16 v54, v70, v66, v54 op_sel:[0,1,0]
	v_pk_fma_f16 v53, v71, v66, v53 op_sel:[0,1,0]
	;; [unrolled: 1-line block ×4, first 2 shown]
	ds_read2_b64 v[70:73], v47 offset0:192 offset1:224
	s_waitcnt lgkmcnt(1)
	v_pk_fma_f16 v54, v62, v67, v54 op_sel_hi:[1,0,1]
	v_pk_fma_f16 v53, v63, v67, v53 op_sel_hi:[1,0,1]
	;; [unrolled: 1-line block ×4, first 2 shown]
	ds_read2_b64 v[62:65], v158 offset1:32
	s_waitcnt lgkmcnt(1)
	v_pk_fma_f16 v54, v70, v67, v54 op_sel:[0,1,0]
	v_pk_fma_f16 v53, v71, v67, v53 op_sel:[0,1,0]
	;; [unrolled: 1-line block ×4, first 2 shown]
	ds_read2_b64 v[70:73], v158 offset0:64 offset1:96
	s_waitcnt lgkmcnt(1)
	v_pk_fma_f16 v54, v62, v68, v54 op_sel_hi:[1,0,1]
	v_pk_fma_f16 v53, v63, v68, v53 op_sel_hi:[1,0,1]
	;; [unrolled: 1-line block ×4, first 2 shown]
	ds_read2_b64 v[62:65], v158 offset0:128 offset1:160
	s_waitcnt lgkmcnt(1)
	v_pk_fma_f16 v54, v70, v68, v54 op_sel:[0,1,0]
	v_pk_fma_f16 v53, v71, v68, v53 op_sel:[0,1,0]
	v_pk_fma_f16 v67, v72, v68, v67 op_sel:[0,1,0]
	v_pk_fma_f16 v66, v73, v68, v66 op_sel:[0,1,0]
	ds_read2_b64 v[70:73], v158 offset0:192 offset1:224
	s_waitcnt lgkmcnt(1)
	v_pk_fma_f16 v54, v62, v69, v54 op_sel_hi:[1,0,1]
	v_pk_fma_f16 v53, v63, v69, v53 op_sel_hi:[1,0,1]
	;; [unrolled: 1-line block ×4, first 2 shown]
	ds_read2_b64 v[62:65], v159 offset1:32
	s_waitcnt lgkmcnt(1)
	v_pk_fma_f16 v54, v70, v69, v54 op_sel:[0,1,0]
	v_pk_fma_f16 v53, v71, v69, v53 op_sel:[0,1,0]
	;; [unrolled: 1-line block ×4, first 2 shown]
	ds_read2_b64 v[66:69], v159 offset0:64 offset1:96
	s_waitcnt lgkmcnt(1)
	v_pk_fma_f16 v54, v62, v8, v54 op_sel_hi:[1,0,1]
	v_pk_fma_f16 v53, v63, v8, v53 op_sel_hi:[1,0,1]
	v_pk_fma_f16 v70, v64, v8, v70 op_sel_hi:[1,0,1]
	v_pk_fma_f16 v71, v65, v8, v71 op_sel_hi:[1,0,1]
	ds_read2_b64 v[62:65], v159 offset0:128 offset1:160
	s_waitcnt lgkmcnt(1)
	v_pk_fma_f16 v54, v66, v8, v54 op_sel:[0,1,0]
	v_pk_fma_f16 v53, v67, v8, v53 op_sel:[0,1,0]
	;; [unrolled: 1-line block ×4, first 2 shown]
	ds_read2_b64 v[66:69], v159 offset0:192 offset1:224
	s_waitcnt lgkmcnt(1)
	v_pk_fma_f16 v54, v62, v9, v54 op_sel_hi:[1,0,1]
	v_pk_fma_f16 v53, v63, v9, v53 op_sel_hi:[1,0,1]
	;; [unrolled: 1-line block ×4, first 2 shown]
	ds_read2_b64 v[62:65], v160 offset1:32
	s_waitcnt lgkmcnt(1)
	v_pk_fma_f16 v54, v66, v9, v54 op_sel:[0,1,0]
	v_pk_fma_f16 v53, v67, v9, v53 op_sel:[0,1,0]
	;; [unrolled: 1-line block ×4, first 2 shown]
	v_mov_b32_e32 v8, s9
	v_add_co_u32_e32 v9, vcc, s8, v24
	s_waitcnt lgkmcnt(0)
	v_pk_fma_f16 v54, v62, v10, v54 op_sel_hi:[1,0,1]
	v_addc_co_u32_e32 v62, vcc, v8, v25, vcc
	v_add_co_u32_e32 v8, vcc, v9, v150
	v_addc_co_u32_e32 v9, vcc, 0, v62, vcc
	v_pk_fma_f16 v53, v63, v10, v53 op_sel_hi:[1,0,1]
	v_mov_b32_e32 v62, s9
	v_add_co_u32_e32 v63, vcc, s8, v26
	v_addc_co_u32_e32 v142, vcc, v62, v27, vcc
	v_add_co_u32_e32 v62, vcc, v63, v150
	v_addc_co_u32_e32 v63, vcc, 0, v142, vcc
	v_pk_fma_f16 v64, v64, v10, v66 op_sel_hi:[1,0,1]
	ds_read2_b64 v[66:69], v160 offset0:64 offset1:96
	ds_read2_b64 v[70:73], v160 offset0:128 offset1:160
	ds_read2_b64 v[74:77], v160 offset0:192 offset1:224
	ds_read2_b64 v[78:81], v162 offset1:32
	ds_read2_b64 v[82:85], v162 offset0:64 offset1:96
	ds_read2_b64 v[86:89], v162 offset0:128 offset1:160
	ds_read2_b64 v[90:93], v162 offset0:192 offset1:224
	ds_read2_b64 v[94:97], v163 offset1:32
	;; [unrolled: 4-line block ×4, first 2 shown]
	ds_read2_b64 v[130:133], v165 offset0:64 offset1:96
	ds_read2_b64 v[134:137], v165 offset0:128 offset1:160
	;; [unrolled: 1-line block ×3, first 2 shown]
	s_waitcnt lgkmcnt(0)
	s_barrier
	global_load_dwordx4 v[142:145], v[8:9], off
	global_load_dwordx4 v[146:149], v[62:63], off
	v_mov_b32_e32 v8, s9
	v_add_co_u32_e32 v9, vcc, s8, v28
	v_addc_co_u32_e32 v62, vcc, v8, v29, vcc
	v_add_co_u32_e32 v8, vcc, v9, v150
	v_addc_co_u32_e32 v9, vcc, 0, v62, vcc
	v_mov_b32_e32 v62, s9
	v_add_co_u32_e32 v63, vcc, s8, v30
	v_addc_co_u32_e32 v151, vcc, v62, v31, vcc
	v_add_co_u32_e32 v62, vcc, v63, v150
	v_addc_co_u32_e32 v63, vcc, 0, v151, vcc
	global_load_dwordx4 v[150:153], v[8:9], off
	global_load_dwordx4 v[154:157], v[62:63], off
	v_pk_fma_f16 v8, v65, v10, v161 op_sel_hi:[1,0,1]
	v_pk_fma_f16 v9, v66, v10, v54 op_sel:[0,1,0]
	v_pk_fma_f16 v53, v67, v10, v53 op_sel:[0,1,0]
	v_pk_fma_f16 v54, v68, v10, v64 op_sel:[0,1,0]
	v_pk_fma_f16 v8, v69, v10, v8 op_sel:[0,1,0]
	v_pk_fma_f16 v9, v70, v11, v9 op_sel_hi:[1,0,1]
	v_pk_fma_f16 v10, v71, v11, v53 op_sel_hi:[1,0,1]
	v_pk_fma_f16 v53, v72, v11, v54 op_sel_hi:[1,0,1]
	v_pk_fma_f16 v8, v73, v11, v8 op_sel_hi:[1,0,1]
	v_pk_fma_f16 v9, v74, v11, v9 op_sel:[0,1,0]
	v_pk_fma_f16 v10, v75, v11, v10 op_sel:[0,1,0]
	v_pk_fma_f16 v53, v76, v11, v53 op_sel:[0,1,0]
	v_pk_fma_f16 v8, v77, v11, v8 op_sel:[0,1,0]
	v_pk_fma_f16 v9, v78, v4, v9 op_sel_hi:[1,0,1]
	v_pk_fma_f16 v10, v79, v4, v10 op_sel_hi:[1,0,1]
	v_pk_fma_f16 v11, v80, v4, v53 op_sel_hi:[1,0,1]
	;; [unrolled: 8-line block ×8, first 2 shown]
	v_pk_fma_f16 v0, v129, v2, v0 op_sel_hi:[1,0,1]
	v_pk_fma_f16 v4, v131, v2, v4 op_sel:[0,1,0]
	v_pk_fma_f16 v5, v132, v2, v5 op_sel:[0,1,0]
	;; [unrolled: 1-line block ×4, first 2 shown]
	v_pk_fma_f16 v2, v135, v3, v4 op_sel_hi:[1,0,1]
	v_pk_fma_f16 v4, v136, v3, v5 op_sel_hi:[1,0,1]
	v_pk_fma_f16 v74, v140, v3, v4 op_sel:[0,1,0]
	s_waitcnt vmcnt(3)
	ds_write_b128 v43, v[142:145]
	s_waitcnt vmcnt(2)
	ds_write_b128 v44, v[146:149]
	;; [unrolled: 2-line block ×4, first 2 shown]
	s_waitcnt lgkmcnt(0)
	s_barrier
	ds_read2_b64 v[4:7], v47 offset1:32
	ds_read_b128 v[8:11], v41 offset:64
	v_pk_fma_f16 v1, v134, v3, v1 op_sel_hi:[1,0,1]
	v_pk_fma_f16 v0, v137, v3, v0 op_sel_hi:[1,0,1]
	v_pk_fma_f16 v53, v138, v3, v1 op_sel:[0,1,0]
	v_pk_fma_f16 v54, v139, v3, v2 op_sel:[0,1,0]
	;; [unrolled: 1-line block ×3, first 2 shown]
	ds_read_b128 v[62:65], v41 offset:80
	ds_read_b128 v[66:69], v41 offset:96
	;; [unrolled: 1-line block ×3, first 2 shown]
	ds_read2_b64 v[70:73], v47 offset0:64 offset1:96
	s_waitcnt lgkmcnt(4)
	v_pk_fma_f16 v53, v4, v8, v53 op_sel_hi:[1,0,1]
	v_pk_fma_f16 v54, v5, v8, v54 op_sel_hi:[1,0,1]
	;; [unrolled: 1-line block ×4, first 2 shown]
	ds_read2_b64 v[4:7], v47 offset0:128 offset1:160
	s_waitcnt lgkmcnt(1)
	v_pk_fma_f16 v53, v70, v8, v53 op_sel:[0,1,0]
	v_pk_fma_f16 v54, v71, v8, v54 op_sel:[0,1,0]
	;; [unrolled: 1-line block ×4, first 2 shown]
	ds_read2_b64 v[70:73], v47 offset0:192 offset1:224
	s_waitcnt lgkmcnt(1)
	v_pk_fma_f16 v53, v4, v9, v53 op_sel_hi:[1,0,1]
	v_pk_fma_f16 v54, v5, v9, v54 op_sel_hi:[1,0,1]
	;; [unrolled: 1-line block ×4, first 2 shown]
	ds_read2_b64 v[4:7], v158 offset1:32
	s_waitcnt lgkmcnt(1)
	v_pk_fma_f16 v53, v70, v9, v53 op_sel:[0,1,0]
	v_pk_fma_f16 v54, v71, v9, v54 op_sel:[0,1,0]
	;; [unrolled: 1-line block ×4, first 2 shown]
	ds_read2_b64 v[70:73], v158 offset0:64 offset1:96
	s_waitcnt lgkmcnt(1)
	v_pk_fma_f16 v9, v4, v10, v53 op_sel_hi:[1,0,1]
	v_pk_fma_f16 v53, v5, v10, v54 op_sel_hi:[1,0,1]
	;; [unrolled: 1-line block ×4, first 2 shown]
	ds_read2_b64 v[4:7], v158 offset0:128 offset1:160
	s_waitcnt lgkmcnt(1)
	v_pk_fma_f16 v9, v70, v10, v9 op_sel:[0,1,0]
	v_pk_fma_f16 v53, v71, v10, v53 op_sel:[0,1,0]
	;; [unrolled: 1-line block ×4, first 2 shown]
	ds_read2_b64 v[70:73], v158 offset0:192 offset1:224
	s_waitcnt lgkmcnt(1)
	v_pk_fma_f16 v9, v4, v11, v9 op_sel_hi:[1,0,1]
	v_pk_fma_f16 v10, v5, v11, v53 op_sel_hi:[1,0,1]
	;; [unrolled: 1-line block ×4, first 2 shown]
	ds_read2_b64 v[4:7], v159 offset1:32
	s_waitcnt lgkmcnt(1)
	v_pk_fma_f16 v9, v70, v11, v9 op_sel:[0,1,0]
	v_pk_fma_f16 v54, v71, v11, v10 op_sel:[0,1,0]
	v_pk_fma_f16 v53, v72, v11, v53 op_sel:[0,1,0]
	v_pk_fma_f16 v70, v73, v11, v8 op_sel:[0,1,0]
	s_waitcnt lgkmcnt(0)
	v_pk_fma_f16 v71, v4, v62, v9 op_sel_hi:[1,0,1]
	ds_read2_b64 v[8:11], v159 offset0:64 offset1:96
	v_pk_fma_f16 v54, v5, v62, v54 op_sel_hi:[1,0,1]
	v_pk_fma_f16 v53, v6, v62, v53 op_sel_hi:[1,0,1]
	v_pk_fma_f16 v70, v7, v62, v70 op_sel_hi:[1,0,1]
	ds_read2_b64 v[4:7], v159 offset0:128 offset1:160
	s_waitcnt lgkmcnt(1)
	v_pk_fma_f16 v8, v8, v62, v71 op_sel:[0,1,0]
	v_pk_fma_f16 v54, v9, v62, v54 op_sel:[0,1,0]
	v_pk_fma_f16 v53, v10, v62, v53 op_sel:[0,1,0]
	v_pk_fma_f16 v62, v11, v62, v70 op_sel:[0,1,0]
	s_waitcnt lgkmcnt(0)
	v_pk_fma_f16 v70, v4, v63, v8 op_sel_hi:[1,0,1]
	ds_read2_b64 v[8:11], v159 offset0:192 offset1:224
	v_pk_fma_f16 v54, v5, v63, v54 op_sel_hi:[1,0,1]
	v_pk_fma_f16 v53, v6, v63, v53 op_sel_hi:[1,0,1]
	v_pk_fma_f16 v62, v7, v63, v62 op_sel_hi:[1,0,1]
	ds_read2_b64 v[4:7], v160 offset1:32
	s_waitcnt lgkmcnt(1)
	v_pk_fma_f16 v8, v8, v63, v70 op_sel:[0,1,0]
	v_pk_fma_f16 v54, v9, v63, v54 op_sel:[0,1,0]
	v_pk_fma_f16 v53, v10, v63, v53 op_sel:[0,1,0]
	v_pk_fma_f16 v62, v11, v63, v62 op_sel:[0,1,0]
	s_waitcnt lgkmcnt(0)
	v_pk_fma_f16 v63, v4, v64, v8 op_sel_hi:[1,0,1]
	ds_read2_b64 v[8:11], v160 offset0:64 offset1:96
	v_pk_fma_f16 v54, v5, v64, v54 op_sel_hi:[1,0,1]
	v_pk_fma_f16 v53, v6, v64, v53 op_sel_hi:[1,0,1]
	v_pk_fma_f16 v62, v7, v64, v62 op_sel_hi:[1,0,1]
	ds_read2_b64 v[4:7], v160 offset0:128 offset1:160
	s_waitcnt lgkmcnt(1)
	v_pk_fma_f16 v8, v8, v64, v63 op_sel:[0,1,0]
	v_pk_fma_f16 v54, v9, v64, v54 op_sel:[0,1,0]
	v_pk_fma_f16 v53, v10, v64, v53 op_sel:[0,1,0]
	v_pk_fma_f16 v62, v11, v64, v62 op_sel:[0,1,0]
	s_waitcnt lgkmcnt(0)
	v_pk_fma_f16 v63, v4, v65, v8 op_sel_hi:[1,0,1]
	ds_read2_b64 v[8:11], v160 offset0:192 offset1:224
	v_pk_fma_f16 v54, v5, v65, v54 op_sel_hi:[1,0,1]
	v_pk_fma_f16 v53, v6, v65, v53 op_sel_hi:[1,0,1]
	v_pk_fma_f16 v62, v7, v65, v62 op_sel_hi:[1,0,1]
	;; [unrolled: 24-line block ×5, first 2 shown]
	ds_read2_b64 v[4:7], v165 offset1:32
	s_waitcnt lgkmcnt(1)
	v_pk_fma_f16 v8, v8, v1, v62 op_sel:[0,1,0]
	v_pk_fma_f16 v54, v9, v1, v54 op_sel:[0,1,0]
	;; [unrolled: 1-line block ×4, first 2 shown]
	s_waitcnt lgkmcnt(0)
	v_pk_fma_f16 v1, v4, v2, v8 op_sel_hi:[1,0,1]
	ds_read2_b64 v[8:11], v165 offset0:64 offset1:96
	v_pk_fma_f16 v54, v5, v2, v54 op_sel_hi:[1,0,1]
	v_pk_fma_f16 v53, v6, v2, v53 op_sel_hi:[1,0,1]
	;; [unrolled: 1-line block ×3, first 2 shown]
	ds_read2_b64 v[4:7], v165 offset0:128 offset1:160
	s_waitcnt lgkmcnt(1)
	v_pk_fma_f16 v1, v8, v2, v1 op_sel:[0,1,0]
	v_pk_fma_f16 v8, v9, v2, v54 op_sel:[0,1,0]
	;; [unrolled: 1-line block ×4, first 2 shown]
	s_waitcnt lgkmcnt(0)
	v_pk_fma_f16 v1, v4, v3, v1 op_sel_hi:[1,0,1]
	v_pk_fma_f16 v2, v5, v3, v8 op_sel_hi:[1,0,1]
	;; [unrolled: 1-line block ×3, first 2 shown]
	ds_read2_b64 v[8:11], v165 offset0:192 offset1:224
	s_waitcnt lgkmcnt(0)
	s_barrier
	s_load_dword s8, s[0:1], 0x4
	v_pk_fma_f16 v0, v7, v3, v0 op_sel_hi:[1,0,1]
	v_pk_fma_f16 v54, v8, v3, v1 op_sel:[0,1,0]
	v_pk_fma_f16 v53, v9, v3, v2 op_sel:[0,1,0]
	v_pk_fma_f16 v9, v10, v3, v4 op_sel:[0,1,0]
	s_waitcnt lgkmcnt(0)
	s_lshl_b32 s8, s8, 6
	s_add_i32 s6, s8, s6
	s_cmp_lt_i32 s6, s28
	v_pk_fma_f16 v8, v11, v3, v0 op_sel:[0,1,0]
	s_cbranch_scc0 .LBB67_19
; %bb.18:                               ;   in Loop: Header=BB67_9 Depth=1
	v_mov_b32_e32 v11, v32
	v_mov_b32_e32 v10, v61
	s_branch .LBB67_9
.LBB67_19:
	v_cmp_lt_i32_e32 vcc, v55, v58
	v_cndmask_b32_e32 v0, v15, v55, vcc
	v_lshlrev_b32_e32 v0, 2, v0
	ds_bpermute_b32 v0, v0, v61
	v_cmp_lt_i32_e32 vcc, v56, v58
	v_cndmask_b32_e32 v1, v15, v56, vcc
	v_lshlrev_b32_e32 v1, 2, v1
	v_cmp_lt_i32_e32 vcc, v57, v58
	s_waitcnt lgkmcnt(0)
	v_add_f32_e32 v0, v61, v0
	ds_bpermute_b32 v1, v1, v0
	v_cndmask_b32_e32 v2, v15, v57, vcc
	v_lshlrev_b32_e32 v2, 2, v2
	v_cmp_lt_i32_e32 vcc, v59, v58
	s_cmp_eq_u64 s[16:17], 0
	s_waitcnt lgkmcnt(0)
	v_add_f32_e32 v0, v0, v1
	ds_bpermute_b32 v1, v2, v0
	v_cndmask_b32_e32 v2, v15, v59, vcc
	v_lshlrev_b32_e32 v2, 2, v2
	v_cmp_lt_i32_e32 vcc, v60, v58
	s_cselect_b64 s[0:1], -1, 0
	s_waitcnt lgkmcnt(0)
	v_add_f32_e32 v0, v0, v1
	ds_bpermute_b32 v1, v2, v0
	v_cndmask_b32_e32 v2, v15, v60, vcc
	v_lshlrev_b32_e32 v2, 2, v2
	s_cmp_lg_u32 s7, 0
	s_cselect_b64 s[8:9], -1, 0
	s_waitcnt lgkmcnt(0)
	v_add_f32_e32 v0, v0, v1
	ds_bpermute_b32 v1, v2, v0
	s_or_b64 s[0:1], s[8:9], s[0:1]
	s_and_b64 vcc, exec, s[0:1]
	s_waitcnt lgkmcnt(0)
	v_add_f32_e32 v33, v0, v1
	s_cbranch_vccnz .LBB67_22
; %bb.20:
	v_add_u32_e32 v0, s29, v13
	v_ashrrev_i32_e32 v1, 31, v0
	v_lshlrev_b64 v[0:1], 2, v[0:1]
	v_mov_b32_e32 v2, s17
	v_add_co_u32_e32 v0, vcc, s16, v0
	v_addc_co_u32_e32 v1, vcc, v2, v1, vcc
	global_load_dword v1, v[0:1], off
	v_max_f32_e32 v0, v32, v32
	s_mov_b32 s0, 0x3fb8aa3b
	s_mov_b32 s1, 0xc2ce8ed0
	s_waitcnt vmcnt(0)
	v_max_f32_e32 v2, v1, v1
	v_max_f32_e32 v0, v0, v2
	v_sub_f32_e32 v2, v32, v0
	v_sub_f32_e32 v1, v1, v0
	v_mul_f32_e32 v3, 0x3fb8aa3b, v2
	v_mul_f32_e32 v4, 0x3fb8aa3b, v1
	v_fma_f32 v5, v2, s0, -v3
	v_rndne_f32_e32 v6, v3
	v_fma_f32 v7, v1, s0, -v4
	v_rndne_f32_e32 v10, v4
	v_fmac_f32_e32 v5, 0x32a5705f, v2
	v_sub_f32_e32 v3, v3, v6
	v_fmac_f32_e32 v7, 0x32a5705f, v1
	v_sub_f32_e32 v4, v4, v10
	v_add_f32_e32 v3, v3, v5
	v_cvt_i32_f32_e32 v6, v6
	v_add_f32_e32 v4, v4, v7
	v_exp_f32_e32 v3, v3
	v_cvt_i32_f32_e32 v10, v10
	v_exp_f32_e32 v4, v4
	v_cmp_ngt_f32_e32 vcc, s1, v2
	v_ldexp_f32 v3, v3, v6
	s_mov_b32 s0, 0x42b17218
	v_ldexp_f32 v4, v4, v10
	v_cndmask_b32_e32 v3, 0, v3, vcc
	v_cmp_ngt_f32_e32 vcc, s1, v1
	v_mov_b32_e32 v5, 0x7f800000
	v_cndmask_b32_e32 v4, 0, v4, vcc
	v_cmp_nlt_f32_e32 vcc, s0, v2
	v_cndmask_b32_e32 v2, v5, v3, vcc
	v_cvt_f16_f32_e32 v3, v2
	v_cmp_nlt_f32_e32 vcc, s0, v1
	v_cndmask_b32_e32 v1, v5, v4, vcc
	v_fmac_f32_e32 v1, v33, v2
	v_pk_mul_f16 v54, v3, v54 op_sel_hi:[0,1]
	v_pk_mul_f16 v53, v3, v53 op_sel_hi:[0,1]
	;; [unrolled: 1-line block ×4, first 2 shown]
	v_pk_mov_b32 v[32:33], v[0:1], v[0:1] op_sel:[0,1]
	v_cmp_gt_i32_e32 vcc, s2, v34
	s_and_saveexec_b64 s[0:1], vcc
	s_cbranch_execnz .LBB67_23
.LBB67_21:
	s_endpgm
.LBB67_22:
	v_mov_b32_e32 v1, v33
	v_cmp_gt_i32_e32 vcc, s2, v34
	s_and_saveexec_b64 s[0:1], vcc
	s_cbranch_execz .LBB67_21
.LBB67_23:
	v_div_scale_f32 v0, s[0:1], v1, v1, 1.0
	v_rcp_f32_e32 v2, v0
	s_load_dword s4, s[4:5], 0xd4
	s_mul_i32 s33, s33, s2
	v_cvt_f32_f16_sdwa v15, v53 dst_sel:DWORD dst_unused:UNUSED_PAD src0_sel:WORD_1
	v_fma_f32 v3, -v0, v2, 1.0
	v_fmac_f32_e32 v2, v3, v2
	v_div_scale_f32 v3, vcc, 1.0, v1, 1.0
	v_mul_f32_e32 v4, v3, v2
	v_fma_f32 v5, -v0, v4, v3
	v_fmac_f32_e32 v4, v5, v2
	v_fma_f32 v0, -v0, v4, v3
	s_waitcnt lgkmcnt(0)
	s_cmp_lg_u32 s4, 1
	v_div_fmas_f32 v0, v0, v2, v4
	v_div_fixup_f32 v0, v0, v1, 1.0
	s_cselect_b64 s[0:1], -1, 0
	v_cndmask_b32_e64 v6, v0, 1.0, s[0:1]
	v_add_u32_e32 v0, s33, v34
	v_mul_lo_u32 v0, v0, s3
	v_add3_u32 v0, s29, v13, v0
	v_mul_lo_u32 v0, s4, v0
	v_add_u32_e32 v0, s7, v0
	v_cvt_f32_f16_sdwa v5, v54 dst_sel:DWORD dst_unused:UNUSED_PAD src0_sel:WORD_1
	v_cvt_f32_f16_e32 v4, v54
	v_cvt_f32_f16_e32 v14, v53
	v_lshl_add_u32 v10, v0, 8, v35
	v_mov_b32_e32 v11, 0
	v_lshlrev_b64 v[2:3], 2, v[10:11]
	v_mov_b32_e32 v1, s21
	v_add_co_u32_e32 v16, vcc, s20, v2
	v_addc_co_u32_e32 v17, vcc, v1, v3, vcc
	v_pk_mul_f32 v[2:3], v[6:7], v[4:5] op_sel_hi:[0,1]
	v_pk_mul_f32 v[4:5], v[6:7], v[14:15] op_sel_hi:[0,1]
	v_add_u32_e32 v10, 0x80, v10
	global_store_dwordx4 v[16:17], v[2:5], off
	s_nop 0
	v_lshlrev_b64 v[2:3], 2, v[10:11]
	v_cvt_f32_f16_sdwa v5, v9 dst_sel:DWORD dst_unused:UNUSED_PAD src0_sel:WORD_1
	v_cvt_f32_f16_e32 v4, v9
	v_cvt_f32_f16_sdwa v9, v8 dst_sel:DWORD dst_unused:UNUSED_PAD src0_sel:WORD_1
	v_cvt_f32_f16_e32 v8, v8
	v_add_co_u32_e32 v10, vcc, s20, v2
	v_addc_co_u32_e32 v11, vcc, v1, v3, vcc
	v_cmp_eq_u32_e32 vcc, 0, v12
	v_pk_mul_f32 v[2:3], v[6:7], v[4:5] op_sel_hi:[0,1]
	v_pk_mul_f32 v[4:5], v[6:7], v[8:9] op_sel_hi:[0,1]
	s_and_b64 s[0:1], vcc, s[0:1]
	global_store_dwordx4 v[10:11], v[2:5], off
	s_and_b64 exec, exec, s[0:1]
	s_cbranch_execz .LBB67_21
; %bb.24:
	v_ashrrev_i32_e32 v1, 31, v0
	v_lshlrev_b64 v[0:1], 3, v[0:1]
	v_mov_b32_e32 v2, s23
	v_add_co_u32_e32 v0, vcc, s22, v0
	v_addc_co_u32_e32 v1, vcc, v2, v1, vcc
	global_store_dwordx2 v[0:1], v[32:33], off
	s_endpgm
	.section	.rodata,"a",@progbits
	.p2align	6, 0x0
	.amdhsa_kernel _ZL15flash_attn_tileILi256ELi256ELi4ELi2ELb1EEvPKcS1_S1_S1_S1_PKiPfP15HIP_vector_typeIfLj2EEffffjfiS5_IjLj3EEiiiiiiiiiiiliiliiiiil
		.amdhsa_group_segment_fixed_size 22528
		.amdhsa_private_segment_fixed_size 0
		.amdhsa_kernarg_size 464
		.amdhsa_user_sgpr_count 6
		.amdhsa_user_sgpr_private_segment_buffer 1
		.amdhsa_user_sgpr_dispatch_ptr 0
		.amdhsa_user_sgpr_queue_ptr 0
		.amdhsa_user_sgpr_kernarg_segment_ptr 1
		.amdhsa_user_sgpr_dispatch_id 0
		.amdhsa_user_sgpr_flat_scratch_init 0
		.amdhsa_user_sgpr_kernarg_preload_length 0
		.amdhsa_user_sgpr_kernarg_preload_offset 0
		.amdhsa_user_sgpr_private_segment_size 0
		.amdhsa_uses_dynamic_stack 0
		.amdhsa_system_sgpr_private_segment_wavefront_offset 0
		.amdhsa_system_sgpr_workgroup_id_x 1
		.amdhsa_system_sgpr_workgroup_id_y 1
		.amdhsa_system_sgpr_workgroup_id_z 1
		.amdhsa_system_sgpr_workgroup_info 0
		.amdhsa_system_vgpr_workitem_id 1
		.amdhsa_next_free_vgpr 166
		.amdhsa_next_free_sgpr 44
		.amdhsa_accum_offset 168
		.amdhsa_reserve_vcc 1
		.amdhsa_reserve_flat_scratch 0
		.amdhsa_float_round_mode_32 0
		.amdhsa_float_round_mode_16_64 0
		.amdhsa_float_denorm_mode_32 3
		.amdhsa_float_denorm_mode_16_64 3
		.amdhsa_dx10_clamp 1
		.amdhsa_ieee_mode 1
		.amdhsa_fp16_overflow 0
		.amdhsa_tg_split 0
		.amdhsa_exception_fp_ieee_invalid_op 0
		.amdhsa_exception_fp_denorm_src 0
		.amdhsa_exception_fp_ieee_div_zero 0
		.amdhsa_exception_fp_ieee_overflow 0
		.amdhsa_exception_fp_ieee_underflow 0
		.amdhsa_exception_fp_ieee_inexact 0
		.amdhsa_exception_int_div_zero 0
	.end_amdhsa_kernel
	.section	.text._ZL15flash_attn_tileILi256ELi256ELi4ELi2ELb1EEvPKcS1_S1_S1_S1_PKiPfP15HIP_vector_typeIfLj2EEffffjfiS5_IjLj3EEiiiiiiiiiiiliiliiiiil,"axG",@progbits,_ZL15flash_attn_tileILi256ELi256ELi4ELi2ELb1EEvPKcS1_S1_S1_S1_PKiPfP15HIP_vector_typeIfLj2EEffffjfiS5_IjLj3EEiiiiiiiiiiiliiliiiiil,comdat
.Lfunc_end67:
	.size	_ZL15flash_attn_tileILi256ELi256ELi4ELi2ELb1EEvPKcS1_S1_S1_S1_PKiPfP15HIP_vector_typeIfLj2EEffffjfiS5_IjLj3EEiiiiiiiiiiiliiliiiiil, .Lfunc_end67-_ZL15flash_attn_tileILi256ELi256ELi4ELi2ELb1EEvPKcS1_S1_S1_S1_PKiPfP15HIP_vector_typeIfLj2EEffffjfiS5_IjLj3EEiiiiiiiiiiiliiliiiiil
                                        ; -- End function
	.section	.AMDGPU.csdata,"",@progbits
; Kernel info:
; codeLenInByte = 10072
; NumSgprs: 48
; NumVgprs: 166
; NumAgprs: 0
; TotalNumVgprs: 166
; ScratchSize: 0
; MemoryBound: 0
; FloatMode: 240
; IeeeMode: 1
; LDSByteSize: 22528 bytes/workgroup (compile time only)
; SGPRBlocks: 5
; VGPRBlocks: 20
; NumSGPRsForWavesPerEU: 48
; NumVGPRsForWavesPerEU: 166
; AccumOffset: 168
; Occupancy: 2
; WaveLimiterHint : 1
; COMPUTE_PGM_RSRC2:SCRATCH_EN: 0
; COMPUTE_PGM_RSRC2:USER_SGPR: 6
; COMPUTE_PGM_RSRC2:TRAP_HANDLER: 0
; COMPUTE_PGM_RSRC2:TGID_X_EN: 1
; COMPUTE_PGM_RSRC2:TGID_Y_EN: 1
; COMPUTE_PGM_RSRC2:TGID_Z_EN: 1
; COMPUTE_PGM_RSRC2:TIDIG_COMP_CNT: 1
; COMPUTE_PGM_RSRC3_GFX90A:ACCUM_OFFSET: 41
; COMPUTE_PGM_RSRC3_GFX90A:TG_SPLIT: 0
	.section	.text._ZL15flash_attn_tileILi256ELi256ELi2ELi2ELb1EEvPKcS1_S1_S1_S1_PKiPfP15HIP_vector_typeIfLj2EEffffjfiS5_IjLj3EEiiiiiiiiiiiliiliiiiil,"axG",@progbits,_ZL15flash_attn_tileILi256ELi256ELi2ELi2ELb1EEvPKcS1_S1_S1_S1_PKiPfP15HIP_vector_typeIfLj2EEffffjfiS5_IjLj3EEiiiiiiiiiiiliiliiiiil,comdat
	.globl	_ZL15flash_attn_tileILi256ELi256ELi2ELi2ELb1EEvPKcS1_S1_S1_S1_PKiPfP15HIP_vector_typeIfLj2EEffffjfiS5_IjLj3EEiiiiiiiiiiiliiliiiiil ; -- Begin function _ZL15flash_attn_tileILi256ELi256ELi2ELi2ELb1EEvPKcS1_S1_S1_S1_PKiPfP15HIP_vector_typeIfLj2EEffffjfiS5_IjLj3EEiiiiiiiiiiiliiliiiiil
	.p2align	8
	.type	_ZL15flash_attn_tileILi256ELi256ELi2ELi2ELb1EEvPKcS1_S1_S1_S1_PKiPfP15HIP_vector_typeIfLj2EEffffjfiS5_IjLj3EEiiiiiiiiiiiliiliiiiil,@function
_ZL15flash_attn_tileILi256ELi256ELi2ELi2ELb1EEvPKcS1_S1_S1_S1_PKiPfP15HIP_vector_typeIfLj2EEffffjfiS5_IjLj3EEiiiiiiiiiiiliiliiiiil: ; @_ZL15flash_attn_tileILi256ELi256ELi2ELi2ELb1EEvPKcS1_S1_S1_S1_PKiPfP15HIP_vector_typeIfLj2EEffffjfiS5_IjLj3EEiiiiiiiiiiiliiliiiiil
; %bb.0:
	s_load_dwordx4 s[0:3], s[4:5], 0x5c
	s_load_dwordx2 s[28:29], s[4:5], 0x80
	s_load_dwordx2 s[34:35], s[4:5], 0xb8
	s_mov_b64 s[30:31], 0
	s_waitcnt lgkmcnt(0)
	s_lshr_b32 s9, s3, 31
	s_add_i32 s9, s3, s9
	s_ashr_i32 s9, s9, 1
	v_cvt_f32_u32_e32 v1, s9
	s_sub_i32 s10, 0, s9
	v_rcp_iflag_f32_e32 v1, v1
	v_mul_f32_e32 v1, 0x4f7ffffe, v1
	v_cvt_u32_f32_e32 v1, v1
	v_readfirstlane_b32 s11, v1
	s_mul_i32 s10, s10, s11
	s_mul_hi_u32 s10, s11, s10
	s_add_i32 s11, s11, s10
	s_mul_hi_u32 s10, s8, s11
	s_mul_i32 s11, s10, s9
	s_sub_i32 s11, s8, s11
	s_add_i32 s12, s10, 1
	s_sub_i32 s13, s11, s9
	s_cmp_ge_u32 s11, s9
	s_cselect_b32 s10, s12, s10
	s_cselect_b32 s11, s13, s11
	s_add_i32 s12, s10, 1
	s_cmp_ge_u32 s11, s9
	s_cselect_b32 s33, s12, s10
	s_abs_i32 s9, s29
	v_cvt_f32_u32_e32 v1, s9
	s_lshl_b32 s8, s8, 1
	s_mul_i32 s12, s33, s3
	s_xor_b32 s10, s3, s29
	v_rcp_iflag_f32_e32 v1, v1
	s_sub_i32 s13, 0, s9
	s_sub_i32 s29, s8, s12
	s_abs_i32 s11, s3
	v_mul_f32_e32 v1, 0x4f7ffffe, v1
	v_cvt_u32_f32_e32 v1, v1
	s_ashr_i32 s10, s10, 31
	v_readfirstlane_b32 s8, v1
	s_mul_i32 s13, s13, s8
	s_mul_hi_u32 s12, s8, s13
	s_add_i32 s8, s8, s12
	s_mul_hi_u32 s8, s11, s8
	s_mul_i32 s12, s8, s9
	s_sub_i32 s11, s11, s12
	s_add_i32 s13, s8, 1
	s_sub_i32 s12, s11, s9
	s_cmp_ge_u32 s11, s9
	s_cselect_b32 s8, s13, s8
	s_cselect_b32 s11, s12, s11
	s_add_i32 s12, s8, 1
	s_cmp_ge_u32 s11, s9
	s_cselect_b32 s8, s12, s8
	s_xor_b32 s8, s8, s10
	s_sub_i32 s37, s8, s10
	s_abs_i32 s36, s37
	v_cvt_f32_u32_e32 v1, s36
	s_load_dwordx16 s[8:23], s[4:5], 0x0
	v_rcp_iflag_f32_e32 v1, v1
	s_waitcnt lgkmcnt(0)
	s_cmp_eq_u64 s[14:15], 0
	v_mul_f32_e32 v1, 0x4f7ffffe, v1
	v_cvt_u32_f32_e32 v1, v1
	v_readfirstlane_b32 s24, v1
	s_cbranch_scc1 .LBB68_2
; %bb.1:
	s_abs_i32 s25, s34
	v_cvt_f32_u32_e32 v1, s25
	s_sub_i32 s34, 0, s25
	s_abs_i32 s31, s33
	s_ashr_i32 s30, s33, 31
	v_rcp_iflag_f32_e32 v1, v1
	s_load_dwordx2 s[26:27], s[4:5], 0xc8
	v_mul_f32_e32 v1, 0x4f7ffffe, v1
	v_cvt_u32_f32_e32 v1, v1
	v_readfirstlane_b32 s38, v1
	s_mul_i32 s34, s34, s38
	s_mul_hi_u32 s34, s38, s34
	s_add_i32 s38, s38, s34
	s_mul_hi_u32 s34, s31, s38
	s_mul_i32 s34, s34, s25
	s_sub_i32 s31, s31, s34
	s_sub_i32 s34, s31, s25
	s_cmp_ge_u32 s31, s25
	s_cselect_b32 s31, s34, s31
	s_sub_i32 s34, s31, s25
	s_cmp_ge_u32 s31, s25
	s_cselect_b32 s25, s34, s31
	s_xor_b32 s25, s25, s30
	s_sub_i32 s25, s25, s30
	s_ashr_i32 s30, s25, 31
	s_waitcnt lgkmcnt(0)
	s_mul_i32 s27, s25, s27
	s_mul_hi_u32 s31, s25, s26
	s_add_i32 s27, s31, s27
	s_mul_i32 s30, s30, s26
	s_add_i32 s27, s27, s30
	s_mul_i32 s25, s25, s26
	s_add_u32 s30, s14, s25
	s_addc_u32 s31, s15, s27
.LBB68_2:
	s_load_dwordx4 s[40:43], s[4:5], 0x70
	v_bfe_u32 v34, v0, 10, 10
	v_lshrrev_b32_e32 v1, 2, v34
	v_lshl_add_u32 v32, s6, 1, v1
	v_mul_hi_u32 v1, s0, v32
	s_waitcnt lgkmcnt(0)
	s_mul_i32 s14, s33, s42
	s_ashr_i32 s25, s14, 31
	s_mul_i32 s15, s29, s41
	s_add_u32 s8, s8, s14
	s_addc_u32 s9, s9, s25
	s_ashr_i32 s14, s15, 31
	s_add_u32 s8, s8, s15
	v_add_u32_e32 v1, v32, v1
	s_addc_u32 s9, s9, s14
	s_ashr_i32 s14, s41, 31
	v_mov_b32_e32 v2, s41
	v_lshrrev_b32_e32 v1, s1, v1
	v_bfe_u32 v31, v34, 1, 1
	v_alignbit_b32 v2, s14, v2, 2
	s_lshr_b32 s14, s14, 2
	v_mul_lo_u32 v1, v1, s2
	v_mul_lo_u32 v3, s14, v31
	v_sub_u32_e32 v4, v32, v1
	s_ashr_i32 s14, s40, 31
	v_mov_b32_e32 v1, s40
	v_alignbit_b32 v1, s14, v1, 2
	v_mad_u64_u32 v[6:7], s[0:1], v1, v4, 0
	v_mul_lo_u32 v2, v2, v31
	v_mov_b32_e32 v8, v7
	s_lshr_b32 s0, s14, 2
	v_mad_u64_u32 v[8:9], s[0:1], s0, v4, v[8:9]
	v_and_b32_e32 v30, 0x3ff, v0
	v_lshlrev_b64 v[0:1], 2, v[2:3]
	v_mov_b32_e32 v7, v8
	v_mov_b32_e32 v2, s9
	v_add_co_u32_e32 v3, vcc, s8, v0
	v_addc_co_u32_e32 v2, vcc, v2, v1, vcc
	v_lshlrev_b64 v[0:1], 2, v[6:7]
	v_add_co_u32_e32 v0, vcc, v3, v0
	v_addc_co_u32_e32 v1, vcc, v2, v1, vcc
	v_lshlrev_b32_e32 v2, 9, v34
	v_and_b32_e32 v2, 0x200, v2
	v_add_co_u32_e32 v0, vcc, v0, v2
	v_addc_co_u32_e32 v1, vcc, 0, v1, vcc
	v_lshlrev_b32_e32 v2, 4, v30
	v_add_co_u32_e32 v0, vcc, v0, v2
	v_addc_co_u32_e32 v1, vcc, 0, v1, vcc
	global_load_dwordx4 v[0:3], v[0:1], off
	s_load_dword s0, s[4:5], 0x40
	s_mov_b32 s1, 0
	v_lshlrev_b32_e32 v6, 6, v34
	v_lshrrev_b32_e32 v5, 1, v34
	v_and_b32_e32 v7, 64, v6
	v_lshlrev_b32_e32 v5, 7, v5
	v_lshl_add_u32 v7, v30, 1, v7
	s_cmp_eq_u64 s[18:19], 0
	s_waitcnt vmcnt(0) lgkmcnt(0)
	v_pk_mul_f32 v[0:1], v[0:1], s[0:1] op_sel_hi:[1,0]
	v_pk_mul_f32 v[2:3], v[2:3], s[0:1] op_sel_hi:[1,0]
	v_cvt_f16_f32_e32 v8, v1
	v_cvt_f16_f32_e32 v1, v3
	;; [unrolled: 1-line block ×4, first 2 shown]
	v_add_lshl_u32 v3, v7, v5, 2
	v_pack_b32_f16 v1, v2, v1
	v_pack_b32_f16 v0, v0, v8
	ds_write_b64 v3, v[0:1] offset:17408
	s_waitcnt lgkmcnt(0)
	s_barrier
	s_cbranch_scc1 .LBB68_4
; %bb.3:
	s_load_dword s0, s[4:5], 0xd0
	s_waitcnt lgkmcnt(0)
	s_mul_i32 s0, s0, s33
	s_add_i32 s0, s0, s6
	s_lshl_b64 s[0:1], s[0:1], 2
	s_add_u32 s0, s18, s0
	s_addc_u32 s1, s19, s1
	s_load_dword s28, s[0:1], 0x0
.LBB68_4:
	s_lshl_b32 s6, s7, 6
	v_lshlrev_b32_e32 v33, 2, v30
	s_waitcnt lgkmcnt(0)
	s_cmp_lt_i32 s6, s28
	v_mbcnt_lo_u32_b32 v14, -1, 0
	v_and_b32_e32 v36, 1, v34
	s_cbranch_scc1 .LBB68_6
; %bb.5:
	v_mbcnt_hi_u32_b32 v5, -1, v14
	v_and_b32_e32 v0, 0x60, v5
	s_mov_b32 s8, 0
	v_add_u32_e32 v23, 32, v0
	v_xor_b32_e32 v24, 16, v5
	v_xor_b32_e32 v25, 8, v5
	;; [unrolled: 1-line block ×5, first 2 shown]
	v_and_b32_e32 v7, 1, v34
	s_mov_b64 s[0:1], 0
	s_mov_b32 s9, 0xfeffffff
	s_branch .LBB68_7
.LBB68_6:
	s_mov_b64 s[0:1], -1
                                        ; implicit-def: $sgpr9
                                        ; implicit-def: $sgpr8
                                        ; implicit-def: $vgpr5
                                        ; implicit-def: $vgpr23
                                        ; implicit-def: $vgpr24
                                        ; implicit-def: $vgpr25
                                        ; implicit-def: $vgpr26
                                        ; implicit-def: $vgpr27
                                        ; implicit-def: $vgpr28
                                        ; implicit-def: $vgpr7
.LBB68_7:
	s_andn2_b64 vcc, exec, s[0:1]
	v_mov_b32_e32 v22, s9
	v_mov_b32_e32 v53, s8
	;; [unrolled: 1-line block ×3, first 2 shown]
	v_lshlrev_b32_e32 v35, 2, v33
	v_mov_b32_e32 v2, s8
	v_mov_b32_e32 v1, s8
	;; [unrolled: 1-line block ×3, first 2 shown]
	s_cbranch_vccnz .LBB68_18
; %bb.8:
	s_sub_i32 s0, 0, s36
	s_mul_i32 s0, s0, s24
	s_mul_hi_u32 s0, s24, s0
	s_abs_i32 s19, s29
	s_add_i32 s24, s24, s0
	s_mul_hi_u32 s34, s19, s24
	s_load_dwordx4 s[24:27], s[4:5], 0x98
	s_load_dword s14, s[4:5], 0x54
	s_load_dwordx2 s[0:1], s[4:5], 0x8c
	s_ashr_i32 s38, s29, 31
	s_ashr_i32 s37, s37, 31
	s_waitcnt lgkmcnt(0)
	s_ashr_i32 s15, s26, 2
	s_ashr_i32 s26, s35, 1
	;; [unrolled: 1-line block ×4, first 2 shown]
	s_mul_i32 s25, s33, s25
	s_mul_hi_u32 s35, s33, s24
	s_add_i32 s25, s35, s25
	s_mul_i32 s35, s0, s24
	s_add_i32 s25, s25, s35
	s_mul_i32 s24, s33, s24
	s_add_u32 s10, s10, s24
	s_addc_u32 s11, s11, s25
	s_mul_i32 s25, s34, s36
	s_sub_i32 s19, s19, s25
	s_xor_b32 s24, s38, s37
	s_add_i32 s25, s34, 1
	s_sub_i32 s35, s19, s36
	s_cmp_ge_u32 s19, s36
	s_cselect_b32 s25, s25, s34
	s_cselect_b32 s19, s35, s19
	s_add_i32 s34, s25, 1
	s_cmp_ge_u32 s19, s36
	s_load_dwordx2 s[8:9], s[4:5], 0xa8
	s_cselect_b32 s19, s34, s25
	s_xor_b32 s19, s19, s24
	s_sub_i32 s25, s19, s24
	s_mul_i32 s1, s25, s1
	s_ashr_i32 s24, s1, 31
	s_add_u32 s19, s10, s1
	s_waitcnt lgkmcnt(0)
	s_mul_i32 s1, s33, s9
	s_mul_hi_u32 s9, s33, s8
	s_addc_u32 s24, s11, s24
	s_add_i32 s1, s9, s1
	s_mul_i32 s0, s0, s8
	s_add_i32 s1, s1, s0
	s_mul_i32 s0, s33, s8
	s_add_u32 s0, s12, s0
	s_mul_i32 s25, s25, s27
	s_addc_u32 s1, s13, s1
	s_ashr_i32 s8, s25, 31
	v_lshrrev_b32_e32 v0, 4, v30
	v_and_b32_e32 v2, 60, v33
	s_add_u32 s12, s0, s25
	v_lshl_add_u32 v1, v34, 1, v0
	v_lshlrev_b32_e32 v3, 2, v2
	s_movk_i32 s0, 0x110
	s_addc_u32 s13, s1, s8
	v_mad_u32_u24 v37, v1, s0, v3
	v_mul_lo_u32 v8, s18, v1
	s_lshl_b32 s0, s18, 4
	v_lshlrev_b32_e32 v1, 5, v34
	v_add_u32_e32 v10, s0, v8
	v_and_b32_e32 v1, 32, v1
	v_add_u32_e32 v12, s0, v10
	v_add_u32_e32 v18, v1, v30
	v_add_u32_e32 v16, s0, v12
	v_and_b32_e32 v1, 0xff80, v6
	v_mov_b32_e32 v3, 0x4400
	v_mad_u64_u32 v[4:5], s[0:1], v4, s26, v[18:19]
	v_lshl_add_u32 v42, v1, 2, v3
	v_and_b32_e32 v5, 1, v30
	s_movk_i32 s0, 0x3fe
	v_add_u32_e32 v1, 0x4c00, v1
	v_mul_u32_u24_e32 v41, 0x110, v18
	v_and_or_b32 v5, v34, s0, v5
	v_lshl_add_u32 v45, v18, 1, v1
	v_mul_lo_u32 v18, s15, v34
	s_lshl_b32 s0, s15, 3
	v_add_u32_e32 v20, s0, v18
	v_add_u32_e32 v22, s0, v20
	v_mov_b32_e32 v3, 0x4e00
	v_add_u32_e32 v24, s0, v22
	v_lshlrev_b32_e32 v51, 9, v36
	v_mov_b32_e32 v0, 0
	v_ashrrev_i32_e32 v9, 31, v8
	v_ashrrev_i32_e32 v11, 31, v10
	;; [unrolled: 1-line block ×4, first 2 shown]
	v_lshl_add_u32 v43, v34, 2, v3
	v_lshl_add_u32 v44, v5, 2, v3
	;; [unrolled: 1-line block ×3, first 2 shown]
	v_ashrrev_i32_e32 v19, 31, v18
	v_ashrrev_i32_e32 v21, 31, v20
	;; [unrolled: 1-line block ×4, first 2 shown]
	v_lshlrev_b32_e32 v50, 3, v30
	v_lshl_or_b32 v52, v36, 1, v1
	v_or_b32_e32 v1, 0x400, v51
	v_or_b32_e32 v3, 0x800, v51
	;; [unrolled: 1-line block ×15, first 2 shown]
	s_add_u32 s8, s4, 0xd0
	v_add_u32_e32 v38, 0x1100, v37
	v_add_u32_e32 v39, 0x2200, v37
	v_add_u32_e32 v40, 0x3300, v37
	v_cmp_eq_u32_e32 vcc, 0, v30
	v_add_u32_e32 v47, 0x1000, v46
	v_add_u32_e32 v48, 0x2000, v46
	;; [unrolled: 1-line block ×3, first 2 shown]
	s_addc_u32 s9, s5, 0
	v_mov_b32_e32 v74, 0xfeffffff
	v_lshlrev_b64 v[6:7], 2, v[8:9]
	v_lshlrev_b32_e32 v54, 2, v2
	v_lshlrev_b64 v[8:9], 2, v[10:11]
	v_lshlrev_b64 v[10:11], 2, v[12:13]
	;; [unrolled: 1-line block ×3, first 2 shown]
	s_mov_b32 s25, 0x3f200000
	s_mov_b32 s26, 0x3fb8aa3b
	;; [unrolled: 1-line block ×4, first 2 shown]
	v_mov_b32_e32 v55, 0xbd5c1c4e
	v_mov_b32_e32 v56, 0x3e088382
	;; [unrolled: 1-line block ×3, first 2 shown]
	s_brev_b32 s35, -2
	v_mbcnt_hi_u32_b32 v5, -1, v14
	v_lshlrev_b64 v[14:15], 2, v[18:19]
	v_lshlrev_b64 v[16:17], 2, v[20:21]
	;; [unrolled: 1-line block ×4, first 2 shown]
	v_add_u32_e32 v58, v50, v1
	v_add_u32_e32 v59, v50, v3
	;; [unrolled: 1-line block ×15, first 2 shown]
	v_mov_b32_e32 v73, 0x7f800000
	v_mov_b32_e32 v1, v0
	;; [unrolled: 1-line block ×5, first 2 shown]
.LBB68_9:                               ; =>This Inner Loop Header: Depth=1
	s_mul_hi_i32 s1, s6, s18
	s_mul_i32 s0, s6, s18
	s_lshl_b64 s[0:1], s[0:1], 2
	s_add_u32 s10, s19, s0
	s_addc_u32 s11, s24, s1
	v_mov_b32_e32 v22, s11
	v_add_co_u32_e64 v23, s[0:1], s10, v6
	v_addc_co_u32_e64 v24, s[0:1], v22, v7, s[0:1]
	v_add_co_u32_e64 v22, s[0:1], v23, v54
	v_addc_co_u32_e64 v23, s[0:1], 0, v24, s[0:1]
	v_mov_b32_e32 v24, s11
	v_add_co_u32_e64 v25, s[0:1], s10, v8
	v_addc_co_u32_e64 v26, s[0:1], v24, v9, s[0:1]
	v_add_co_u32_e64 v24, s[0:1], v25, v54
	v_addc_co_u32_e64 v25, s[0:1], 0, v26, s[0:1]
	;; [unrolled: 5-line block ×3, first 2 shown]
	v_mov_b32_e32 v28, s11
	v_add_co_u32_e64 v29, s[0:1], s10, v12
	v_addc_co_u32_e64 v75, s[0:1], v28, v13, s[0:1]
	v_add_co_u32_e64 v28, s[0:1], v29, v54
	global_load_dwordx4 v[76:79], v[22:23], off
	global_load_dwordx4 v[80:83], v[24:25], off
	v_addc_co_u32_e64 v29, s[0:1], 0, v75, s[0:1]
	global_load_dwordx4 v[84:87], v[26:27], off
	global_load_dwordx4 v[88:91], v[28:29], off
	v_mov_b32_e32 v75, 0
	s_waitcnt vmcnt(3)
	ds_write_b128 v37, v[76:79]
	s_waitcnt vmcnt(2)
	ds_write_b128 v38, v[80:83]
	;; [unrolled: 2-line block ×4, first 2 shown]
	s_waitcnt lgkmcnt(0)
	s_barrier
	ds_read_b128 v[76:79], v41
	ds_read_b128 v[80:83], v42
	s_waitcnt lgkmcnt(0)
	;;#ASMSTART
	v_dot2_f32_f16 v75, v76, v80, v75
	;;#ASMEND
	;;#ASMSTART
	v_dot2_f32_f16 v75, v77, v81, v75
	;;#ASMEND
	;;#ASMSTART
	v_dot2_f32_f16 v75, v78, v82, v75
	;;#ASMEND
	;;#ASMSTART
	v_dot2_f32_f16 v75, v79, v83, v75
	;;#ASMEND
	ds_read_b128 v[76:79], v41 offset:16
	ds_read_b128 v[80:83], v42 offset:16
	s_waitcnt lgkmcnt(0)
	;;#ASMSTART
	v_dot2_f32_f16 v75, v76, v80, v75
	;;#ASMEND
	;;#ASMSTART
	v_dot2_f32_f16 v75, v77, v81, v75
	;;#ASMEND
	;;#ASMSTART
	v_dot2_f32_f16 v75, v78, v82, v75
	;;#ASMEND
	;;#ASMSTART
	v_dot2_f32_f16 v75, v79, v83, v75
	;;#ASMEND
	ds_read_b128 v[76:79], v41 offset:32
	ds_read_b128 v[80:83], v42 offset:32
	;; [unrolled: 15-line block ×15, first 2 shown]
	s_waitcnt lgkmcnt(0)
	;;#ASMSTART
	v_dot2_f32_f16 v75, v76, v80, v75
	;;#ASMEND
	;;#ASMSTART
	v_dot2_f32_f16 v75, v77, v81, v75
	;;#ASMEND
	;; [unrolled: 3-line block ×4, first 2 shown]
	s_barrier
	global_load_dwordx4 v[76:79], v[22:23], off offset:256
	global_load_dwordx4 v[80:83], v[24:25], off offset:256
	;; [unrolled: 1-line block ×4, first 2 shown]
	s_waitcnt vmcnt(3)
	ds_write_b128 v37, v[76:79]
	s_waitcnt vmcnt(2)
	ds_write_b128 v38, v[80:83]
	;; [unrolled: 2-line block ×4, first 2 shown]
	s_waitcnt lgkmcnt(0)
	s_barrier
	ds_read_b128 v[22:25], v41
	ds_read_b128 v[26:29], v42 offset:256
	s_waitcnt lgkmcnt(0)
	;;#ASMSTART
	v_dot2_f32_f16 v75, v22, v26, v75
	;;#ASMEND
	;;#ASMSTART
	v_dot2_f32_f16 v75, v23, v27, v75
	;;#ASMEND
	;;#ASMSTART
	v_dot2_f32_f16 v75, v24, v28, v75
	;;#ASMEND
	;;#ASMSTART
	v_dot2_f32_f16 v75, v25, v29, v75
	;;#ASMEND
	ds_read_b128 v[22:25], v41 offset:16
	ds_read_b128 v[26:29], v42 offset:272
	s_waitcnt lgkmcnt(0)
	;;#ASMSTART
	v_dot2_f32_f16 v75, v22, v26, v75
	;;#ASMEND
	;;#ASMSTART
	v_dot2_f32_f16 v75, v23, v27, v75
	;;#ASMEND
	;;#ASMSTART
	v_dot2_f32_f16 v75, v24, v28, v75
	;;#ASMEND
	;;#ASMSTART
	v_dot2_f32_f16 v75, v25, v29, v75
	;;#ASMEND
	ds_read_b128 v[22:25], v41 offset:32
	;; [unrolled: 15-line block ×15, first 2 shown]
	ds_read_b128 v[26:29], v42 offset:496
	s_waitcnt lgkmcnt(0)
	;;#ASMSTART
	v_dot2_f32_f16 v75, v22, v26, v75
	;;#ASMEND
	;;#ASMSTART
	v_dot2_f32_f16 v75, v23, v27, v75
	;;#ASMEND
	;; [unrolled: 3-line block ×4, first 2 shown]
	v_cmp_nlt_f32_e64 s[0:1], |v75|, s25
                                        ; implicit-def: $vgpr22
	s_and_saveexec_b64 s[10:11], s[0:1]
	s_xor_b64 s[10:11], exec, s[10:11]
	s_cbranch_execz .LBB68_11
; %bb.10:                               ;   in Loop: Header=BB68_9 Depth=1
	v_add_f32_e64 v22, |v75|, |v75|
	v_mul_f32_e32 v23, 0x3fb8aa3b, v22
	v_rndne_f32_e32 v24, v23
	v_sub_f32_e32 v25, v23, v24
	v_fma_f32 v23, v22, s26, -v23
	v_fmac_f32_e32 v23, 0x32a5705f, v22
	v_add_f32_e32 v23, v25, v23
	v_cvt_i32_f32_e32 v24, v24
	v_exp_f32_e32 v23, v23
	v_cmp_ngt_f32_e64 s[0:1], s27, v22
	v_ldexp_f32 v23, v23, v24
	v_cndmask_b32_e64 v23, 0, v23, s[0:1]
	v_cmp_nlt_f32_e64 s[0:1], s34, v22
	v_cndmask_b32_e64 v22, v73, v23, s[0:1]
	v_add_f32_e32 v22, 1.0, v22
	v_rcp_f32_e32 v22, v22
	v_fma_f32 v22, v22, -2.0, 1.0
.LBB68_11:                              ;   in Loop: Header=BB68_9 Depth=1
	s_andn2_saveexec_b64 s[0:1], s[10:11]
; %bb.12:                               ;   in Loop: Header=BB68_9 Depth=1
	v_mul_f32_e32 v22, v75, v75
	v_mov_b32_e32 v23, 0x3ca908c9
	v_fmac_f32_e32 v23, 0xbbbac73d, v22
	v_fma_f32 v23, v22, v23, v55
	v_fma_f32 v23, v22, v23, v56
	;; [unrolled: 1-line block ×3, first 2 shown]
	v_mul_f32_e64 v23, |v75|, v23
	v_fma_f32 v22, v22, v23, |v75|
; %bb.13:                               ;   in Loop: Header=BB68_9 Depth=1
	s_or_b64 exec, exec, s[0:1]
	v_add_u32_e32 v24, s6, v4
	v_ashrrev_i32_e32 v25, 31, v24
	v_lshlrev_b64 v[24:25], 1, v[24:25]
	v_mov_b32_e32 v23, s31
	v_add_co_u32_e64 v24, s[0:1], s30, v24
	v_addc_co_u32_e64 v25, s[0:1], v23, v25, s[0:1]
	flat_load_ushort v25, v[24:25]
	v_and_b32_e32 v23, 0x60, v5
	v_bfi_b32 v22, s35, v22, v75
	v_xor_b32_e32 v24, 16, v5
	v_add_u32_e32 v23, 32, v23
	v_cmp_lt_i32_e64 s[0:1], v24, v23
	v_max_f32_e32 v26, v74, v74
	v_cndmask_b32_e64 v27, v5, v24, s[0:1]
	v_lshlrev_b32_e32 v27, 2, v27
	s_waitcnt vmcnt(0) lgkmcnt(0)
	v_fma_mix_f32 v29, v22, s14, v25 op_sel_hi:[0,0,1]
	v_add_f32_e32 v22, 0x40051340, v29
	v_max_f32_e32 v22, v26, v22
	ds_bpermute_b32 v26, v27, v22
	v_xor_b32_e32 v25, 8, v5
	v_cmp_lt_i32_e64 s[0:1], v25, v23
	v_cndmask_b32_e64 v27, v5, v25, s[0:1]
	v_lshlrev_b32_e32 v27, 2, v27
	s_waitcnt lgkmcnt(0)
	v_max_f32_e32 v26, v26, v26
	v_max_f32_e32 v22, v22, v26
	ds_bpermute_b32 v27, v27, v22
	v_xor_b32_e32 v26, 4, v5
	v_cmp_lt_i32_e64 s[0:1], v26, v23
	v_cndmask_b32_e64 v28, v5, v26, s[0:1]
	v_lshlrev_b32_e32 v28, 2, v28
	s_waitcnt lgkmcnt(0)
	v_max_f32_e32 v27, v27, v27
	;; [unrolled: 8-line block ×3, first 2 shown]
	v_max_f32_e32 v22, v22, v28
	ds_bpermute_b32 v75, v75, v22
	v_xor_b32_e32 v28, 1, v5
	v_cmp_lt_i32_e64 s[0:1], v28, v23
	v_cndmask_b32_e64 v76, v5, v28, s[0:1]
	s_waitcnt lgkmcnt(0)
	v_max_f32_e32 v75, v75, v75
	v_max_f32_e32 v22, v22, v75
	v_lshlrev_b32_e32 v75, 2, v76
	ds_bpermute_b32 v75, v75, v22
	s_and_saveexec_b64 s[0:1], vcc
	s_cbranch_execz .LBB68_15
; %bb.14:                               ;   in Loop: Header=BB68_9 Depth=1
	s_waitcnt lgkmcnt(0)
	v_max_f32_e32 v75, v75, v75
	v_max_f32_e32 v22, v22, v22
	v_max_f32_e32 v22, v22, v75
	ds_write_b32 v43, v22
.LBB68_15:                              ;   in Loop: Header=BB68_9 Depth=1
	s_or_b64 exec, exec, s[0:1]
	s_waitcnt lgkmcnt(0)
	s_barrier
	ds_read_b32 v22, v44
	v_and_b32_e32 v75, 0x7e, v5
	v_add_u32_e32 v75, 2, v75
	v_cmp_lt_i32_e64 s[0:1], v28, v75
	v_cndmask_b32_e64 v75, v5, v28, s[0:1]
	v_lshlrev_b32_e32 v75, 2, v75
	s_waitcnt lgkmcnt(0)
	ds_bpermute_b32 v75, v75, v22
	v_max_f32_e32 v22, v22, v22
	s_waitcnt lgkmcnt(0)
	v_max_f32_e32 v75, v75, v75
	v_max_f32_e32 v22, v22, v75
	v_sub_f32_e32 v74, v74, v22
	v_mul_f32_e32 v75, 0x3fb8aa3b, v74
	v_fma_f32 v76, v74, s26, -v75
	v_rndne_f32_e32 v77, v75
	v_fmac_f32_e32 v76, 0x32a5705f, v74
	v_sub_f32_e32 v75, v75, v77
	v_add_f32_e32 v75, v75, v76
	v_exp_f32_e32 v75, v75
	v_cvt_i32_f32_e32 v76, v77
	v_cmp_ngt_f32_e64 s[0:1], s27, v74
	v_sub_f32_e32 v29, v29, v22
	v_ldexp_f32 v75, v75, v76
	v_cndmask_b32_e64 v75, 0, v75, s[0:1]
	v_cmp_nlt_f32_e64 s[0:1], s34, v74
	v_cndmask_b32_e64 v74, v73, v75, s[0:1]
	v_mul_f32_e32 v75, 0x3fb8aa3b, v29
	v_fma_f32 v76, v29, s26, -v75
	v_rndne_f32_e32 v77, v75
	v_fmac_f32_e32 v76, 0x32a5705f, v29
	v_sub_f32_e32 v75, v75, v77
	v_add_f32_e32 v75, v75, v76
	v_exp_f32_e32 v75, v75
	v_cvt_i32_f32_e32 v76, v77
	v_cvt_f16_f32_e32 v78, v74
	v_cmp_ngt_f32_e64 s[0:1], s27, v29
	v_ldexp_f32 v75, v75, v76
	v_cndmask_b32_e64 v75, 0, v75, s[0:1]
	v_cmp_nlt_f32_e64 s[0:1], s34, v29
	v_cndmask_b32_e64 v29, v73, v75, s[0:1]
	v_pk_mul_f16 v79, v2, v78 op_sel_hi:[1,0]
	v_cvt_f16_f32_e32 v2, v29
	s_mul_hi_i32 s1, s6, s15
	s_mul_i32 s0, s6, s15
	s_lshl_b64 s[0:1], s[0:1], 2
	s_add_u32 s10, s12, s0
	s_addc_u32 s11, s13, s1
	v_pk_mul_f16 v80, v78, v3 op_sel_hi:[0,1]
	ds_write_b16 v45, v2
	v_add_co_u32_e64 v2, s[0:1], s10, v14
	v_mov_b32_e32 v3, s11
	v_addc_co_u32_e64 v3, s[0:1], v3, v15, s[0:1]
	v_add_co_u32_e64 v2, s[0:1], v2, v35
	v_addc_co_u32_e64 v3, s[0:1], 0, v3, s[0:1]
	v_fma_f32 v53, v53, v74, v29
	global_load_dwordx4 v[74:77], v[2:3], off
	v_add_co_u32_e64 v2, s[0:1], s10, v16
	v_mov_b32_e32 v3, s11
	v_addc_co_u32_e64 v3, s[0:1], v3, v17, s[0:1]
	v_add_co_u32_e64 v2, s[0:1], v2, v35
	v_addc_co_u32_e64 v3, s[0:1], 0, v3, s[0:1]
	v_add_u32_e32 v29, v50, v51
	s_waitcnt vmcnt(0)
	ds_write_b128 v46, v[74:77]
	global_load_dwordx4 v[74:77], v[2:3], off
	v_add_co_u32_e64 v2, s[0:1], s10, v18
	v_mov_b32_e32 v3, s11
	v_addc_co_u32_e64 v3, s[0:1], v3, v19, s[0:1]
	v_add_co_u32_e64 v2, s[0:1], v2, v35
	v_addc_co_u32_e64 v3, s[0:1], 0, v3, s[0:1]
	s_waitcnt vmcnt(0)
	ds_write_b128 v47, v[74:77]
	global_load_dwordx4 v[74:77], v[2:3], off
	v_add_co_u32_e64 v2, s[0:1], s10, v20
	v_mov_b32_e32 v3, s11
	v_addc_co_u32_e64 v3, s[0:1], v3, v21, s[0:1]
	v_add_co_u32_e64 v2, s[0:1], v2, v35
	v_addc_co_u32_e64 v3, s[0:1], 0, v3, s[0:1]
	s_or_b32 s0, s6, 32
	s_mul_hi_i32 s1, s0, s15
	s_mul_i32 s0, s0, s15
	s_lshl_b64 s[0:1], s[0:1], 2
	s_add_u32 s10, s12, s0
	s_addc_u32 s11, s13, s1
	s_waitcnt vmcnt(0)
	ds_write_b128 v48, v[74:77]
	global_load_dwordx4 v[74:77], v[2:3], off
	s_waitcnt vmcnt(0)
	ds_write_b128 v49, v[74:77]
	s_waitcnt lgkmcnt(0)
	s_barrier
	ds_read2_b64 v[74:77], v29 offset1:32
	ds_read_u16 v2, v52
	ds_read_u16 v81, v52 offset:4
	ds_read_u16 v82, v52 offset:8
	;; [unrolled: 1-line block ×15, first 2 shown]
	s_waitcnt lgkmcnt(14)
	v_pk_mul_f16 v3, v74, v2 op_sel_hi:[1,0]
	v_pk_fma_f16 v74, v0, v78, v3 op_sel_hi:[1,0,1]
	v_pk_mul_f16 v0, v75, v2 op_sel_hi:[1,0]
	v_pk_fma_f16 v75, v1, v78, v0 op_sel_hi:[1,0,1]
	v_pk_fma_f16 v76, v76, v2, v79 op_sel_hi:[1,0,1]
	v_pk_fma_f16 v77, v77, v2, v80 op_sel_hi:[1,0,1]
	ds_read2_b64 v[0:3], v58 offset1:32
	s_waitcnt lgkmcnt(0)
	v_pk_fma_f16 v74, v0, v81, v74 op_sel_hi:[1,0,1]
	v_pk_fma_f16 v75, v1, v81, v75 op_sel_hi:[1,0,1]
	v_pk_fma_f16 v76, v2, v81, v76 op_sel_hi:[1,0,1]
	v_pk_fma_f16 v77, v3, v81, v77 op_sel_hi:[1,0,1]
	ds_read2_b64 v[0:3], v59 offset1:32
	s_waitcnt lgkmcnt(0)
	v_pk_fma_f16 v74, v0, v82, v74 op_sel_hi:[1,0,1]
	;; [unrolled: 6-line block ×14, first 2 shown]
	v_pk_fma_f16 v75, v1, v94, v75 op_sel_hi:[1,0,1]
	v_pk_fma_f16 v76, v2, v94, v76 op_sel_hi:[1,0,1]
	;; [unrolled: 1-line block ×3, first 2 shown]
	ds_read2_b64 v[0:3], v72 offset1:32
	s_waitcnt lgkmcnt(0)
	s_barrier
	v_pk_fma_f16 v74, v0, v95, v74 op_sel_hi:[1,0,1]
	v_pk_fma_f16 v75, v1, v95, v75 op_sel_hi:[1,0,1]
	v_add_co_u32_e64 v0, s[0:1], s10, v14
	v_mov_b32_e32 v1, s11
	v_addc_co_u32_e64 v1, s[0:1], v1, v15, s[0:1]
	v_add_co_u32_e64 v0, s[0:1], v0, v35
	v_addc_co_u32_e64 v1, s[0:1], 0, v1, s[0:1]
	v_pk_fma_f16 v76, v2, v95, v76 op_sel_hi:[1,0,1]
	v_pk_fma_f16 v77, v3, v95, v77 op_sel_hi:[1,0,1]
	global_load_dwordx4 v[0:3], v[0:1], off
	s_waitcnt vmcnt(0)
	ds_write_b128 v46, v[0:3]
	v_add_co_u32_e64 v0, s[0:1], s10, v16
	v_mov_b32_e32 v1, s11
	v_addc_co_u32_e64 v1, s[0:1], v1, v17, s[0:1]
	v_add_co_u32_e64 v0, s[0:1], v0, v35
	v_addc_co_u32_e64 v1, s[0:1], 0, v1, s[0:1]
	global_load_dwordx4 v[0:3], v[0:1], off
	s_waitcnt vmcnt(0)
	ds_write_b128 v47, v[0:3]
	v_add_co_u32_e64 v0, s[0:1], s10, v18
	v_mov_b32_e32 v1, s11
	v_addc_co_u32_e64 v1, s[0:1], v1, v19, s[0:1]
	v_add_co_u32_e64 v0, s[0:1], v0, v35
	v_addc_co_u32_e64 v1, s[0:1], 0, v1, s[0:1]
	;; [unrolled: 8-line block ×3, first 2 shown]
	global_load_dwordx4 v[0:3], v[0:1], off
	s_waitcnt vmcnt(0)
	ds_write_b128 v49, v[0:3]
	s_waitcnt lgkmcnt(0)
	s_barrier
	ds_read2_b64 v[0:3], v29 offset1:32
	ds_read_u16 v29, v52 offset:64
	ds_read_u16 v78, v52 offset:68
	;; [unrolled: 1-line block ×16, first 2 shown]
	s_waitcnt lgkmcnt(14)
	v_pk_fma_f16 v74, v0, v29, v74 op_sel_hi:[1,0,1]
	v_pk_fma_f16 v75, v1, v29, v75 op_sel_hi:[1,0,1]
	v_pk_fma_f16 v76, v2, v29, v76 op_sel_hi:[1,0,1]
	v_pk_fma_f16 v29, v3, v29, v77 op_sel_hi:[1,0,1]
	ds_read2_b64 v[0:3], v58 offset1:32
	s_waitcnt lgkmcnt(0)
	v_pk_fma_f16 v74, v0, v78, v74 op_sel_hi:[1,0,1]
	v_pk_fma_f16 v75, v1, v78, v75 op_sel_hi:[1,0,1]
	v_pk_fma_f16 v76, v2, v78, v76 op_sel_hi:[1,0,1]
	v_pk_fma_f16 v29, v3, v78, v29 op_sel_hi:[1,0,1]
	ds_read2_b64 v[0:3], v59 offset1:32
	;; [unrolled: 6-line block ×15, first 2 shown]
	s_waitcnt lgkmcnt(0)
	s_barrier
	s_load_dword s0, s[8:9], 0x4
	v_pk_fma_f16 v0, v0, v92, v74 op_sel_hi:[1,0,1]
	v_pk_fma_f16 v1, v1, v92, v75 op_sel_hi:[1,0,1]
	;; [unrolled: 1-line block ×4, first 2 shown]
	s_waitcnt lgkmcnt(0)
	s_lshl_b32 s0, s0, 6
	s_add_i32 s6, s0, s6
	s_cmp_lt_i32 s6, s28
	s_cbranch_scc0 .LBB68_17
; %bb.16:                               ;   in Loop: Header=BB68_9 Depth=1
	v_mov_b32_e32 v74, v22
	s_branch .LBB68_9
.LBB68_17:
	v_mov_b32_e32 v7, v36
.LBB68_18:
	v_cmp_lt_i32_e32 vcc, v24, v23
	v_cndmask_b32_e32 v6, v5, v24, vcc
	v_lshlrev_b32_e32 v6, 2, v6
	ds_bpermute_b32 v6, v6, v53
	v_cmp_lt_i32_e32 vcc, v25, v23
	v_cndmask_b32_e32 v8, v5, v25, vcc
	v_lshlrev_b32_e32 v8, 2, v8
	v_cmp_lt_i32_e32 vcc, v26, v23
	s_waitcnt lgkmcnt(0)
	v_add_f32_e32 v6, v53, v6
	ds_bpermute_b32 v8, v8, v6
	v_cndmask_b32_e32 v9, v5, v26, vcc
	v_lshlrev_b32_e32 v9, 2, v9
	v_cmp_lt_i32_e32 vcc, v27, v23
	v_lshlrev_b32_e32 v4, 7, v34
	s_waitcnt lgkmcnt(0)
	v_add_f32_e32 v6, v6, v8
	ds_bpermute_b32 v8, v9, v6
	v_cndmask_b32_e32 v9, v5, v27, vcc
	v_lshlrev_b32_e32 v9, 2, v9
	v_cmp_lt_i32_e32 vcc, v28, v23
	v_cndmask_b32_e32 v5, v5, v28, vcc
	s_waitcnt lgkmcnt(0)
	v_add_f32_e32 v6, v6, v8
	ds_bpermute_b32 v8, v9, v6
	v_lshlrev_b32_e32 v5, 2, v5
	v_cmp_eq_u32_e32 vcc, 0, v7
	v_cmp_ne_u32_e64 s[0:1], 0, v7
	s_waitcnt lgkmcnt(0)
	v_add_f32_e32 v6, v6, v8
	ds_bpermute_b32 v5, v5, v6
	s_waitcnt lgkmcnt(0)
	v_add_f32_e32 v23, v6, v5
	s_and_saveexec_b64 s[8:9], s[0:1]
	s_xor_b64 s[8:9], exec, s[8:9]
	s_cbranch_execnz .LBB68_22
; %bb.19:
	s_andn2_saveexec_b64 s[0:1], s[8:9]
	s_cbranch_execnz .LBB68_25
.LBB68_20:
	s_or_b64 exec, exec, s[0:1]
	s_and_saveexec_b64 s[0:1], vcc
	s_cbranch_execnz .LBB68_26
.LBB68_21:
	s_endpgm
.LBB68_22:
	v_lshl_add_u32 v4, v4, 2, v35
	v_cmp_eq_u32_e64 s[0:1], 0, v30
	ds_write_b128 v4, v[0:3]
	s_and_saveexec_b64 s[10:11], s[0:1]
	s_cbranch_execz .LBB68_24
; %bb.23:
	v_lshlrev_b32_e32 v4, 2, v34
	ds_write_b32 v4, v23 offset:17408
.LBB68_24:
	s_or_b64 exec, exec, s[10:11]
                                        ; implicit-def: $vgpr4
                                        ; implicit-def: $vgpr35
                                        ; implicit-def: $vgpr34
	s_andn2_saveexec_b64 s[0:1], s[8:9]
	s_cbranch_execz .LBB68_20
.LBB68_25:
	v_lshl_add_u32 v4, v4, 2, v35
	v_lshlrev_b32_e32 v8, 2, v34
	s_waitcnt lgkmcnt(0)
	s_barrier
	ds_read_b128 v[4:7], v4 offset:512
	ds_read_b32 v8, v8 offset:17412
	s_waitcnt lgkmcnt(1)
	v_pk_add_f16 v0, v4, v0
	v_pk_add_f16 v1, v5, v1
	;; [unrolled: 1-line block ×4, first 2 shown]
	s_waitcnt lgkmcnt(0)
	v_add_f32_e32 v23, v23, v8
	s_or_b64 exec, exec, s[0:1]
	s_and_saveexec_b64 s[0:1], vcc
	s_cbranch_execz .LBB68_21
.LBB68_26:
	s_cmp_eq_u64 s[16:17], 0
	s_cselect_b64 s[0:1], -1, 0
	s_cmp_lg_u32 s7, 0
	s_cselect_b64 s[8:9], -1, 0
	s_or_b64 s[0:1], s[8:9], s[0:1]
	s_and_b64 vcc, exec, s[0:1]
	s_cbranch_vccnz .LBB68_28
; %bb.27:
	v_add_u32_e32 v4, s29, v31
	v_ashrrev_i32_e32 v5, 31, v4
	v_lshlrev_b64 v[4:5], 2, v[4:5]
	v_mov_b32_e32 v6, s17
	v_add_co_u32_e32 v4, vcc, s16, v4
	v_addc_co_u32_e32 v5, vcc, v6, v5, vcc
	global_load_dword v5, v[4:5], off
	v_max_f32_e32 v4, v22, v22
	s_mov_b32 s0, 0x3fb8aa3b
	s_mov_b32 s1, 0xc2ce8ed0
	s_waitcnt vmcnt(0)
	v_max_f32_e32 v6, v5, v5
	v_max_f32_e32 v4, v4, v6
	v_sub_f32_e32 v6, v22, v4
	v_sub_f32_e32 v5, v5, v4
	v_mul_f32_e32 v7, 0x3fb8aa3b, v6
	v_mul_f32_e32 v8, 0x3fb8aa3b, v5
	v_fma_f32 v9, v6, s0, -v7
	v_rndne_f32_e32 v10, v7
	v_fma_f32 v11, v5, s0, -v8
	v_rndne_f32_e32 v12, v8
	v_fmac_f32_e32 v9, 0x32a5705f, v6
	v_sub_f32_e32 v7, v7, v10
	v_fmac_f32_e32 v11, 0x32a5705f, v5
	v_sub_f32_e32 v8, v8, v12
	v_add_f32_e32 v7, v7, v9
	v_cvt_i32_f32_e32 v10, v10
	v_add_f32_e32 v8, v8, v11
	v_exp_f32_e32 v7, v7
	v_cvt_i32_f32_e32 v12, v12
	v_exp_f32_e32 v8, v8
	v_cmp_ngt_f32_e32 vcc, s1, v6
	v_ldexp_f32 v7, v7, v10
	s_mov_b32 s0, 0x42b17218
	v_ldexp_f32 v8, v8, v12
	v_cndmask_b32_e32 v7, 0, v7, vcc
	v_cmp_ngt_f32_e32 vcc, s1, v5
	v_mov_b32_e32 v9, 0x7f800000
	v_cndmask_b32_e32 v8, 0, v8, vcc
	v_cmp_nlt_f32_e32 vcc, s0, v6
	v_cndmask_b32_e32 v6, v9, v7, vcc
	v_cvt_f16_f32_e32 v7, v6
	v_cmp_nlt_f32_e32 vcc, s0, v5
	v_cndmask_b32_e32 v5, v9, v8, vcc
	v_fmac_f32_e32 v5, v23, v6
	v_pk_mul_f16 v0, v7, v0 op_sel_hi:[0,1]
	v_pk_mul_f16 v1, v7, v1 op_sel_hi:[0,1]
	;; [unrolled: 1-line block ×4, first 2 shown]
	v_pk_mov_b32 v[22:23], v[4:5], v[4:5] op_sel:[0,1]
	v_cmp_gt_i32_e32 vcc, s2, v32
	s_and_b64 exec, exec, vcc
	s_cbranch_execz .LBB68_21
	s_branch .LBB68_29
.LBB68_28:
	v_mov_b32_e32 v5, v23
	v_cmp_gt_i32_e32 vcc, s2, v32
	s_and_b64 exec, exec, vcc
	s_cbranch_execz .LBB68_21
.LBB68_29:
	v_div_scale_f32 v4, s[0:1], v5, v5, 1.0
	v_rcp_f32_e32 v6, v4
	s_load_dword s4, s[4:5], 0xd4
	s_mul_i32 s33, s33, s2
	v_cvt_f32_f16_sdwa v15, v1 dst_sel:DWORD dst_unused:UNUSED_PAD src0_sel:WORD_1
	v_fma_f32 v7, -v4, v6, 1.0
	v_fmac_f32_e32 v6, v7, v6
	v_div_scale_f32 v7, vcc, 1.0, v5, 1.0
	v_mul_f32_e32 v8, v7, v6
	v_fma_f32 v9, -v4, v8, v7
	v_fmac_f32_e32 v8, v9, v6
	v_fma_f32 v4, -v4, v8, v7
	s_waitcnt lgkmcnt(0)
	s_cmp_lg_u32 s4, 1
	v_div_fmas_f32 v4, v4, v6, v8
	v_div_fixup_f32 v4, v4, v5, 1.0
	s_cselect_b64 s[0:1], -1, 0
	v_cndmask_b32_e64 v10, v4, 1.0, s[0:1]
	v_add_u32_e32 v4, s33, v32
	v_mul_lo_u32 v4, v4, s3
	v_add3_u32 v4, s29, v31, v4
	v_mul_lo_u32 v4, s4, v4
	v_add_u32_e32 v4, s7, v4
	v_cvt_f32_f16_sdwa v9, v0 dst_sel:DWORD dst_unused:UNUSED_PAD src0_sel:WORD_1
	v_cvt_f32_f16_e32 v8, v0
	v_cvt_f32_f16_e32 v14, v1
	v_lshl_add_u32 v12, v4, 8, v33
	v_mov_b32_e32 v13, 0
	v_lshlrev_b64 v[6:7], 2, v[12:13]
	v_mov_b32_e32 v5, s21
	v_add_co_u32_e32 v0, vcc, s20, v6
	v_addc_co_u32_e32 v1, vcc, v5, v7, vcc
	v_pk_mul_f32 v[6:7], v[10:11], v[8:9] op_sel_hi:[0,1]
	v_pk_mul_f32 v[8:9], v[10:11], v[14:15] op_sel_hi:[0,1]
	v_add_u32_e32 v12, 0x80, v12
	global_store_dwordx4 v[0:1], v[6:9], off
	v_lshlrev_b64 v[0:1], 2, v[12:13]
	v_cvt_f32_f16_sdwa v7, v2 dst_sel:DWORD dst_unused:UNUSED_PAD src0_sel:WORD_1
	v_cvt_f32_f16_e32 v6, v2
	v_cvt_f32_f16_sdwa v9, v3 dst_sel:DWORD dst_unused:UNUSED_PAD src0_sel:WORD_1
	v_cvt_f32_f16_e32 v8, v3
	v_add_co_u32_e32 v12, vcc, s20, v0
	v_addc_co_u32_e32 v13, vcc, v5, v1, vcc
	v_cmp_eq_u32_e32 vcc, 0, v30
	v_pk_mul_f32 v[0:1], v[10:11], v[6:7] op_sel_hi:[0,1]
	v_pk_mul_f32 v[2:3], v[10:11], v[8:9] op_sel_hi:[0,1]
	s_and_b64 s[0:1], vcc, s[0:1]
	global_store_dwordx4 v[12:13], v[0:3], off
	s_and_b64 exec, exec, s[0:1]
	s_cbranch_execz .LBB68_21
; %bb.30:
	v_ashrrev_i32_e32 v5, 31, v4
	v_lshlrev_b64 v[0:1], 3, v[4:5]
	v_mov_b32_e32 v2, s23
	v_add_co_u32_e32 v0, vcc, s22, v0
	v_addc_co_u32_e32 v1, vcc, v2, v1, vcc
	global_store_dwordx2 v[0:1], v[22:23], off
	s_endpgm
	.section	.rodata,"a",@progbits
	.p2align	6, 0x0
	.amdhsa_kernel _ZL15flash_attn_tileILi256ELi256ELi2ELi2ELb1EEvPKcS1_S1_S1_S1_PKiPfP15HIP_vector_typeIfLj2EEffffjfiS5_IjLj3EEiiiiiiiiiiiliiliiiiil
		.amdhsa_group_segment_fixed_size 20000
		.amdhsa_private_segment_fixed_size 0
		.amdhsa_kernarg_size 464
		.amdhsa_user_sgpr_count 6
		.amdhsa_user_sgpr_private_segment_buffer 1
		.amdhsa_user_sgpr_dispatch_ptr 0
		.amdhsa_user_sgpr_queue_ptr 0
		.amdhsa_user_sgpr_kernarg_segment_ptr 1
		.amdhsa_user_sgpr_dispatch_id 0
		.amdhsa_user_sgpr_flat_scratch_init 0
		.amdhsa_user_sgpr_kernarg_preload_length 0
		.amdhsa_user_sgpr_kernarg_preload_offset 0
		.amdhsa_user_sgpr_private_segment_size 0
		.amdhsa_uses_dynamic_stack 0
		.amdhsa_system_sgpr_private_segment_wavefront_offset 0
		.amdhsa_system_sgpr_workgroup_id_x 1
		.amdhsa_system_sgpr_workgroup_id_y 1
		.amdhsa_system_sgpr_workgroup_id_z 1
		.amdhsa_system_sgpr_workgroup_info 0
		.amdhsa_system_vgpr_workitem_id 1
		.amdhsa_next_free_vgpr 96
		.amdhsa_next_free_sgpr 44
		.amdhsa_accum_offset 96
		.amdhsa_reserve_vcc 1
		.amdhsa_reserve_flat_scratch 0
		.amdhsa_float_round_mode_32 0
		.amdhsa_float_round_mode_16_64 0
		.amdhsa_float_denorm_mode_32 3
		.amdhsa_float_denorm_mode_16_64 3
		.amdhsa_dx10_clamp 1
		.amdhsa_ieee_mode 1
		.amdhsa_fp16_overflow 0
		.amdhsa_tg_split 0
		.amdhsa_exception_fp_ieee_invalid_op 0
		.amdhsa_exception_fp_denorm_src 0
		.amdhsa_exception_fp_ieee_div_zero 0
		.amdhsa_exception_fp_ieee_overflow 0
		.amdhsa_exception_fp_ieee_underflow 0
		.amdhsa_exception_fp_ieee_inexact 0
		.amdhsa_exception_int_div_zero 0
	.end_amdhsa_kernel
	.section	.text._ZL15flash_attn_tileILi256ELi256ELi2ELi2ELb1EEvPKcS1_S1_S1_S1_PKiPfP15HIP_vector_typeIfLj2EEffffjfiS5_IjLj3EEiiiiiiiiiiiliiliiiiil,"axG",@progbits,_ZL15flash_attn_tileILi256ELi256ELi2ELi2ELb1EEvPKcS1_S1_S1_S1_PKiPfP15HIP_vector_typeIfLj2EEffffjfiS5_IjLj3EEiiiiiiiiiiiliiliiiiil,comdat
.Lfunc_end68:
	.size	_ZL15flash_attn_tileILi256ELi256ELi2ELi2ELb1EEvPKcS1_S1_S1_S1_PKiPfP15HIP_vector_typeIfLj2EEffffjfiS5_IjLj3EEiiiiiiiiiiiliiliiiiil, .Lfunc_end68-_ZL15flash_attn_tileILi256ELi256ELi2ELi2ELb1EEvPKcS1_S1_S1_S1_PKiPfP15HIP_vector_typeIfLj2EEffffjfiS5_IjLj3EEiiiiiiiiiiiliiliiiiil
                                        ; -- End function
	.section	.AMDGPU.csdata,"",@progbits
; Kernel info:
; codeLenInByte = 7988
; NumSgprs: 48
; NumVgprs: 96
; NumAgprs: 0
; TotalNumVgprs: 96
; ScratchSize: 0
; MemoryBound: 0
; FloatMode: 240
; IeeeMode: 1
; LDSByteSize: 20000 bytes/workgroup (compile time only)
; SGPRBlocks: 5
; VGPRBlocks: 11
; NumSGPRsForWavesPerEU: 48
; NumVGPRsForWavesPerEU: 96
; AccumOffset: 96
; Occupancy: 3
; WaveLimiterHint : 1
; COMPUTE_PGM_RSRC2:SCRATCH_EN: 0
; COMPUTE_PGM_RSRC2:USER_SGPR: 6
; COMPUTE_PGM_RSRC2:TRAP_HANDLER: 0
; COMPUTE_PGM_RSRC2:TGID_X_EN: 1
; COMPUTE_PGM_RSRC2:TGID_Y_EN: 1
; COMPUTE_PGM_RSRC2:TGID_Z_EN: 1
; COMPUTE_PGM_RSRC2:TIDIG_COMP_CNT: 1
; COMPUTE_PGM_RSRC3_GFX90A:ACCUM_OFFSET: 23
; COMPUTE_PGM_RSRC3_GFX90A:TG_SPLIT: 0
	.section	.text._ZL15flash_attn_tileILi256ELi256ELi1ELi2ELb1EEvPKcS1_S1_S1_S1_PKiPfP15HIP_vector_typeIfLj2EEffffjfiS5_IjLj3EEiiiiiiiiiiiliiliiiiil,"axG",@progbits,_ZL15flash_attn_tileILi256ELi256ELi1ELi2ELb1EEvPKcS1_S1_S1_S1_PKiPfP15HIP_vector_typeIfLj2EEffffjfiS5_IjLj3EEiiiiiiiiiiiliiliiiiil,comdat
	.globl	_ZL15flash_attn_tileILi256ELi256ELi1ELi2ELb1EEvPKcS1_S1_S1_S1_PKiPfP15HIP_vector_typeIfLj2EEffffjfiS5_IjLj3EEiiiiiiiiiiiliiliiiiil ; -- Begin function _ZL15flash_attn_tileILi256ELi256ELi1ELi2ELb1EEvPKcS1_S1_S1_S1_PKiPfP15HIP_vector_typeIfLj2EEffffjfiS5_IjLj3EEiiiiiiiiiiiliiliiiiil
	.p2align	8
	.type	_ZL15flash_attn_tileILi256ELi256ELi1ELi2ELb1EEvPKcS1_S1_S1_S1_PKiPfP15HIP_vector_typeIfLj2EEffffjfiS5_IjLj3EEiiiiiiiiiiiliiliiiiil,@function
_ZL15flash_attn_tileILi256ELi256ELi1ELi2ELb1EEvPKcS1_S1_S1_S1_PKiPfP15HIP_vector_typeIfLj2EEffffjfiS5_IjLj3EEiiiiiiiiiiiliiliiiiil: ; @_ZL15flash_attn_tileILi256ELi256ELi1ELi2ELb1EEvPKcS1_S1_S1_S1_PKiPfP15HIP_vector_typeIfLj2EEffffjfiS5_IjLj3EEiiiiiiiiiiiliiliiiiil
; %bb.0:
	s_load_dwordx4 s[24:27], s[4:5], 0x5c
	s_load_dwordx2 s[2:3], s[4:5], 0x80
	s_load_dwordx2 s[36:37], s[4:5], 0xb8
	s_mov_b64 s[34:35], 0
	s_waitcnt lgkmcnt(0)
	s_lshr_b32 s0, s27, 31
	s_add_i32 s0, s27, s0
	s_ashr_i32 s0, s0, 1
	v_cvt_f32_u32_e32 v1, s0
	s_sub_i32 s1, 0, s0
	v_rcp_iflag_f32_e32 v1, v1
	v_mul_f32_e32 v1, 0x4f7ffffe, v1
	v_cvt_u32_f32_e32 v1, v1
	v_readfirstlane_b32 s9, v1
	s_mul_i32 s1, s1, s9
	s_mul_hi_u32 s1, s9, s1
	s_add_i32 s9, s9, s1
	s_mul_hi_u32 s1, s8, s9
	s_mul_i32 s9, s1, s0
	s_sub_i32 s9, s8, s9
	s_add_i32 s10, s1, 1
	s_sub_i32 s11, s9, s0
	s_cmp_ge_u32 s9, s0
	s_cselect_b32 s1, s10, s1
	s_cselect_b32 s9, s11, s9
	s_add_i32 s10, s1, 1
	s_cmp_ge_u32 s9, s0
	s_cselect_b32 s33, s10, s1
	s_abs_i32 s1, s3
	v_cvt_f32_u32_e32 v1, s1
	s_sub_i32 s9, 0, s1
	s_lshl_b32 s0, s8, 1
	s_abs_i32 s8, s27
	v_rcp_iflag_f32_e32 v1, v1
	s_xor_b32 s3, s27, s3
	s_ashr_i32 s3, s3, 31
	v_mul_f32_e32 v1, 0x4f7ffffe, v1
	v_cvt_u32_f32_e32 v1, v1
	v_readfirstlane_b32 s10, v1
	s_mul_i32 s9, s9, s10
	s_mul_hi_u32 s9, s10, s9
	s_add_i32 s10, s10, s9
	s_mul_hi_u32 s9, s8, s10
	s_mul_i32 s10, s9, s1
	s_sub_i32 s8, s8, s10
	s_add_i32 s11, s9, 1
	s_sub_i32 s10, s8, s1
	s_cmp_ge_u32 s8, s1
	s_cselect_b32 s9, s11, s9
	s_cselect_b32 s8, s10, s8
	s_add_i32 s10, s9, 1
	s_cmp_ge_u32 s8, s1
	s_cselect_b32 s1, s10, s9
	s_xor_b32 s1, s1, s3
	s_sub_i32 s39, s1, s3
	s_abs_i32 s38, s39
	v_cvt_f32_u32_e32 v1, s38
	s_load_dwordx16 s[8:23], s[4:5], 0x0
	s_mul_i32 s1, s33, s27
	v_rcp_iflag_f32_e32 v1, v1
	s_waitcnt lgkmcnt(0)
	s_cmp_eq_u64 s[14:15], 0
	v_mul_f32_e32 v1, 0x4f7ffffe, v1
	v_cvt_u32_f32_e32 v1, v1
	v_readfirstlane_b32 s28, v1
	s_cbranch_scc1 .LBB69_2
; %bb.1:
	s_abs_i32 s3, s36
	v_cvt_f32_u32_e32 v1, s3
	s_sub_i32 s35, 0, s3
	s_abs_i32 s34, s33
	s_ashr_i32 s29, s33, 31
	v_rcp_iflag_f32_e32 v1, v1
	s_load_dwordx2 s[30:31], s[4:5], 0xc8
	v_mul_f32_e32 v1, 0x4f7ffffe, v1
	v_cvt_u32_f32_e32 v1, v1
	v_readfirstlane_b32 s36, v1
	s_mul_i32 s35, s35, s36
	s_mul_hi_u32 s35, s36, s35
	s_add_i32 s36, s36, s35
	s_mul_hi_u32 s35, s34, s36
	s_mul_i32 s35, s35, s3
	s_sub_i32 s34, s34, s35
	s_sub_i32 s35, s34, s3
	s_cmp_ge_u32 s34, s3
	s_cselect_b32 s34, s35, s34
	s_sub_i32 s35, s34, s3
	s_cmp_ge_u32 s34, s3
	s_cselect_b32 s3, s35, s34
	s_xor_b32 s3, s3, s29
	s_sub_i32 s3, s3, s29
	s_ashr_i32 s29, s3, 31
	s_waitcnt lgkmcnt(0)
	s_mul_i32 s31, s3, s31
	s_mul_hi_u32 s34, s3, s30
	s_add_i32 s31, s34, s31
	s_mul_i32 s29, s29, s30
	s_add_i32 s31, s31, s29
	s_mul_i32 s3, s3, s30
	s_add_u32 s34, s14, s3
	s_addc_u32 s35, s15, s31
.LBB69_2:
	v_bfe_u32 v34, v0, 10, 10
	v_lshlrev_b32_e32 v35, 7, v34
	v_and_b32_e32 v5, 0x3ff, v0
	v_lshrrev_b32_e32 v32, 3, v34
	v_and_b32_e32 v1, 0x180, v35
	v_lshlrev_b32_e32 v4, 2, v5
	s_sub_i32 s14, s0, s1
	v_add_u32_e32 v0, v1, v4
	s_movk_i32 s0, 0x100
	v_add_u32_e32 v6, s6, v32
	v_bfe_u32 v33, v34, 2, 1
	v_cmp_gt_u32_e32 vcc, s0, v0
	v_mul_hi_u32 v8, s24, v6
	v_lshlrev_b32_e32 v36, 2, v4
	s_and_saveexec_b64 s[0:1], vcc
	s_cbranch_execz .LBB69_4
; %bb.3:
	s_load_dwordx4 s[40:43], s[4:5], 0x70
	v_lshlrev_b32_e32 v9, 6, v34
	v_and_b32_e32 v9, 0xc0, v9
	s_waitcnt lgkmcnt(0)
	s_mul_i32 s3, s33, s42
	s_ashr_i32 s24, s3, 31
	s_mul_i32 s15, s14, s41
	s_add_u32 s3, s8, s3
	s_addc_u32 s8, s9, s24
	s_ashr_i32 s9, s15, 31
	s_add_u32 s3, s3, s15
	v_mov_b32_e32 v0, s41
	s_addc_u32 s15, s8, s9
	s_ashr_i32 s8, s41, 31
	v_alignbit_b32 v0, s8, v0, 2
	v_mul_lo_u32 v2, v0, v33
	v_add_u32_e32 v0, v6, v8
	v_lshrrev_b32_e32 v0, s25, v0
	v_mul_lo_u32 v0, v0, s26
	v_sub_u32_e32 v7, v6, v0
	s_ashr_i32 s24, s40, 31
	v_mov_b32_e32 v0, s40
	s_lshr_b32 s8, s8, 2
	v_alignbit_b32 v0, s24, v0, 2
	v_mul_lo_u32 v3, s8, v33
	v_mad_u64_u32 v[10:11], s[8:9], v0, v7, 0
	v_mov_b32_e32 v0, v11
	s_lshr_b32 s8, s24, 2
	v_mad_u64_u32 v[12:13], s[8:9], s8, v7, v[0:1]
	v_lshlrev_b64 v[2:3], 2, v[2:3]
	v_mov_b32_e32 v11, v12
	v_mov_b32_e32 v0, s15
	v_add_co_u32_e32 v7, vcc, s3, v2
	v_addc_co_u32_e32 v0, vcc, v0, v3, vcc
	v_lshlrev_b64 v[2:3], 2, v[10:11]
	v_add_co_u32_e32 v2, vcc, v7, v2
	v_addc_co_u32_e32 v0, vcc, v0, v3, vcc
	v_lshlrev_b32_e32 v1, 2, v1
	v_add_co_u32_e32 v1, vcc, v2, v1
	v_addc_co_u32_e32 v2, vcc, 0, v0, vcc
	v_add_co_u32_e32 v0, vcc, v1, v36
	v_addc_co_u32_e32 v1, vcc, 0, v2, vcc
	global_load_dwordx4 v[0:3], v[0:1], off
	s_load_dword s8, s[4:5], 0x40
	v_lshrrev_b32_e32 v7, 2, v34
	v_lshlrev_b32_e32 v7, 7, v7
	s_waitcnt vmcnt(0) lgkmcnt(0)
	v_pk_mul_f32 v[0:1], v[0:1], s[8:9] op_sel_hi:[1,0]
	v_pk_mul_f32 v[2:3], v[2:3], s[8:9] op_sel_hi:[1,0]
	v_cvt_f16_f32_e32 v10, v1
	v_cvt_f16_f32_e32 v1, v3
	;; [unrolled: 1-line block ×4, first 2 shown]
	v_lshl_add_u32 v3, v5, 1, v9
	v_add_lshl_u32 v3, v3, v7, 2
	v_pack_b32_f16 v1, v2, v1
	v_pack_b32_f16 v0, v0, v10
	ds_write_b64 v3, v[0:1] offset:18432
.LBB69_4:
	s_or_b64 exec, exec, s[0:1]
	s_cmp_eq_u64 s[18:19], 0
	s_waitcnt lgkmcnt(0)
	s_barrier
	s_cbranch_scc1 .LBB69_6
; %bb.5:
	s_load_dword s0, s[4:5], 0xd0
	s_mov_b32 s1, 0
	s_waitcnt lgkmcnt(0)
	s_mul_i32 s0, s0, s33
	s_add_i32 s0, s0, s6
	s_lshl_b64 s[0:1], s[0:1], 2
	s_add_u32 s0, s18, s0
	s_addc_u32 s1, s19, s1
	s_load_dword s2, s[0:1], 0x0
.LBB69_6:
	s_lshl_b32 s3, s7, 7
	s_waitcnt lgkmcnt(0)
	s_cmp_lt_i32 s3, s2
	v_mbcnt_lo_u32_b32 v16, -1, 0
	v_and_b32_e32 v38, 3, v34
	s_cbranch_scc1 .LBB69_8
; %bb.7:
	v_mbcnt_hi_u32_b32 v7, -1, v16
	v_and_b32_e32 v0, 0x60, v7
	s_mov_b32 s8, 0
	v_add_u32_e32 v25, 32, v0
	v_xor_b32_e32 v26, 16, v7
	v_xor_b32_e32 v27, 8, v7
	;; [unrolled: 1-line block ×5, first 2 shown]
	v_and_b32_e32 v9, 3, v34
	s_mov_b64 s[0:1], 0
	s_mov_b32 s9, 0xfeffffff
	s_branch .LBB69_9
.LBB69_8:
	s_mov_b64 s[0:1], -1
                                        ; implicit-def: $sgpr9
                                        ; implicit-def: $sgpr8
                                        ; implicit-def: $vgpr7
                                        ; implicit-def: $vgpr25
                                        ; implicit-def: $vgpr26
                                        ; implicit-def: $vgpr27
                                        ; implicit-def: $vgpr28
                                        ; implicit-def: $vgpr29
                                        ; implicit-def: $vgpr30
                                        ; implicit-def: $vgpr9
.LBB69_9:
	s_andn2_b64 vcc, exec, s[0:1]
	v_mov_b32_e32 v24, s9
	v_mov_b32_e32 v50, s8
	;; [unrolled: 1-line block ×3, first 2 shown]
	v_lshlrev_b32_e32 v37, 2, v34
	v_cmp_eq_u32_e64 s[0:1], 0, v5
	v_mov_b32_e32 v2, s8
	v_mov_b32_e32 v0, s8
	;; [unrolled: 1-line block ×3, first 2 shown]
	s_cbranch_vccnz .LBB69_20
; %bb.10:
	s_sub_i32 s8, 0, s38
	s_mul_i32 s8, s8, s28
	s_mul_hi_u32 s8, s28, s8
	s_abs_i32 s24, s14
	s_add_i32 s28, s28, s8
	s_mul_hi_u32 s36, s24, s28
	s_load_dwordx4 s[28:31], s[4:5], 0x98
	s_load_dword s15, s[4:5], 0x54
	s_load_dwordx2 s[8:9], s[4:5], 0x8c
	s_ashr_i32 s42, s14, 31
	s_ashr_i32 s39, s39, 31
	s_waitcnt lgkmcnt(0)
	s_ashr_i32 s18, s30, 2
	s_ashr_i32 s30, s33, 31
	;; [unrolled: 1-line block ×4, first 2 shown]
	s_mul_i32 s29, s33, s29
	s_mul_hi_u32 s37, s33, s28
	s_add_i32 s29, s37, s29
	s_mul_i32 s37, s30, s28
	s_add_i32 s29, s29, s37
	s_mul_i32 s28, s33, s28
	s_add_u32 s10, s10, s28
	s_addc_u32 s11, s11, s29
	s_mul_i32 s29, s36, s38
	s_sub_i32 s24, s24, s29
	s_xor_b32 s28, s42, s39
	s_add_i32 s29, s36, 1
	s_sub_i32 s37, s24, s38
	s_cmp_ge_u32 s24, s38
	s_cselect_b32 s29, s29, s36
	s_cselect_b32 s24, s37, s24
	s_add_i32 s36, s29, 1
	s_cmp_ge_u32 s24, s38
	s_load_dwordx2 s[40:41], s[4:5], 0xa8
	s_cselect_b32 s24, s36, s29
	s_xor_b32 s24, s24, s28
	s_sub_i32 s29, s24, s28
	s_mul_i32 s9, s29, s9
	s_ashr_i32 s28, s9, 31
	s_add_u32 s24, s10, s9
	s_waitcnt lgkmcnt(0)
	s_mul_i32 s9, s33, s41
	s_mul_hi_u32 s10, s33, s40
	s_addc_u32 s28, s11, s28
	s_add_i32 s9, s10, s9
	s_mul_i32 s30, s30, s40
	s_add_i32 s9, s9, s30
	s_mul_i32 s10, s33, s40
	s_add_u32 s10, s12, s10
	s_mul_i32 s29, s29, s31
	v_lshlrev_b32_e32 v7, 5, v34
	s_addc_u32 s9, s13, s9
	s_ashr_i32 s11, s29, 31
	v_lshrrev_b32_e32 v0, 3, v5
	v_and_b32_e32 v9, 0x60, v7
	s_add_u32 s12, s10, s29
	v_add_u32_e32 v2, v0, v37
	v_and_b32_e32 v0, 28, v4
	v_add_u32_e32 v18, v9, v5
	v_and_b32_e32 v9, 0x7f80, v7
	v_mov_b32_e32 v7, 0x4800
	s_addc_u32 s13, s9, s11
	v_lshlrev_b32_e32 v3, 2, v0
	s_movk_i32 s9, 0x90
	v_lshl_add_u32 v44, v9, 2, v7
	v_add_u32_e32 v7, v6, v8
	v_mad_u32_u24 v39, v2, s9, v3
	v_mul_lo_u32 v2, s19, v2
	s_lshl_b32 s9, s19, 5
	v_lshrrev_b32_e32 v7, s25, v7
	v_add_u32_e32 v10, s9, v2
	v_mul_lo_u32 v7, v7, s26
	v_add_u32_e32 v12, s9, v10
	v_sub_u32_e32 v6, v6, v7
	v_add_u32_e32 v14, s9, v12
	v_mad_u64_u32 v[6:7], s[8:9], v6, s8, v[18:19]
	v_and_b32_e32 v7, 3, v5
	s_movk_i32 s8, 0x3fc
	v_and_or_b32 v7, v34, s8, v7
	v_mov_b32_e32 v8, 0x4e00
	v_lshl_add_u32 v46, v7, 2, v8
	v_mov_b32_e32 v7, 0x4c00
	v_lshl_add_u32 v7, v9, 1, v7
	v_mul_u32_u24_e32 v43, 0x90, v18
	v_lshl_add_u32 v47, v18, 1, v7
	v_mul_lo_u32 v18, s18, v34
	s_lshl_b32 s8, s18, 3
	v_add_u32_e32 v20, s8, v18
	v_add_u32_e32 v22, s8, v20
	;; [unrolled: 1-line block ×3, first 2 shown]
	v_lshlrev_b32_e32 v54, 9, v38
	v_mov_b32_e32 v1, 0
	v_ashrrev_i32_e32 v3, 31, v2
	v_ashrrev_i32_e32 v11, 31, v10
	;; [unrolled: 1-line block ×4, first 2 shown]
	v_lshl_add_u32 v48, v34, 9, v36
	v_ashrrev_i32_e32 v19, 31, v18
	v_ashrrev_i32_e32 v21, 31, v20
	;; [unrolled: 1-line block ×4, first 2 shown]
	v_lshlrev_b32_e32 v53, 3, v5
	v_or_b32_e32 v26, 0x800, v54
	v_or_b32_e32 v27, 0x1000, v54
	;; [unrolled: 1-line block ×7, first 2 shown]
	s_add_u32 s8, s4, 0xd0
	v_add_u32_e32 v40, 0x1200, v39
	v_add_u32_e32 v41, 0x2400, v39
	;; [unrolled: 1-line block ×7, first 2 shown]
	v_lshl_or_b32 v55, v38, 1, v7
	s_addc_u32 s9, s5, 0
	v_mov_b32_e32 v69, 0xfeffffff
	v_lshlrev_b64 v[8:9], 2, v[2:3]
	v_lshlrev_b32_e32 v56, 2, v0
	v_lshlrev_b64 v[10:11], 2, v[10:11]
	v_lshlrev_b64 v[12:13], 2, v[12:13]
	;; [unrolled: 1-line block ×3, first 2 shown]
	s_mov_b32 s25, 0x3f200000
	s_mov_b32 s29, 0x3fb8aa3b
	;; [unrolled: 1-line block ×4, first 2 shown]
	v_mov_b32_e32 v57, 0xbd5c1c4e
	v_mov_b32_e32 v58, 0x3e088382
	;; [unrolled: 1-line block ×3, first 2 shown]
	s_brev_b32 s36, -2
	v_mbcnt_hi_u32_b32 v7, -1, v16
	v_lshlrev_b64 v[16:17], 2, v[18:19]
	v_lshlrev_b32_e32 v60, 2, v4
	v_lshlrev_b64 v[18:19], 2, v[20:21]
	v_lshlrev_b64 v[20:21], 2, v[22:23]
	;; [unrolled: 1-line block ×3, first 2 shown]
	v_add_u32_e32 v61, v53, v26
	v_add_u32_e32 v62, v53, v27
	;; [unrolled: 1-line block ×7, first 2 shown]
	v_mov_b32_e32 v68, 0x7f800000
	v_mov_b32_e32 v0, v1
	;; [unrolled: 1-line block ×5, first 2 shown]
.LBB69_11:                              ; =>This Inner Loop Header: Depth=1
	s_mul_hi_i32 s11, s3, s19
	s_mul_i32 s10, s3, s19
	s_lshl_b64 s[10:11], s[10:11], 2
	s_add_u32 s10, s24, s10
	s_addc_u32 s11, s28, s11
	v_mov_b32_e32 v24, s11
	v_add_co_u32_e32 v25, vcc, s10, v8
	v_addc_co_u32_e32 v26, vcc, v24, v9, vcc
	v_add_co_u32_e32 v24, vcc, v25, v56
	v_addc_co_u32_e32 v25, vcc, 0, v26, vcc
	v_mov_b32_e32 v26, s11
	v_add_co_u32_e32 v27, vcc, s10, v10
	v_addc_co_u32_e32 v28, vcc, v26, v11, vcc
	v_add_co_u32_e32 v26, vcc, v27, v56
	v_addc_co_u32_e32 v27, vcc, 0, v28, vcc
	;; [unrolled: 5-line block ×3, first 2 shown]
	v_mov_b32_e32 v30, s11
	v_add_co_u32_e32 v31, vcc, s10, v14
	v_addc_co_u32_e32 v78, vcc, v30, v15, vcc
	v_add_co_u32_e32 v30, vcc, v31, v56
	global_load_dwordx4 v[70:73], v[24:25], off
	global_load_dwordx4 v[74:77], v[26:27], off
	v_addc_co_u32_e32 v31, vcc, 0, v78, vcc
	global_load_dwordx4 v[78:81], v[28:29], off
	global_load_dwordx4 v[82:85], v[30:31], off
	s_waitcnt vmcnt(3)
	ds_write_b128 v39, v[70:73]
	s_waitcnt vmcnt(2)
	ds_write_b128 v40, v[74:77]
	;; [unrolled: 2-line block ×4, first 2 shown]
	s_waitcnt lgkmcnt(0)
	s_barrier
	ds_read_b128 v[72:75], v43
	ds_read_b128 v[76:79], v44
	v_mov_b32_e32 v70, 0
	s_waitcnt lgkmcnt(0)
	;;#ASMSTART
	v_dot2_f32_f16 v70, v72, v76, v70
	;;#ASMEND
	;;#ASMSTART
	v_dot2_f32_f16 v70, v73, v77, v70
	;;#ASMEND
	;;#ASMSTART
	v_dot2_f32_f16 v70, v74, v78, v70
	;;#ASMEND
	;;#ASMSTART
	v_dot2_f32_f16 v70, v75, v79, v70
	;;#ASMEND
	ds_read_b128 v[72:75], v43 offset:16
	ds_read_b128 v[76:79], v44 offset:16
	s_waitcnt lgkmcnt(0)
	;;#ASMSTART
	v_dot2_f32_f16 v70, v72, v76, v70
	;;#ASMEND
	;;#ASMSTART
	v_dot2_f32_f16 v70, v73, v77, v70
	;;#ASMEND
	;;#ASMSTART
	v_dot2_f32_f16 v70, v74, v78, v70
	;;#ASMEND
	;;#ASMSTART
	v_dot2_f32_f16 v70, v75, v79, v70
	;;#ASMEND
	ds_read_b128 v[72:75], v43 offset:32
	ds_read_b128 v[76:79], v44 offset:32
	;; [unrolled: 15-line block ×7, first 2 shown]
	s_waitcnt lgkmcnt(0)
	;;#ASMSTART
	v_dot2_f32_f16 v70, v72, v76, v70
	;;#ASMEND
	;;#ASMSTART
	v_dot2_f32_f16 v70, v73, v77, v70
	;;#ASMEND
	;; [unrolled: 3-line block ×4, first 2 shown]
	s_barrier
	global_load_dwordx4 v[72:75], v[24:25], off offset:128
	global_load_dwordx4 v[76:79], v[26:27], off offset:128
	;; [unrolled: 1-line block ×4, first 2 shown]
	s_waitcnt vmcnt(3)
	ds_write_b128 v39, v[72:75]
	s_waitcnt vmcnt(2)
	ds_write_b128 v40, v[76:79]
	;; [unrolled: 2-line block ×4, first 2 shown]
	s_waitcnt lgkmcnt(0)
	s_barrier
	ds_read_b128 v[72:75], v43
	ds_read_b128 v[76:79], v44 offset:128
	s_waitcnt lgkmcnt(0)
	;;#ASMSTART
	v_dot2_f32_f16 v70, v72, v76, v70
	;;#ASMEND
	;;#ASMSTART
	v_dot2_f32_f16 v70, v73, v77, v70
	;;#ASMEND
	;;#ASMSTART
	v_dot2_f32_f16 v70, v74, v78, v70
	;;#ASMEND
	;;#ASMSTART
	v_dot2_f32_f16 v70, v75, v79, v70
	;;#ASMEND
	ds_read_b128 v[72:75], v43 offset:16
	ds_read_b128 v[76:79], v44 offset:144
	s_waitcnt lgkmcnt(0)
	;;#ASMSTART
	v_dot2_f32_f16 v70, v72, v76, v70
	;;#ASMEND
	;;#ASMSTART
	v_dot2_f32_f16 v70, v73, v77, v70
	;;#ASMEND
	;;#ASMSTART
	v_dot2_f32_f16 v70, v74, v78, v70
	;;#ASMEND
	;;#ASMSTART
	v_dot2_f32_f16 v70, v75, v79, v70
	;;#ASMEND
	ds_read_b128 v[72:75], v43 offset:32
	;; [unrolled: 15-line block ×7, first 2 shown]
	ds_read_b128 v[76:79], v44 offset:240
	s_waitcnt lgkmcnt(0)
	;;#ASMSTART
	v_dot2_f32_f16 v70, v72, v76, v70
	;;#ASMEND
	;;#ASMSTART
	v_dot2_f32_f16 v70, v73, v77, v70
	;;#ASMEND
	;; [unrolled: 3-line block ×4, first 2 shown]
	s_barrier
	global_load_dwordx4 v[72:75], v[24:25], off offset:256
	global_load_dwordx4 v[76:79], v[26:27], off offset:256
	;; [unrolled: 1-line block ×4, first 2 shown]
	s_waitcnt vmcnt(3)
	ds_write_b128 v39, v[72:75]
	s_waitcnt vmcnt(2)
	ds_write_b128 v40, v[76:79]
	;; [unrolled: 2-line block ×4, first 2 shown]
	s_waitcnt lgkmcnt(0)
	s_barrier
	ds_read_b128 v[72:75], v43
	ds_read_b128 v[76:79], v44 offset:256
	s_waitcnt lgkmcnt(0)
	;;#ASMSTART
	v_dot2_f32_f16 v70, v72, v76, v70
	;;#ASMEND
	;;#ASMSTART
	v_dot2_f32_f16 v70, v73, v77, v70
	;;#ASMEND
	;;#ASMSTART
	v_dot2_f32_f16 v70, v74, v78, v70
	;;#ASMEND
	;;#ASMSTART
	v_dot2_f32_f16 v70, v75, v79, v70
	;;#ASMEND
	ds_read_b128 v[72:75], v43 offset:16
	ds_read_b128 v[76:79], v44 offset:272
	s_waitcnt lgkmcnt(0)
	;;#ASMSTART
	v_dot2_f32_f16 v70, v72, v76, v70
	;;#ASMEND
	;;#ASMSTART
	v_dot2_f32_f16 v70, v73, v77, v70
	;;#ASMEND
	;;#ASMSTART
	v_dot2_f32_f16 v70, v74, v78, v70
	;;#ASMEND
	;;#ASMSTART
	v_dot2_f32_f16 v70, v75, v79, v70
	;;#ASMEND
	ds_read_b128 v[72:75], v43 offset:32
	;; [unrolled: 15-line block ×7, first 2 shown]
	ds_read_b128 v[76:79], v44 offset:368
	s_waitcnt lgkmcnt(0)
	;;#ASMSTART
	v_dot2_f32_f16 v70, v72, v76, v70
	;;#ASMEND
	;;#ASMSTART
	v_dot2_f32_f16 v70, v73, v77, v70
	;;#ASMEND
	;; [unrolled: 3-line block ×4, first 2 shown]
	s_barrier
	global_load_dwordx4 v[72:75], v[24:25], off offset:384
	global_load_dwordx4 v[76:79], v[26:27], off offset:384
	;; [unrolled: 1-line block ×4, first 2 shown]
	s_waitcnt vmcnt(3)
	ds_write_b128 v39, v[72:75]
	s_waitcnt vmcnt(2)
	ds_write_b128 v40, v[76:79]
	s_waitcnt vmcnt(1)
	ds_write_b128 v41, v[80:83]
	s_waitcnt vmcnt(0)
	ds_write_b128 v42, v[84:87]
	s_waitcnt lgkmcnt(0)
	s_barrier
	ds_read_b128 v[24:27], v43
	ds_read_b128 v[28:31], v44 offset:384
	s_waitcnt lgkmcnt(0)
	;;#ASMSTART
	v_dot2_f32_f16 v70, v24, v28, v70
	;;#ASMEND
	;;#ASMSTART
	v_dot2_f32_f16 v70, v25, v29, v70
	;;#ASMEND
	;;#ASMSTART
	v_dot2_f32_f16 v70, v26, v30, v70
	;;#ASMEND
	;;#ASMSTART
	v_dot2_f32_f16 v70, v27, v31, v70
	;;#ASMEND
	ds_read_b128 v[24:27], v43 offset:16
	ds_read_b128 v[28:31], v44 offset:400
	s_waitcnt lgkmcnt(0)
	;;#ASMSTART
	v_dot2_f32_f16 v70, v24, v28, v70
	;;#ASMEND
	;;#ASMSTART
	v_dot2_f32_f16 v70, v25, v29, v70
	;;#ASMEND
	;;#ASMSTART
	v_dot2_f32_f16 v70, v26, v30, v70
	;;#ASMEND
	;;#ASMSTART
	v_dot2_f32_f16 v70, v27, v31, v70
	;;#ASMEND
	ds_read_b128 v[24:27], v43 offset:32
	;; [unrolled: 15-line block ×7, first 2 shown]
	ds_read_b128 v[28:31], v44 offset:496
	s_waitcnt lgkmcnt(0)
	;;#ASMSTART
	v_dot2_f32_f16 v70, v24, v28, v70
	;;#ASMEND
	;;#ASMSTART
	v_dot2_f32_f16 v70, v25, v29, v70
	;;#ASMEND
	;; [unrolled: 3-line block ×4, first 2 shown]
	v_cmp_nlt_f32_e64 s[10:11], |v70|, s25
                                        ; implicit-def: $vgpr24
	s_and_saveexec_b64 s[38:39], s[10:11]
	s_xor_b64 s[10:11], exec, s[38:39]
	s_cbranch_execz .LBB69_13
; %bb.12:                               ;   in Loop: Header=BB69_11 Depth=1
	v_add_f32_e64 v24, |v70|, |v70|
	v_mul_f32_e32 v25, 0x3fb8aa3b, v24
	v_rndne_f32_e32 v26, v25
	v_sub_f32_e32 v27, v25, v26
	v_fma_f32 v25, v24, s29, -v25
	v_fmac_f32_e32 v25, 0x32a5705f, v24
	v_add_f32_e32 v25, v27, v25
	v_cvt_i32_f32_e32 v26, v26
	v_exp_f32_e32 v25, v25
	v_cmp_ngt_f32_e32 vcc, s30, v24
	v_ldexp_f32 v25, v25, v26
	v_cndmask_b32_e32 v25, 0, v25, vcc
	v_cmp_nlt_f32_e32 vcc, s31, v24
	v_cndmask_b32_e32 v24, v68, v25, vcc
	v_add_f32_e32 v24, 1.0, v24
	v_rcp_f32_e32 v24, v24
	v_fma_f32 v24, v24, -2.0, 1.0
.LBB69_13:                              ;   in Loop: Header=BB69_11 Depth=1
	s_andn2_saveexec_b64 s[10:11], s[10:11]
; %bb.14:                               ;   in Loop: Header=BB69_11 Depth=1
	v_mul_f32_e32 v24, v70, v70
	v_mov_b32_e32 v25, 0x3ca908c9
	v_fmac_f32_e32 v25, 0xbbbac73d, v24
	v_fma_f32 v25, v24, v25, v57
	v_fma_f32 v25, v24, v25, v58
	;; [unrolled: 1-line block ×3, first 2 shown]
	v_mul_f32_e64 v25, |v70|, v25
	v_fma_f32 v24, v24, v25, |v70|
; %bb.15:                               ;   in Loop: Header=BB69_11 Depth=1
	s_or_b64 exec, exec, s[10:11]
	v_add_u32_e32 v26, s3, v6
	v_ashrrev_i32_e32 v27, 31, v26
	v_lshlrev_b64 v[26:27], 1, v[26:27]
	v_mov_b32_e32 v25, s35
	v_add_co_u32_e32 v26, vcc, s34, v26
	v_addc_co_u32_e32 v27, vcc, v25, v27, vcc
	flat_load_ushort v27, v[26:27]
	v_and_b32_e32 v25, 0x60, v7
	v_bfi_b32 v24, s36, v24, v70
	v_xor_b32_e32 v26, 16, v7
	v_add_u32_e32 v25, 32, v25
	v_cmp_lt_i32_e32 vcc, v26, v25
	v_max_f32_e32 v28, v69, v69
	v_cndmask_b32_e32 v29, v7, v26, vcc
	v_lshlrev_b32_e32 v29, 2, v29
	s_waitcnt vmcnt(0) lgkmcnt(0)
	v_fma_mix_f32 v31, v24, s15, v27 op_sel_hi:[0,0,1]
	v_add_f32_e32 v24, 0x40051340, v31
	v_max_f32_e32 v24, v28, v24
	ds_bpermute_b32 v28, v29, v24
	v_xor_b32_e32 v27, 8, v7
	v_cmp_lt_i32_e32 vcc, v27, v25
	v_cndmask_b32_e32 v29, v7, v27, vcc
	v_lshlrev_b32_e32 v29, 2, v29
	s_waitcnt lgkmcnt(0)
	v_max_f32_e32 v28, v28, v28
	v_max_f32_e32 v24, v24, v28
	ds_bpermute_b32 v29, v29, v24
	v_xor_b32_e32 v28, 4, v7
	v_cmp_lt_i32_e32 vcc, v28, v25
	v_cndmask_b32_e32 v30, v7, v28, vcc
	v_lshlrev_b32_e32 v30, 2, v30
	s_waitcnt lgkmcnt(0)
	v_max_f32_e32 v29, v29, v29
	;; [unrolled: 8-line block ×3, first 2 shown]
	v_max_f32_e32 v24, v24, v30
	ds_bpermute_b32 v70, v70, v24
	v_xor_b32_e32 v30, 1, v7
	v_cmp_lt_i32_e32 vcc, v30, v25
	v_cndmask_b32_e32 v71, v7, v30, vcc
	s_waitcnt lgkmcnt(0)
	v_max_f32_e32 v70, v70, v70
	v_max_f32_e32 v24, v24, v70
	v_lshlrev_b32_e32 v70, 2, v71
	ds_bpermute_b32 v70, v70, v24
	s_and_saveexec_b64 s[10:11], s[0:1]
	s_cbranch_execz .LBB69_17
; %bb.16:                               ;   in Loop: Header=BB69_11 Depth=1
	s_waitcnt lgkmcnt(0)
	v_max_f32_e32 v70, v70, v70
	v_max_f32_e32 v24, v24, v24
	v_max_f32_e32 v24, v24, v70
	ds_write_b32 v45, v24
.LBB69_17:                              ;   in Loop: Header=BB69_11 Depth=1
	s_or_b64 exec, exec, s[10:11]
	s_waitcnt lgkmcnt(0)
	s_barrier
	ds_read_b32 v24, v46
	v_and_b32_e32 v70, 0x7c, v7
	v_add_u32_e32 v70, 4, v70
	v_cmp_lt_i32_e32 vcc, v29, v70
	v_cndmask_b32_e32 v71, v7, v29, vcc
	v_lshlrev_b32_e32 v71, 2, v71
	s_waitcnt lgkmcnt(0)
	ds_bpermute_b32 v71, v71, v24
	v_cmp_lt_i32_e32 vcc, v30, v70
	v_max_f32_e32 v24, v24, v24
	v_cndmask_b32_e32 v70, v7, v30, vcc
	v_lshlrev_b32_e32 v70, 2, v70
	s_waitcnt lgkmcnt(0)
	v_max_f32_e32 v71, v71, v71
	v_max_f32_e32 v24, v24, v71
	ds_bpermute_b32 v70, v70, v24
	s_mul_hi_i32 s11, s3, s18
	s_mul_i32 s10, s3, s18
	s_lshl_b64 s[10:11], s[10:11], 2
	s_add_u32 s10, s12, s10
	s_waitcnt lgkmcnt(0)
	v_max_f32_e32 v70, v70, v70
	v_max_f32_e32 v24, v24, v70
	v_sub_f32_e32 v69, v69, v24
	v_mul_f32_e32 v70, 0x3fb8aa3b, v69
	v_fma_f32 v71, v69, s29, -v70
	v_rndne_f32_e32 v72, v70
	v_fmac_f32_e32 v71, 0x32a5705f, v69
	v_sub_f32_e32 v70, v70, v72
	v_add_f32_e32 v70, v70, v71
	v_exp_f32_e32 v70, v70
	v_cvt_i32_f32_e32 v71, v72
	v_cmp_ngt_f32_e32 vcc, s30, v69
	v_sub_f32_e32 v31, v31, v24
	s_addc_u32 s11, s13, s11
	v_ldexp_f32 v70, v70, v71
	v_cndmask_b32_e32 v70, 0, v70, vcc
	v_cmp_nlt_f32_e32 vcc, s31, v69
	v_cndmask_b32_e32 v69, v68, v70, vcc
	v_mul_f32_e32 v70, 0x3fb8aa3b, v31
	v_fma_f32 v71, v31, s29, -v70
	v_rndne_f32_e32 v72, v70
	v_fmac_f32_e32 v71, 0x32a5705f, v31
	v_sub_f32_e32 v70, v70, v72
	v_add_f32_e32 v70, v70, v71
	v_exp_f32_e32 v70, v70
	v_cvt_i32_f32_e32 v71, v72
	v_cmp_ngt_f32_e32 vcc, s30, v31
	v_ldexp_f32 v70, v70, v71
	v_cndmask_b32_e32 v70, 0, v70, vcc
	v_cmp_nlt_f32_e32 vcc, s31, v31
	v_cndmask_b32_e32 v31, v68, v70, vcc
	v_fma_f32 v50, v50, v69, v31
	v_cvt_f16_f32_e32 v69, v69
	v_pk_mul_f16 v74, v2, v69 op_sel_hi:[1,0]
	v_cvt_f16_f32_e32 v2, v31
	v_pk_mul_f16 v75, v69, v3 op_sel_hi:[0,1]
	v_mov_b32_e32 v3, s11
	ds_write_b16 v47, v2
	v_add_co_u32_e32 v2, vcc, s10, v16
	v_addc_co_u32_e32 v3, vcc, v3, v17, vcc
	v_add_co_u32_e32 v2, vcc, v2, v60
	v_addc_co_u32_e32 v3, vcc, 0, v3, vcc
	global_load_dwordx4 v[70:73], v[2:3], off
	v_add_co_u32_e32 v2, vcc, s10, v18
	v_mov_b32_e32 v3, s11
	v_addc_co_u32_e32 v3, vcc, v3, v19, vcc
	v_add_co_u32_e32 v2, vcc, v2, v60
	v_addc_co_u32_e32 v3, vcc, 0, v3, vcc
	s_waitcnt vmcnt(0)
	ds_write_b128 v48, v[70:73]
	global_load_dwordx4 v[70:73], v[2:3], off
	v_add_co_u32_e32 v2, vcc, s10, v20
	v_mov_b32_e32 v3, s11
	v_addc_co_u32_e32 v3, vcc, v3, v21, vcc
	v_add_co_u32_e32 v2, vcc, v2, v60
	v_addc_co_u32_e32 v3, vcc, 0, v3, vcc
	s_waitcnt vmcnt(0)
	ds_write_b128 v49, v[70:73]
	global_load_dwordx4 v[70:73], v[2:3], off
	v_add_co_u32_e32 v2, vcc, s10, v22
	v_mov_b32_e32 v3, s11
	v_addc_co_u32_e32 v3, vcc, v3, v23, vcc
	v_add_co_u32_e32 v2, vcc, v2, v60
	v_addc_co_u32_e32 v3, vcc, 0, v3, vcc
	s_or_b32 s10, s3, 32
	s_mul_hi_i32 s11, s10, s18
	s_mul_i32 s10, s10, s18
	s_lshl_b64 s[10:11], s[10:11], 2
	s_add_u32 s10, s12, s10
	s_addc_u32 s11, s13, s11
	s_waitcnt vmcnt(0)
	ds_write_b128 v51, v[70:73]
	global_load_dwordx4 v[70:73], v[2:3], off
	v_add_u32_e32 v2, v53, v54
	s_waitcnt vmcnt(0)
	ds_write_b128 v52, v[70:73]
	s_waitcnt lgkmcnt(0)
	s_barrier
	ds_read2_b64 v[70:73], v2 offset1:32
	ds_read_u16 v3, v55
	ds_read_u16 v31, v55 offset:8
	ds_read_u16 v76, v55 offset:16
	;; [unrolled: 1-line block ×7, first 2 shown]
	s_waitcnt lgkmcnt(7)
	v_pk_mul_f16 v70, v70, v3 op_sel_hi:[1,0]
	v_pk_fma_f16 v0, v0, v69, v70 op_sel_hi:[1,0,1]
	v_pk_mul_f16 v70, v71, v3 op_sel_hi:[1,0]
	v_pk_fma_f16 v1, v1, v69, v70 op_sel_hi:[1,0,1]
	v_pk_fma_f16 v69, v72, v3, v74 op_sel_hi:[1,0,1]
	v_pk_fma_f16 v3, v73, v3, v75 op_sel_hi:[1,0,1]
	ds_read2_b64 v[70:73], v61 offset1:32
	s_waitcnt lgkmcnt(0)
	v_pk_fma_f16 v0, v70, v31, v0 op_sel_hi:[1,0,1]
	v_pk_fma_f16 v1, v71, v31, v1 op_sel_hi:[1,0,1]
	v_pk_fma_f16 v69, v72, v31, v69 op_sel_hi:[1,0,1]
	v_pk_fma_f16 v3, v73, v31, v3 op_sel_hi:[1,0,1]
	ds_read2_b64 v[70:73], v62 offset1:32
	s_waitcnt lgkmcnt(0)
	v_pk_fma_f16 v0, v70, v76, v0 op_sel_hi:[1,0,1]
	;; [unrolled: 6-line block ×6, first 2 shown]
	v_pk_fma_f16 v1, v71, v80, v1 op_sel_hi:[1,0,1]
	v_pk_fma_f16 v31, v72, v80, v31 op_sel_hi:[1,0,1]
	;; [unrolled: 1-line block ×3, first 2 shown]
	ds_read2_b64 v[70:73], v67 offset1:32
	s_waitcnt lgkmcnt(0)
	s_barrier
	v_pk_fma_f16 v69, v70, v81, v0 op_sel_hi:[1,0,1]
	v_pk_fma_f16 v74, v71, v81, v1 op_sel_hi:[1,0,1]
	v_add_co_u32_e32 v0, vcc, s10, v16
	v_mov_b32_e32 v1, s11
	v_addc_co_u32_e32 v1, vcc, v1, v17, vcc
	v_add_co_u32_e32 v0, vcc, v0, v60
	v_addc_co_u32_e32 v1, vcc, 0, v1, vcc
	v_pk_fma_f16 v31, v72, v81, v31 op_sel_hi:[1,0,1]
	v_pk_fma_f16 v3, v73, v81, v3 op_sel_hi:[1,0,1]
	global_load_dwordx4 v[70:73], v[0:1], off
	v_add_co_u32_e32 v0, vcc, s10, v18
	v_mov_b32_e32 v1, s11
	v_addc_co_u32_e32 v1, vcc, v1, v19, vcc
	v_add_co_u32_e32 v0, vcc, v0, v60
	v_addc_co_u32_e32 v1, vcc, 0, v1, vcc
	s_waitcnt vmcnt(0)
	ds_write_b128 v48, v[70:73]
	global_load_dwordx4 v[70:73], v[0:1], off
	v_add_co_u32_e32 v0, vcc, s10, v20
	v_mov_b32_e32 v1, s11
	v_addc_co_u32_e32 v1, vcc, v1, v21, vcc
	v_add_co_u32_e32 v0, vcc, v0, v60
	v_addc_co_u32_e32 v1, vcc, 0, v1, vcc
	s_waitcnt vmcnt(0)
	ds_write_b128 v49, v[70:73]
	global_load_dwordx4 v[70:73], v[0:1], off
	v_add_co_u32_e32 v0, vcc, s10, v22
	v_mov_b32_e32 v1, s11
	v_addc_co_u32_e32 v1, vcc, v1, v23, vcc
	v_add_co_u32_e32 v0, vcc, v0, v60
	v_addc_co_u32_e32 v1, vcc, 0, v1, vcc
	s_or_b32 s10, s3, 64
	s_mul_hi_i32 s11, s10, s18
	s_mul_i32 s10, s10, s18
	s_lshl_b64 s[10:11], s[10:11], 2
	s_add_u32 s10, s12, s10
	s_addc_u32 s11, s13, s11
	s_waitcnt vmcnt(0)
	ds_write_b128 v51, v[70:73]
	global_load_dwordx4 v[70:73], v[0:1], off
	s_waitcnt vmcnt(0)
	ds_write_b128 v52, v[70:73]
	s_waitcnt lgkmcnt(0)
	s_barrier
	ds_read2_b64 v[70:73], v2 offset1:32
	ds_read_u16 v0, v55 offset:64
	ds_read_u16 v1, v55 offset:72
	;; [unrolled: 1-line block ×8, first 2 shown]
	s_waitcnt lgkmcnt(7)
	v_pk_fma_f16 v69, v70, v0, v69 op_sel_hi:[1,0,1]
	v_pk_fma_f16 v74, v71, v0, v74 op_sel_hi:[1,0,1]
	v_pk_fma_f16 v31, v72, v0, v31 op_sel_hi:[1,0,1]
	v_pk_fma_f16 v0, v73, v0, v3 op_sel_hi:[1,0,1]
	ds_read2_b64 v[70:73], v61 offset1:32
	s_waitcnt lgkmcnt(0)
	v_pk_fma_f16 v3, v70, v1, v69 op_sel_hi:[1,0,1]
	v_pk_fma_f16 v69, v71, v1, v74 op_sel_hi:[1,0,1]
	v_pk_fma_f16 v31, v72, v1, v31 op_sel_hi:[1,0,1]
	v_pk_fma_f16 v0, v73, v1, v0 op_sel_hi:[1,0,1]
	ds_read2_b64 v[70:73], v62 offset1:32
	;; [unrolled: 6-line block ×7, first 2 shown]
	s_waitcnt lgkmcnt(0)
	s_barrier
	v_pk_fma_f16 v69, v70, v80, v1 op_sel_hi:[1,0,1]
	v_pk_fma_f16 v74, v73, v80, v0 op_sel_hi:[1,0,1]
	v_add_co_u32_e32 v0, vcc, s10, v16
	v_mov_b32_e32 v1, s11
	v_addc_co_u32_e32 v1, vcc, v1, v17, vcc
	v_add_co_u32_e32 v0, vcc, v0, v60
	v_addc_co_u32_e32 v1, vcc, 0, v1, vcc
	v_pk_fma_f16 v3, v71, v80, v3 op_sel_hi:[1,0,1]
	v_pk_fma_f16 v31, v72, v80, v31 op_sel_hi:[1,0,1]
	global_load_dwordx4 v[70:73], v[0:1], off
	v_add_co_u32_e32 v0, vcc, s10, v18
	v_mov_b32_e32 v1, s11
	v_addc_co_u32_e32 v1, vcc, v1, v19, vcc
	v_add_co_u32_e32 v0, vcc, v0, v60
	v_addc_co_u32_e32 v1, vcc, 0, v1, vcc
	s_waitcnt vmcnt(0)
	ds_write_b128 v48, v[70:73]
	global_load_dwordx4 v[70:73], v[0:1], off
	v_add_co_u32_e32 v0, vcc, s10, v20
	v_mov_b32_e32 v1, s11
	v_addc_co_u32_e32 v1, vcc, v1, v21, vcc
	v_add_co_u32_e32 v0, vcc, v0, v60
	v_addc_co_u32_e32 v1, vcc, 0, v1, vcc
	s_waitcnt vmcnt(0)
	ds_write_b128 v49, v[70:73]
	global_load_dwordx4 v[70:73], v[0:1], off
	v_add_co_u32_e32 v0, vcc, s10, v22
	v_mov_b32_e32 v1, s11
	v_addc_co_u32_e32 v1, vcc, v1, v23, vcc
	v_add_co_u32_e32 v0, vcc, v0, v60
	v_addc_co_u32_e32 v1, vcc, 0, v1, vcc
	s_or_b32 s10, s3, 0x60
	s_mul_hi_i32 s11, s10, s18
	s_mul_i32 s10, s10, s18
	s_lshl_b64 s[10:11], s[10:11], 2
	s_add_u32 s10, s12, s10
	s_addc_u32 s11, s13, s11
	s_waitcnt vmcnt(0)
	ds_write_b128 v51, v[70:73]
	global_load_dwordx4 v[70:73], v[0:1], off
	s_waitcnt vmcnt(0)
	ds_write_b128 v52, v[70:73]
	s_waitcnt lgkmcnt(0)
	s_barrier
	ds_read2_b64 v[70:73], v2 offset1:32
	ds_read_u16 v0, v55 offset:128
	ds_read_u16 v1, v55 offset:136
	;; [unrolled: 1-line block ×8, first 2 shown]
	s_waitcnt lgkmcnt(7)
	v_pk_fma_f16 v69, v70, v0, v69 op_sel_hi:[1,0,1]
	v_pk_fma_f16 v3, v71, v0, v3 op_sel_hi:[1,0,1]
	v_pk_fma_f16 v31, v72, v0, v31 op_sel_hi:[1,0,1]
	v_pk_fma_f16 v0, v73, v0, v74 op_sel_hi:[1,0,1]
	ds_read2_b64 v[70:73], v61 offset1:32
	s_waitcnt lgkmcnt(0)
	v_pk_fma_f16 v69, v70, v1, v69 op_sel_hi:[1,0,1]
	v_pk_fma_f16 v3, v71, v1, v3 op_sel_hi:[1,0,1]
	v_pk_fma_f16 v31, v72, v1, v31 op_sel_hi:[1,0,1]
	v_pk_fma_f16 v0, v73, v1, v0 op_sel_hi:[1,0,1]
	ds_read2_b64 v[70:73], v62 offset1:32
	s_waitcnt lgkmcnt(0)
	v_pk_fma_f16 v1, v70, v75, v69 op_sel_hi:[1,0,1]
	v_pk_fma_f16 v3, v71, v75, v3 op_sel_hi:[1,0,1]
	v_pk_fma_f16 v31, v72, v75, v31 op_sel_hi:[1,0,1]
	v_pk_fma_f16 v0, v73, v75, v0 op_sel_hi:[1,0,1]
	ds_read2_b64 v[70:73], v63 offset1:32
	s_waitcnt lgkmcnt(0)
	v_pk_fma_f16 v1, v70, v76, v1 op_sel_hi:[1,0,1]
	v_pk_fma_f16 v3, v71, v76, v3 op_sel_hi:[1,0,1]
	v_pk_fma_f16 v31, v72, v76, v31 op_sel_hi:[1,0,1]
	v_pk_fma_f16 v0, v73, v76, v0 op_sel_hi:[1,0,1]
	ds_read2_b64 v[70:73], v64 offset1:32
	s_waitcnt lgkmcnt(0)
	v_pk_fma_f16 v1, v70, v77, v1 op_sel_hi:[1,0,1]
	v_pk_fma_f16 v3, v71, v77, v3 op_sel_hi:[1,0,1]
	v_pk_fma_f16 v31, v72, v77, v31 op_sel_hi:[1,0,1]
	v_pk_fma_f16 v0, v73, v77, v0 op_sel_hi:[1,0,1]
	ds_read2_b64 v[70:73], v65 offset1:32
	s_waitcnt lgkmcnt(0)
	v_pk_fma_f16 v1, v70, v78, v1 op_sel_hi:[1,0,1]
	v_pk_fma_f16 v3, v71, v78, v3 op_sel_hi:[1,0,1]
	v_pk_fma_f16 v31, v72, v78, v31 op_sel_hi:[1,0,1]
	v_pk_fma_f16 v0, v73, v78, v0 op_sel_hi:[1,0,1]
	ds_read2_b64 v[70:73], v66 offset1:32
	s_waitcnt lgkmcnt(0)
	v_pk_fma_f16 v1, v70, v79, v1 op_sel_hi:[1,0,1]
	v_pk_fma_f16 v3, v71, v79, v3 op_sel_hi:[1,0,1]
	v_pk_fma_f16 v31, v72, v79, v31 op_sel_hi:[1,0,1]
	v_pk_fma_f16 v0, v73, v79, v0 op_sel_hi:[1,0,1]
	ds_read2_b64 v[70:73], v67 offset1:32
	s_waitcnt lgkmcnt(0)
	s_barrier
	v_pk_fma_f16 v69, v70, v80, v1 op_sel_hi:[1,0,1]
	v_pk_fma_f16 v75, v73, v80, v0 op_sel_hi:[1,0,1]
	v_add_co_u32_e32 v0, vcc, s10, v16
	v_mov_b32_e32 v1, s11
	v_addc_co_u32_e32 v1, vcc, v1, v17, vcc
	v_add_co_u32_e32 v0, vcc, v0, v60
	v_addc_co_u32_e32 v1, vcc, 0, v1, vcc
	v_pk_fma_f16 v74, v71, v80, v3 op_sel_hi:[1,0,1]
	v_pk_fma_f16 v31, v72, v80, v31 op_sel_hi:[1,0,1]
	global_load_dwordx4 v[70:73], v[0:1], off
	v_add_co_u32_e32 v0, vcc, s10, v18
	v_mov_b32_e32 v1, s11
	v_addc_co_u32_e32 v1, vcc, v1, v19, vcc
	v_add_co_u32_e32 v0, vcc, v0, v60
	v_addc_co_u32_e32 v1, vcc, 0, v1, vcc
	s_waitcnt vmcnt(0)
	ds_write_b128 v48, v[70:73]
	global_load_dwordx4 v[70:73], v[0:1], off
	v_add_co_u32_e32 v0, vcc, s10, v20
	v_mov_b32_e32 v1, s11
	v_addc_co_u32_e32 v1, vcc, v1, v21, vcc
	v_add_co_u32_e32 v0, vcc, v0, v60
	v_addc_co_u32_e32 v1, vcc, 0, v1, vcc
	s_waitcnt vmcnt(0)
	ds_write_b128 v49, v[70:73]
	;; [unrolled: 8-line block ×3, first 2 shown]
	global_load_dwordx4 v[70:73], v[0:1], off
	s_waitcnt vmcnt(0)
	ds_write_b128 v52, v[70:73]
	s_waitcnt lgkmcnt(0)
	s_barrier
	ds_read2_b64 v[0:3], v2 offset1:32
	ds_read_u16 v70, v55 offset:192
	ds_read_u16 v71, v55 offset:200
	;; [unrolled: 1-line block ×8, first 2 shown]
	s_waitcnt lgkmcnt(7)
	v_pk_fma_f16 v69, v0, v70, v69 op_sel_hi:[1,0,1]
	v_pk_fma_f16 v74, v1, v70, v74 op_sel_hi:[1,0,1]
	v_pk_fma_f16 v31, v2, v70, v31 op_sel_hi:[1,0,1]
	v_pk_fma_f16 v70, v3, v70, v75 op_sel_hi:[1,0,1]
	ds_read2_b64 v[0:3], v61 offset1:32
	s_waitcnt lgkmcnt(0)
	v_pk_fma_f16 v69, v0, v71, v69 op_sel_hi:[1,0,1]
	v_pk_fma_f16 v74, v1, v71, v74 op_sel_hi:[1,0,1]
	v_pk_fma_f16 v31, v2, v71, v31 op_sel_hi:[1,0,1]
	v_pk_fma_f16 v70, v3, v71, v70 op_sel_hi:[1,0,1]
	ds_read2_b64 v[0:3], v62 offset1:32
	;; [unrolled: 6-line block ×7, first 2 shown]
	s_waitcnt lgkmcnt(0)
	s_barrier
	s_load_dword s10, s[8:9], 0x4
	v_pk_fma_f16 v0, v0, v79, v69 op_sel_hi:[1,0,1]
	v_pk_fma_f16 v1, v1, v79, v71 op_sel_hi:[1,0,1]
	;; [unrolled: 1-line block ×4, first 2 shown]
	s_waitcnt lgkmcnt(0)
	s_lshl_b32 s10, s10, 7
	s_add_i32 s3, s10, s3
	s_cmp_lt_i32 s3, s2
	s_cbranch_scc0 .LBB69_19
; %bb.18:                               ;   in Loop: Header=BB69_11 Depth=1
	v_mov_b32_e32 v69, v24
	s_branch .LBB69_11
.LBB69_19:
	v_mov_b32_e32 v9, v38
.LBB69_20:
	v_cmp_lt_i32_e32 vcc, v26, v25
	v_cndmask_b32_e32 v6, v7, v26, vcc
	v_lshlrev_b32_e32 v6, 2, v6
	ds_bpermute_b32 v6, v6, v50
	v_cmp_lt_i32_e32 vcc, v27, v25
	v_cndmask_b32_e32 v8, v7, v27, vcc
	v_lshlrev_b32_e32 v8, 2, v8
	v_cmp_lt_i32_e32 vcc, v28, v25
	s_waitcnt lgkmcnt(0)
	v_add_f32_e32 v6, v50, v6
	ds_bpermute_b32 v8, v8, v6
	v_cndmask_b32_e32 v10, v7, v28, vcc
	v_lshlrev_b32_e32 v10, 2, v10
	v_cmp_lt_i32_e32 vcc, v29, v25
	v_cmp_ne_u32_e64 s[0:1], 0, v9
	s_waitcnt lgkmcnt(0)
	v_add_f32_e32 v6, v6, v8
	ds_bpermute_b32 v8, v10, v6
	v_cndmask_b32_e32 v10, v7, v29, vcc
	v_lshlrev_b32_e32 v10, 2, v10
	v_cmp_lt_i32_e32 vcc, v30, v25
	v_cndmask_b32_e32 v7, v7, v30, vcc
	s_waitcnt lgkmcnt(0)
	v_add_f32_e32 v6, v6, v8
	ds_bpermute_b32 v8, v10, v6
	v_lshlrev_b32_e32 v7, 2, v7
	v_cmp_eq_u32_e32 vcc, 0, v9
	s_waitcnt lgkmcnt(0)
	v_add_f32_e32 v6, v6, v8
	ds_bpermute_b32 v7, v7, v6
	s_waitcnt lgkmcnt(0)
	v_add_f32_e32 v25, v6, v7
	s_and_saveexec_b64 s[2:3], s[0:1]
	s_xor_b64 s[2:3], exec, s[2:3]
	s_cbranch_execnz .LBB69_24
; %bb.21:
	s_andn2_saveexec_b64 s[0:1], s[2:3]
	s_cbranch_execnz .LBB69_27
.LBB69_22:
	s_or_b64 exec, exec, s[0:1]
	s_and_saveexec_b64 s[0:1], vcc
	s_cbranch_execnz .LBB69_28
.LBB69_23:
	s_endpgm
.LBB69_24:
	v_lshl_add_u32 v6, v35, 2, v36
	v_cmp_eq_u32_e64 s[0:1], 0, v5
	ds_write_b128 v6, v[0:3]
	s_and_saveexec_b64 s[8:9], s[0:1]
	s_cbranch_execz .LBB69_26
; %bb.25:
	ds_write_b32 v37, v25 offset:18432
.LBB69_26:
	s_or_b64 exec, exec, s[8:9]
                                        ; implicit-def: $vgpr34
                                        ; implicit-def: $vgpr37
	s_andn2_saveexec_b64 s[0:1], s[2:3]
	s_cbranch_execz .LBB69_22
.LBB69_27:
	v_lshlrev_b32_e32 v6, 9, v34
	v_lshl_add_u32 v16, v4, 2, v6
	s_waitcnt lgkmcnt(0)
	s_barrier
	ds_read_b128 v[6:9], v16 offset:512
	ds_read_b128 v[10:13], v16 offset:1024
	s_waitcnt lgkmcnt(1)
	v_pk_add_f16 v6, v6, v0
	v_add_u32_e32 v0, 0x4804, v37
	ds_read2_b32 v[14:15], v0 offset1:1
	v_pk_add_f16 v7, v7, v1
	v_pk_add_f16 v8, v8, v2
	;; [unrolled: 1-line block ×3, first 2 shown]
	s_waitcnt lgkmcnt(1)
	v_pk_add_f16 v7, v11, v7
	ds_read_b32 v11, v37 offset:18444
	ds_read_b128 v[0:3], v16 offset:1536
	s_waitcnt lgkmcnt(2)
	v_add_f32_e32 v14, v25, v14
	v_pk_add_f16 v6, v10, v6
	v_pk_add_f16 v8, v12, v8
	;; [unrolled: 1-line block ×3, first 2 shown]
	v_add_f32_e32 v10, v14, v15
	s_waitcnt lgkmcnt(0)
	v_pk_add_f16 v0, v0, v6
	v_pk_add_f16 v1, v1, v7
	;; [unrolled: 1-line block ×4, first 2 shown]
	v_add_f32_e32 v25, v10, v11
	s_or_b64 exec, exec, s[0:1]
	s_and_saveexec_b64 s[0:1], vcc
	s_cbranch_execz .LBB69_23
.LBB69_28:
	s_cmp_eq_u64 s[16:17], 0
	s_cselect_b64 s[0:1], -1, 0
	s_cmp_lg_u32 s7, 0
	s_cselect_b64 s[2:3], -1, 0
	s_or_b64 s[0:1], s[2:3], s[0:1]
	v_add_u32_e32 v6, s14, v33
	s_and_b64 vcc, exec, s[0:1]
	s_cbranch_vccnz .LBB69_30
; %bb.29:
	v_ashrrev_i32_e32 v7, 31, v6
	v_lshlrev_b64 v[8:9], 2, v[6:7]
	v_mov_b32_e32 v7, s17
	v_add_co_u32_e32 v8, vcc, s16, v8
	v_addc_co_u32_e32 v9, vcc, v7, v9, vcc
	global_load_dword v7, v[8:9], off
	v_max_f32_e32 v8, v24, v24
	s_mov_b32 s0, 0x3fb8aa3b
	s_mov_b32 s1, 0xc2ce8ed0
	s_waitcnt vmcnt(0)
	v_max_f32_e32 v9, v7, v7
	v_max_f32_e32 v8, v8, v9
	v_sub_f32_e32 v9, v24, v8
	v_sub_f32_e32 v7, v7, v8
	v_mul_f32_e32 v10, 0x3fb8aa3b, v9
	v_mul_f32_e32 v11, 0x3fb8aa3b, v7
	v_fma_f32 v12, v9, s0, -v10
	v_rndne_f32_e32 v13, v10
	v_fma_f32 v14, v7, s0, -v11
	v_rndne_f32_e32 v15, v11
	v_fmac_f32_e32 v12, 0x32a5705f, v9
	v_sub_f32_e32 v10, v10, v13
	v_fmac_f32_e32 v14, 0x32a5705f, v7
	v_sub_f32_e32 v11, v11, v15
	v_add_f32_e32 v10, v10, v12
	v_cvt_i32_f32_e32 v13, v13
	v_add_f32_e32 v11, v11, v14
	v_exp_f32_e32 v10, v10
	v_cvt_i32_f32_e32 v15, v15
	v_exp_f32_e32 v11, v11
	v_cmp_ngt_f32_e32 vcc, s1, v9
	v_ldexp_f32 v10, v10, v13
	s_mov_b32 s0, 0x42b17218
	v_ldexp_f32 v11, v11, v15
	v_cndmask_b32_e32 v10, 0, v10, vcc
	v_cmp_ngt_f32_e32 vcc, s1, v7
	v_mov_b32_e32 v12, 0x7f800000
	v_cndmask_b32_e32 v11, 0, v11, vcc
	v_cmp_nlt_f32_e32 vcc, s0, v9
	v_cndmask_b32_e32 v10, v12, v10, vcc
	v_cvt_f16_f32_e32 v13, v10
	v_cmp_nlt_f32_e32 vcc, s0, v7
	v_cndmask_b32_e32 v9, v12, v11, vcc
	v_fmac_f32_e32 v9, v25, v10
	v_pk_mul_f16 v0, v13, v0 op_sel_hi:[0,1]
	v_pk_mul_f16 v1, v13, v1 op_sel_hi:[0,1]
	;; [unrolled: 1-line block ×4, first 2 shown]
	v_pk_mov_b32 v[24:25], v[8:9], v[8:9] op_sel:[0,1]
	s_branch .LBB69_31
.LBB69_30:
	v_mov_b32_e32 v9, v25
.LBB69_31:
	v_div_scale_f32 v7, s[0:1], v9, v9, 1.0
	v_rcp_f32_e32 v8, v7
	s_load_dword s4, s[4:5], 0xd4
	s_mul_i32 s2, s33, s26
	v_cvt_f32_f16_sdwa v17, v1 dst_sel:DWORD dst_unused:UNUSED_PAD src0_sel:WORD_1
	v_fma_f32 v10, -v7, v8, 1.0
	v_fmac_f32_e32 v8, v10, v8
	v_div_scale_f32 v10, vcc, 1.0, v9, 1.0
	v_mul_f32_e32 v11, v10, v8
	v_fma_f32 v12, -v7, v11, v10
	v_fmac_f32_e32 v11, v12, v8
	v_fma_f32 v7, -v7, v11, v10
	s_waitcnt lgkmcnt(0)
	s_cmp_lg_u32 s4, 1
	v_div_fmas_f32 v7, v7, v8, v11
	v_div_fixup_f32 v7, v7, v9, 1.0
	s_cselect_b64 s[0:1], -1, 0
	s_add_i32 s2, s2, s6
	v_cndmask_b32_e64 v12, v7, 1.0, s[0:1]
	v_add_u32_e32 v7, s2, v32
	v_mad_u64_u32 v[6:7], s[2:3], v7, s27, v[6:7]
	v_mul_lo_u32 v6, s4, v6
	v_add_u32_e32 v6, s7, v6
	v_cvt_f32_f16_sdwa v11, v0 dst_sel:DWORD dst_unused:UNUSED_PAD src0_sel:WORD_1
	v_cvt_f32_f16_e32 v10, v0
	v_cvt_f32_f16_e32 v16, v1
	v_lshl_add_u32 v14, v6, 8, v4
	v_mov_b32_e32 v15, 0
	v_lshlrev_b64 v[8:9], 2, v[14:15]
	v_mov_b32_e32 v4, s21
	v_add_co_u32_e32 v0, vcc, s20, v8
	v_addc_co_u32_e32 v1, vcc, v4, v9, vcc
	v_pk_mul_f32 v[8:9], v[12:13], v[10:11] op_sel_hi:[0,1]
	v_pk_mul_f32 v[10:11], v[12:13], v[16:17] op_sel_hi:[0,1]
	v_add_u32_e32 v14, 0x80, v14
	global_store_dwordx4 v[0:1], v[8:11], off
	v_lshlrev_b64 v[0:1], 2, v[14:15]
	v_cvt_f32_f16_sdwa v9, v2 dst_sel:DWORD dst_unused:UNUSED_PAD src0_sel:WORD_1
	v_cvt_f32_f16_e32 v8, v2
	v_cvt_f32_f16_sdwa v11, v3 dst_sel:DWORD dst_unused:UNUSED_PAD src0_sel:WORD_1
	v_cvt_f32_f16_e32 v10, v3
	v_add_co_u32_e32 v14, vcc, s20, v0
	v_addc_co_u32_e32 v15, vcc, v4, v1, vcc
	v_cmp_eq_u32_e32 vcc, 0, v5
	v_pk_mul_f32 v[0:1], v[12:13], v[8:9] op_sel_hi:[0,1]
	v_pk_mul_f32 v[2:3], v[12:13], v[10:11] op_sel_hi:[0,1]
	s_and_b64 s[0:1], vcc, s[0:1]
	global_store_dwordx4 v[14:15], v[0:3], off
	s_and_b64 exec, exec, s[0:1]
	s_cbranch_execz .LBB69_23
; %bb.32:
	v_ashrrev_i32_e32 v7, 31, v6
	v_lshlrev_b64 v[0:1], 3, v[6:7]
	v_mov_b32_e32 v2, s23
	v_add_co_u32_e32 v0, vcc, s22, v0
	v_addc_co_u32_e32 v1, vcc, v2, v1, vcc
	global_store_dwordx2 v[0:1], v[24:25], off
	s_endpgm
	.section	.rodata,"a",@progbits
	.p2align	6, 0x0
	.amdhsa_kernel _ZL15flash_attn_tileILi256ELi256ELi1ELi2ELb1EEvPKcS1_S1_S1_S1_PKiPfP15HIP_vector_typeIfLj2EEffffjfiS5_IjLj3EEiiiiiiiiiiiliiliiiiil
		.amdhsa_group_segment_fixed_size 20000
		.amdhsa_private_segment_fixed_size 0
		.amdhsa_kernarg_size 464
		.amdhsa_user_sgpr_count 6
		.amdhsa_user_sgpr_private_segment_buffer 1
		.amdhsa_user_sgpr_dispatch_ptr 0
		.amdhsa_user_sgpr_queue_ptr 0
		.amdhsa_user_sgpr_kernarg_segment_ptr 1
		.amdhsa_user_sgpr_dispatch_id 0
		.amdhsa_user_sgpr_flat_scratch_init 0
		.amdhsa_user_sgpr_kernarg_preload_length 0
		.amdhsa_user_sgpr_kernarg_preload_offset 0
		.amdhsa_user_sgpr_private_segment_size 0
		.amdhsa_uses_dynamic_stack 0
		.amdhsa_system_sgpr_private_segment_wavefront_offset 0
		.amdhsa_system_sgpr_workgroup_id_x 1
		.amdhsa_system_sgpr_workgroup_id_y 1
		.amdhsa_system_sgpr_workgroup_id_z 1
		.amdhsa_system_sgpr_workgroup_info 0
		.amdhsa_system_vgpr_workitem_id 1
		.amdhsa_next_free_vgpr 88
		.amdhsa_next_free_sgpr 44
		.amdhsa_accum_offset 88
		.amdhsa_reserve_vcc 1
		.amdhsa_reserve_flat_scratch 0
		.amdhsa_float_round_mode_32 0
		.amdhsa_float_round_mode_16_64 0
		.amdhsa_float_denorm_mode_32 3
		.amdhsa_float_denorm_mode_16_64 3
		.amdhsa_dx10_clamp 1
		.amdhsa_ieee_mode 1
		.amdhsa_fp16_overflow 0
		.amdhsa_tg_split 0
		.amdhsa_exception_fp_ieee_invalid_op 0
		.amdhsa_exception_fp_denorm_src 0
		.amdhsa_exception_fp_ieee_div_zero 0
		.amdhsa_exception_fp_ieee_overflow 0
		.amdhsa_exception_fp_ieee_underflow 0
		.amdhsa_exception_fp_ieee_inexact 0
		.amdhsa_exception_int_div_zero 0
	.end_amdhsa_kernel
	.section	.text._ZL15flash_attn_tileILi256ELi256ELi1ELi2ELb1EEvPKcS1_S1_S1_S1_PKiPfP15HIP_vector_typeIfLj2EEffffjfiS5_IjLj3EEiiiiiiiiiiiliiliiiiil,"axG",@progbits,_ZL15flash_attn_tileILi256ELi256ELi1ELi2ELb1EEvPKcS1_S1_S1_S1_PKiPfP15HIP_vector_typeIfLj2EEffffjfiS5_IjLj3EEiiiiiiiiiiiliiliiiiil,comdat
.Lfunc_end69:
	.size	_ZL15flash_attn_tileILi256ELi256ELi1ELi2ELb1EEvPKcS1_S1_S1_S1_PKiPfP15HIP_vector_typeIfLj2EEffffjfiS5_IjLj3EEiiiiiiiiiiiliiliiiiil, .Lfunc_end69-_ZL15flash_attn_tileILi256ELi256ELi1ELi2ELb1EEvPKcS1_S1_S1_S1_PKiPfP15HIP_vector_typeIfLj2EEffffjfiS5_IjLj3EEiiiiiiiiiiiliiliiiiil
                                        ; -- End function
	.section	.AMDGPU.csdata,"",@progbits
; Kernel info:
; codeLenInByte = 8348
; NumSgprs: 48
; NumVgprs: 88
; NumAgprs: 0
; TotalNumVgprs: 88
; ScratchSize: 0
; MemoryBound: 0
; FloatMode: 240
; IeeeMode: 1
; LDSByteSize: 20000 bytes/workgroup (compile time only)
; SGPRBlocks: 5
; VGPRBlocks: 10
; NumSGPRsForWavesPerEU: 48
; NumVGPRsForWavesPerEU: 88
; AccumOffset: 88
; Occupancy: 3
; WaveLimiterHint : 1
; COMPUTE_PGM_RSRC2:SCRATCH_EN: 0
; COMPUTE_PGM_RSRC2:USER_SGPR: 6
; COMPUTE_PGM_RSRC2:TRAP_HANDLER: 0
; COMPUTE_PGM_RSRC2:TGID_X_EN: 1
; COMPUTE_PGM_RSRC2:TGID_Y_EN: 1
; COMPUTE_PGM_RSRC2:TGID_Z_EN: 1
; COMPUTE_PGM_RSRC2:TIDIG_COMP_CNT: 1
; COMPUTE_PGM_RSRC3_GFX90A:ACCUM_OFFSET: 21
; COMPUTE_PGM_RSRC3_GFX90A:TG_SPLIT: 0
	.section	.text._ZL15flash_attn_tileILi256ELi256ELi32ELi1ELb1EEvPKcS1_S1_S1_S1_PKiPfP15HIP_vector_typeIfLj2EEffffjfiS5_IjLj3EEiiiiiiiiiiiliiliiiiil,"axG",@progbits,_ZL15flash_attn_tileILi256ELi256ELi32ELi1ELb1EEvPKcS1_S1_S1_S1_PKiPfP15HIP_vector_typeIfLj2EEffffjfiS5_IjLj3EEiiiiiiiiiiiliiliiiiil,comdat
	.globl	_ZL15flash_attn_tileILi256ELi256ELi32ELi1ELb1EEvPKcS1_S1_S1_S1_PKiPfP15HIP_vector_typeIfLj2EEffffjfiS5_IjLj3EEiiiiiiiiiiiliiliiiiil ; -- Begin function _ZL15flash_attn_tileILi256ELi256ELi32ELi1ELb1EEvPKcS1_S1_S1_S1_PKiPfP15HIP_vector_typeIfLj2EEffffjfiS5_IjLj3EEiiiiiiiiiiiliiliiiiil
	.p2align	8
	.type	_ZL15flash_attn_tileILi256ELi256ELi32ELi1ELb1EEvPKcS1_S1_S1_S1_PKiPfP15HIP_vector_typeIfLj2EEffffjfiS5_IjLj3EEiiiiiiiiiiiliiliiiiil,@function
_ZL15flash_attn_tileILi256ELi256ELi32ELi1ELb1EEvPKcS1_S1_S1_S1_PKiPfP15HIP_vector_typeIfLj2EEffffjfiS5_IjLj3EEiiiiiiiiiiiliiliiiiil: ; @_ZL15flash_attn_tileILi256ELi256ELi32ELi1ELb1EEvPKcS1_S1_S1_S1_PKiPfP15HIP_vector_typeIfLj2EEffffjfiS5_IjLj3EEiiiiiiiiiiiliiliiiiil
; %bb.0:
	s_load_dwordx4 s[36:39], s[6:7], 0x5c
	s_load_dwordx2 s[46:47], s[6:7], 0x80
	s_add_u32 flat_scratch_lo, s8, s13
	s_addc_u32 flat_scratch_hi, s9, 0
	s_add_u32 s0, s0, s13
	s_waitcnt lgkmcnt(0)
	v_cvt_f32_u32_e32 v1, s39
	s_addc_u32 s1, s1, 0
	s_sub_i32 s8, 0, s39
	s_load_dwordx16 s[16:31], s[6:7], 0x0
	v_rcp_iflag_f32_e32 v1, v1
	s_load_dwordx2 s[48:49], s[6:7], 0xb8
	s_mov_b64 s[44:45], 0
	v_mul_f32_e32 v1, 0x4f7ffffe, v1
	v_cvt_u32_f32_e32 v1, v1
	v_readfirstlane_b32 s9, v1
	s_mul_i32 s8, s8, s9
	s_mul_hi_u32 s8, s9, s8
	s_add_i32 s9, s9, s8
	s_mul_hi_u32 s8, s12, s9
	s_mul_i32 s9, s8, s39
	s_sub_i32 s9, s12, s9
	s_add_i32 s13, s8, 1
	s_sub_i32 s14, s9, s39
	s_cmp_ge_u32 s9, s39
	s_cselect_b32 s8, s13, s8
	s_cselect_b32 s9, s14, s9
	s_add_i32 s13, s8, 1
	s_cmp_ge_u32 s9, s39
	s_cselect_b32 s33, s13, s8
	s_abs_i32 s8, s47
	v_cvt_f32_u32_e32 v1, s8
	s_mul_i32 s14, s33, s39
	s_sub_i32 s15, 0, s8
	s_sub_i32 s34, s12, s14
	v_rcp_iflag_f32_e32 v1, v1
	s_abs_i32 s13, s39
	s_xor_b32 s9, s39, s47
	s_ashr_i32 s9, s9, 31
	v_mul_f32_e32 v1, 0x4f7ffffe, v1
	v_cvt_u32_f32_e32 v1, v1
	v_readfirstlane_b32 s12, v1
	s_mul_i32 s15, s15, s12
	s_mul_hi_u32 s14, s12, s15
	s_add_i32 s12, s12, s14
	s_mul_hi_u32 s12, s13, s12
	s_mul_i32 s14, s12, s8
	s_sub_i32 s13, s13, s14
	s_add_i32 s15, s12, 1
	s_sub_i32 s14, s13, s8
	s_cmp_ge_u32 s13, s8
	s_cselect_b32 s12, s15, s12
	s_cselect_b32 s13, s14, s13
	s_add_i32 s14, s12, 1
	s_cmp_ge_u32 s13, s8
	s_cselect_b32 s8, s14, s12
	s_xor_b32 s8, s8, s9
	s_sub_i32 s51, s8, s9
	s_abs_i32 s47, s51
	v_cvt_f32_u32_e32 v1, s47
	s_sub_i32 s8, 0, s47
	s_abs_i32 s50, s34
	v_rcp_iflag_f32_e32 v1, v1
	v_mul_f32_e32 v1, 0x4f7ffffe, v1
	v_cvt_u32_f32_e32 v1, v1
	v_readfirstlane_b32 s9, v1
	s_mul_i32 s8, s8, s9
	s_mul_hi_u32 s8, s9, s8
	s_add_i32 s8, s9, s8
	s_waitcnt lgkmcnt(0)
	s_cmp_eq_u64 s[22:23], 0
	s_cbranch_scc1 .LBB70_2
; %bb.1:
	s_abs_i32 s9, s48
	v_cvt_f32_u32_e32 v1, s9
	s_sub_i32 s35, 0, s9
	s_abs_i32 s15, s33
	s_ashr_i32 s14, s33, 31
	v_rcp_iflag_f32_e32 v1, v1
	s_load_dwordx2 s[12:13], s[6:7], 0xc8
	v_mul_f32_e32 v1, 0x4f7ffffe, v1
	v_cvt_u32_f32_e32 v1, v1
	v_readfirstlane_b32 s40, v1
	s_mul_i32 s35, s35, s40
	s_mul_hi_u32 s35, s40, s35
	s_add_i32 s40, s40, s35
	s_mul_hi_u32 s35, s15, s40
	s_mul_i32 s35, s35, s9
	s_sub_i32 s15, s15, s35
	s_sub_i32 s35, s15, s9
	s_cmp_ge_u32 s15, s9
	s_cselect_b32 s15, s35, s15
	s_sub_i32 s35, s15, s9
	s_cmp_ge_u32 s15, s9
	s_cselect_b32 s9, s35, s15
	s_xor_b32 s9, s9, s14
	s_sub_i32 s9, s9, s14
	s_ashr_i32 s14, s9, 31
	s_waitcnt lgkmcnt(0)
	s_mul_i32 s13, s9, s13
	s_mul_hi_u32 s15, s9, s12
	s_add_i32 s13, s15, s13
	s_mul_i32 s14, s14, s12
	s_add_i32 s13, s13, s14
	s_mul_i32 s9, s9, s12
	s_add_u32 s44, s22, s9
	s_addc_u32 s45, s23, s13
.LBB70_2:
	s_load_dwordx4 s[40:43], s[6:7], 0x40
	s_load_dwordx2 s[22:23], s[6:7], 0x50
	s_mul_hi_u32 s48, s50, s8
	v_mov_b32_e32 v38, 1.0
	s_waitcnt lgkmcnt(0)
	v_cmp_le_f32_e64 s[8:9], s41, 0
	s_and_b64 vcc, exec, s[8:9]
	s_cbranch_vccnz .LBB70_4
; %bb.3:
	s_sub_i32 s8, s34, s22
	s_lshl_b32 s8, s8, 1
	s_add_i32 s12, s34, 1
	s_or_b32 s13, s8, 1
	s_cmp_lt_u32 s34, s22
	s_cselect_b64 vcc, -1, 0
	s_and_b64 s[8:9], vcc, exec
	v_mov_b32_e32 v1, s43
	v_mov_b32_e32 v2, s42
	s_cselect_b32 s8, s12, s13
	v_cndmask_b32_e32 v18, v1, v2, vcc
	v_cvt_f32_i32_e32 v1, s8
	v_cmp_neq_f32_e32 vcc, 1.0, v18
	s_mov_b32 s8, 0x3f2aaaab
	s_movk_i32 s12, 0x204
	v_cndmask_b32_e32 v19, 1.0, v1, vcc
	v_cmp_eq_f32_e32 vcc, 0, v19
	v_cndmask_b32_e64 v20, |v18|, 1.0, vcc
	v_frexp_mant_f32_e32 v1, v20
	v_cmp_gt_f32_e64 s[8:9], s8, v1
	v_cndmask_b32_e64 v2, 1.0, 2.0, s[8:9]
	v_mul_f32_e32 v1, v1, v2
	v_add_f32_e32 v2, 1.0, v1
	v_rcp_f32_e32 v10, v2
	v_add_f32_e32 v3, -1.0, v2
	v_sub_f32_e32 v5, v1, v3
	v_add_f32_e32 v3, -1.0, v1
	v_mul_f32_e32 v1, v3, v10
	v_mul_f32_e32 v4, v2, v1
	v_fma_f32 v6, v1, v2, -v4
	v_fmac_f32_e32 v6, v1, v5
	v_add_f32_e32 v2, v4, v6
	v_sub_f32_e32 v5, v3, v2
	v_pk_add_f32 v[8:9], v[2:3], v[4:5] neg_lo:[0,1] neg_hi:[0,1]
	v_mov_b32_e32 v7, v2
	v_pk_add_f32 v[2:3], v[8:9], v[6:7] neg_lo:[0,1] neg_hi:[0,1]
	v_add_f32_e32 v2, v2, v3
	v_add_f32_e32 v2, v5, v2
	v_mul_f32_e32 v3, v10, v2
	v_add_f32_e32 v2, v1, v3
	v_sub_f32_e32 v1, v2, v1
	v_sub_f32_e32 v1, v3, v1
	v_mul_f32_e32 v3, v2, v2
	v_fma_f32 v5, v2, v2, -v3
	v_add_f32_e32 v4, v1, v1
	v_fmac_f32_e32 v5, v2, v4
	v_add_f32_e32 v4, v3, v5
	v_mov_b32_e32 v6, 0x3e91f4c4
	v_fmac_f32_e32 v6, 0x3e76c4e1, v4
	v_mov_b32_e32 v7, 0x3ecccdef
	v_fmac_f32_e32 v7, v4, v6
	v_sub_f32_e32 v3, v4, v3
	v_sub_f32_e32 v12, v5, v3
	v_mul_f32_e32 v3, v4, v7
	v_fma_f32 v5, v4, v7, -v3
	v_fmac_f32_e32 v5, v12, v7
	v_add_f32_e32 v6, v3, v5
	v_add_f32_e32 v7, 0x3f2aaaaa, v6
	v_sub_f32_e32 v3, v6, v3
	v_sub_f32_e32 v3, v5, v3
	v_add_f32_e32 v5, 0xbf2aaaaa, v7
	v_add_f32_e32 v3, 0x31739010, v3
	v_sub_f32_e32 v5, v6, v5
	v_pk_mul_f32 v[8:9], v[2:3], v[4:5]
	v_fma_f32 v6, v4, v2, -v8
	v_pk_add_f32 v[10:11], v[2:3], v[4:5]
	v_fmac_f32_e32 v6, v4, v1
	v_mov_b32_e32 v9, v11
	v_fmac_f32_e32 v6, v12, v2
	v_pk_add_f32 v[4:5], v[8:9], v[6:7]
	v_sub_f32_e32 v3, v4, v8
	v_sub_f32_e32 v3, v6, v3
	;; [unrolled: 1-line block ×3, first 2 shown]
	v_add_f32_e32 v9, v11, v6
	v_mov_b32_e32 v6, v5
	v_pk_mul_f32 v[6:7], v[4:5], v[6:7]
	v_cvt_f64_f32_e32 v[10:11], v20
	v_frexp_exp_i32_f64_e32 v7, v[10:11]
	v_subbrev_co_u32_e64 v7, s[8:9], 0, v7, s[8:9]
	v_cvt_f32_i32_e32 v7, v7
	v_fma_f32 v8, v4, v5, -v6
	v_fmac_f32_e32 v8, v4, v9
	s_mov_b32 s8, 0x3f317218
	v_mul_f32_e32 v4, 0x3f317218, v7
	v_fmac_f32_e32 v8, v3, v5
	v_fma_f32 v10, v7, s8, -v4
	v_fmac_f32_e32 v10, 0xb102e308, v7
	v_ldexp_f32 v11, v2, 1
	v_add_f32_e32 v5, v6, v8
	v_pk_add_f32 v[2:3], v[4:5], v[10:11]
	v_mov_b32_e32 v12, v5
	v_mov_b32_e32 v13, v3
	;; [unrolled: 1-line block ×3, first 2 shown]
	v_pk_add_f32 v[6:7], v[12:13], v[6:7] neg_lo:[0,1] neg_hi:[0,1]
	v_mov_b32_e32 v9, v5
	v_ldexp_f32 v1, v1, 1
	v_pk_add_f32 v[6:7], v[8:9], v[6:7] neg_lo:[0,1] neg_hi:[0,1]
	v_add_f32_e32 v1, v1, v6
	v_add_f32_e32 v5, v1, v7
	v_pk_add_f32 v[6:7], v[2:3], v[4:5] neg_lo:[0,1] neg_hi:[0,1]
	v_pk_add_f32 v[8:9], v[2:3], v[4:5]
	v_mov_b32_e32 v12, v6
	v_mov_b32_e32 v13, v9
	;; [unrolled: 1-line block ×3, first 2 shown]
	v_pk_add_f32 v[12:13], v[10:11], v[12:13]
	v_mov_b32_e32 v4, v13
	v_pk_add_f32 v[14:15], v[4:5], v[2:3] neg_lo:[0,1] neg_hi:[0,1]
	v_mov_b32_e32 v1, v14
	v_mov_b32_e32 v12, v9
	;; [unrolled: 1-line block ×4, first 2 shown]
	v_pk_add_f32 v[6:7], v[10:11], v[6:7] neg_lo:[0,1] neg_hi:[0,1]
	v_pk_add_f32 v[16:17], v[8:9], v[0:1] neg_lo:[0,1] neg_hi:[0,1]
	;; [unrolled: 1-line block ×3, first 2 shown]
	v_mov_b32_e32 v10, v5
	v_pk_add_f32 v[2:3], v[10:11], v[2:3] neg_lo:[0,1] neg_hi:[0,1]
	v_mov_b32_e32 v16, v6
	v_pk_add_f32 v[8:9], v[16:17], v[2:3]
	v_mov_b32_e32 v10, v9
	v_pk_add_f32 v[10:11], v[8:9], v[10:11]
	v_pk_add_f32 v[4:5], v[4:5], v[10:11]
	v_mov_b32_e32 v7, v13
	v_mov_b32_e32 v9, v4
	v_pk_add_f32 v[12:13], v[8:9], v[6:7] neg_lo:[0,1] neg_hi:[0,1]
	v_mov_b32_e32 v3, v10
	v_sub_f32_e32 v1, v8, v12
	v_pk_add_f32 v[2:3], v[2:3], v[12:13] neg_lo:[0,1] neg_hi:[0,1]
	v_sub_f32_e32 v1, v6, v1
	v_add_f32_e32 v1, v2, v1
	v_add_f32_e32 v1, v1, v3
	;; [unrolled: 1-line block ×3, first 2 shown]
	v_sub_f32_e32 v3, v2, v4
	v_sub_f32_e32 v1, v1, v3
	v_mul_f32_e32 v3, v19, v2
	v_fma_f32 v2, v19, v2, -v3
	v_fmac_f32_e32 v2, v19, v1
	v_add_f32_e32 v1, v3, v2
	v_cmp_class_f32_e64 s[8:9], v3, s12
	v_sub_f32_e32 v4, v1, v3
	v_cndmask_b32_e64 v1, v1, v3, s[8:9]
	s_mov_b32 s14, 0x42b17218
	v_mov_b32_e32 v3, 0x37000000
	v_cmp_eq_f32_e64 s[8:9], s14, v1
	v_cndmask_b32_e64 v3, 0, v3, s[8:9]
	v_sub_f32_e32 v2, v2, v4
	v_sub_f32_e32 v4, v1, v3
	s_mov_b32 s8, 0x3fb8aa3b
	v_mul_f32_e32 v5, 0x3fb8aa3b, v4
	v_fma_f32 v6, v4, s8, -v5
	v_rndne_f32_e32 v7, v5
	v_fmac_f32_e32 v6, 0x32a5705f, v4
	v_sub_f32_e32 v5, v5, v7
	v_add_f32_e32 v5, v5, v6
	v_exp_f32_e32 v5, v5
	v_cvt_i32_f32_e32 v6, v7
	s_mov_b32 s13, 0x7f800000
	v_cmp_neq_f32_e64 s[8:9], |v1|, s13
	v_cndmask_b32_e64 v1, 0, v2, s[8:9]
	s_mov_b32 s8, 0xc2ce8ed0
	v_ldexp_f32 v2, v5, v6
	v_cmp_ngt_f32_e64 s[8:9], s8, v4
	v_add_f32_e32 v1, v3, v1
	v_cndmask_b32_e64 v2, 0, v2, s[8:9]
	v_mov_b32_e32 v3, 0x7f800000
	v_cmp_nlt_f32_e64 s[8:9], s14, v4
	v_cndmask_b32_e64 v2, v3, v2, s[8:9]
	v_fma_f32 v1, v2, v1, v2
	v_cmp_class_f32_e64 s[8:9], v2, s12
	v_trunc_f32_e32 v4, v19
	v_cndmask_b32_e64 v1, v1, v2, s[8:9]
	v_cndmask_b32_e64 v2, v18, 1.0, vcc
	v_cmp_eq_f32_e32 vcc, v4, v19
	v_mul_f32_e32 v4, 0.5, v19
	v_trunc_f32_e32 v6, v4
	v_cmp_neq_f32_e64 s[8:9], v6, v4
	s_and_b64 s[8:9], vcc, s[8:9]
	v_cndmask_b32_e64 v4, 1.0, v2, s[8:9]
	s_brev_b32 s22, -2
	v_mov_b32_e32 v5, 0x7fc00000
	v_bfi_b32 v1, s22, v1, v4
	v_cndmask_b32_e32 v4, v5, v1, vcc
	v_cmp_gt_f32_e32 vcc, 0, v2
	v_cndmask_b32_e32 v1, v1, v4, vcc
	v_cmp_eq_f32_e32 vcc, s13, v20
	v_cmp_eq_f32_e64 s[12:13], 0, v2
	v_cmp_gt_f32_e64 s[14:15], 0, v19
	s_xor_b64 s[14:15], s[14:15], s[12:13]
	v_cndmask_b32_e64 v3, v3, 0, s[14:15]
	v_cndmask_b32_e64 v4, 0, v2, s[8:9]
	v_bfi_b32 v3, s22, v3, v4
	s_or_b64 vcc, vcc, s[12:13]
	v_cndmask_b32_e32 v1, v1, v3, vcc
	v_cmp_o_f32_e32 vcc, v2, v2
	v_cndmask_b32_e32 v38, v5, v1, vcc
.LBB70_4:
	s_load_dwordx4 s[12:15], s[6:7], 0x70
	s_ashr_i32 s35, s34, 31
	s_ashr_i32 s8, s51, 31
	s_lshl_b32 s22, s10, 5
	v_bfe_u32 v34, v0, 10, 10
	s_waitcnt lgkmcnt(0)
	s_mul_i32 s9, s33, s14
	s_ashr_i32 s14, s9, 31
	s_add_u32 s9, s16, s9
	s_mul_i32 s13, s34, s13
	v_and_b32_e32 v31, 0x3ff, v0
	s_addc_u32 s14, s17, s14
	s_ashr_i32 s15, s13, 31
	v_lshlrev_b32_e32 v32, 2, v34
	s_add_u32 s9, s9, s13
	v_lshlrev_b32_e32 v1, 4, v31
	v_add_u32_e32 v33, s22, v32
	v_add_co_u32_e32 v25, vcc, s9, v1
	v_mul_hi_u32 v1, v33, s36
	s_addc_u32 s13, s14, s15
	v_add_u32_e32 v1, v33, v1
	v_mov_b32_e32 v2, s13
	v_lshrrev_b32_e32 v1, s37, v1
	s_ashr_i32 s14, s12, 31
	v_addc_co_u32_e32 v35, vcc, 0, v2, vcc
	v_mul_lo_u32 v1, v1, s38
	v_mov_b32_e32 v2, s12
	v_sub_u32_e32 v1, v33, v1
	v_alignbit_b32 v36, s14, v2, 2
	v_mad_u64_u32 v[2:3], s[12:13], v36, v1, 0
	v_mov_b32_e32 v4, v3
	s_lshr_b32 s9, s14, 2
	v_mad_u64_u32 v[4:5], s[12:13], s9, v1, v[4:5]
	v_mov_b32_e32 v3, v4
	v_lshlrev_b64 v[2:3], 2, v[2:3]
	v_add_co_u32_e32 v10, vcc, v25, v2
	v_or_b32_e32 v29, 1, v32
	v_addc_co_u32_e32 v11, vcc, v35, v3, vcc
	v_add_u32_e32 v30, s22, v29
	global_load_dwordx4 v[2:5], v[10:11], off
	global_load_dwordx4 v[6:9], v[10:11], off offset:512
	v_mul_hi_u32 v10, v30, s36
	v_add_u32_e32 v10, v30, v10
	v_lshrrev_b32_e32 v10, s37, v10
	v_mul_lo_u32 v10, v10, s38
	v_sub_u32_e32 v13, v30, v10
	v_mad_u64_u32 v[10:11], s[12:13], v36, v13, 0
	v_mov_b32_e32 v12, v11
	v_mad_u64_u32 v[12:13], s[12:13], s9, v13, v[12:13]
	v_mov_b32_e32 v11, v12
	v_lshlrev_b64 v[10:11], 2, v[10:11]
	v_add_co_u32_e32 v18, vcc, v25, v10
	v_or_b32_e32 v27, 2, v32
	v_addc_co_u32_e32 v19, vcc, v35, v11, vcc
	v_add_u32_e32 v28, s22, v27
	global_load_dwordx4 v[10:13], v[18:19], off
	global_load_dwordx4 v[14:17], v[18:19], off offset:512
	v_mul_hi_u32 v18, v28, s36
	v_add_u32_e32 v18, v28, v18
	v_lshrrev_b32_e32 v18, s37, v18
	v_mul_lo_u32 v18, v18, s38
	v_sub_u32_e32 v21, v28, v18
	v_mad_u64_u32 v[18:19], s[12:13], v36, v21, 0
	v_mov_b32_e32 v20, v19
	;; [unrolled: 16-line block ×3, first 2 shown]
	v_mad_u64_u32 v[36:37], s[12:13], s9, v37, v[36:37]
	v_mov_b32_e32 v23, v36
	v_lshlrev_b64 v[22:23], 2, v[22:23]
	v_add_co_u32_e32 v22, vcc, v25, v22
	v_addc_co_u32_e32 v23, vcc, v35, v23, vcc
	global_load_dwordx4 v[44:47], v[22:23], off
	global_load_dwordx4 v[48:51], v[22:23], off offset:512
	v_lshlrev_b32_e32 v36, 3, v31
	v_lshl_or_b32 v52, v34, 11, v36
	v_lshlrev_b32_e32 v22, 1, v31
	v_lshlrev_b32_e32 v25, 2, v31
	s_cmp_eq_u64 s[26:27], 0
	s_waitcnt vmcnt(7)
	v_pk_mul_f32 v[2:3], v[2:3], s[40:41] op_sel_hi:[1,0]
	v_cvt_f16_f32_e32 v23, v3
	v_cvt_f16_f32_e32 v35, v2
	v_pk_mul_f32 v[2:3], v[4:5], s[40:41] op_sel_hi:[1,0]
	v_cvt_f16_f32_e32 v37, v3
	v_cvt_f16_f32_e32 v39, v2
	s_waitcnt vmcnt(6)
	v_pk_mul_f32 v[2:3], v[6:7], s[40:41] op_sel_hi:[1,0]
	v_pk_mul_f32 v[4:5], v[8:9], s[40:41] op_sel_hi:[1,0]
	v_cvt_f16_f32_e32 v6, v3
	v_cvt_f16_f32_e32 v5, v5
	;; [unrolled: 1-line block ×4, first 2 shown]
	v_pack_b32_f16 v3, v39, v37
	v_pack_b32_f16 v2, v35, v23
	;; [unrolled: 1-line block ×4, first 2 shown]
	ds_write2_b64 v52, v[2:3], v[4:5] offset1:32
	v_lshlrev_b32_e32 v4, 7, v29
	s_waitcnt vmcnt(5)
	v_pk_mul_f32 v[2:3], v[10:11], s[40:41] op_sel_hi:[1,0]
	v_cvt_f16_f32_e32 v6, v3
	v_cvt_f16_f32_e32 v7, v2
	v_pk_mul_f32 v[2:3], v[12:13], s[40:41] op_sel_hi:[1,0]
	v_cvt_f16_f32_e32 v8, v3
	v_cvt_f16_f32_e32 v9, v2
	v_add_lshl_u32 v10, v4, v22, 2
	s_waitcnt vmcnt(4)
	v_pk_mul_f32 v[2:3], v[14:15], s[40:41] op_sel_hi:[1,0]
	v_pk_mul_f32 v[4:5], v[16:17], s[40:41] op_sel_hi:[1,0]
	v_cvt_f16_f32_e32 v11, v3
	v_cvt_f16_f32_e32 v5, v5
	;; [unrolled: 1-line block ×4, first 2 shown]
	v_pack_b32_f16 v3, v9, v8
	v_pack_b32_f16 v2, v7, v6
	;; [unrolled: 1-line block ×4, first 2 shown]
	ds_write2_b64 v10, v[2:3], v[4:5] offset1:32
	v_lshlrev_b32_e32 v4, 7, v27
	s_waitcnt vmcnt(3)
	v_pk_mul_f32 v[2:3], v[18:19], s[40:41] op_sel_hi:[1,0]
	v_cvt_f16_f32_e32 v6, v3
	v_cvt_f16_f32_e32 v7, v2
	v_pk_mul_f32 v[2:3], v[20:21], s[40:41] op_sel_hi:[1,0]
	v_cvt_f16_f32_e32 v8, v3
	v_cvt_f16_f32_e32 v9, v2
	v_add_lshl_u32 v10, v4, v22, 2
	s_waitcnt vmcnt(2)
	v_pk_mul_f32 v[2:3], v[40:41], s[40:41] op_sel_hi:[1,0]
	v_pk_mul_f32 v[4:5], v[42:43], s[40:41] op_sel_hi:[1,0]
	v_cvt_f16_f32_e32 v11, v3
	v_cvt_f16_f32_e32 v5, v5
	;; [unrolled: 1-line block ×4, first 2 shown]
	v_pack_b32_f16 v3, v9, v8
	v_pack_b32_f16 v2, v7, v6
	;; [unrolled: 1-line block ×4, first 2 shown]
	ds_write2_b64 v10, v[2:3], v[4:5] offset1:32
	s_waitcnt vmcnt(1)
	v_pk_mul_f32 v[2:3], v[44:45], s[40:41] op_sel_hi:[1,0]
	v_lshlrev_b32_e32 v4, 7, v24
	v_cvt_f16_f32_e32 v6, v3
	v_cvt_f16_f32_e32 v7, v2
	v_pk_mul_f32 v[2:3], v[46:47], s[40:41] op_sel_hi:[1,0]
	v_cvt_f16_f32_e32 v8, v3
	v_cvt_f16_f32_e32 v9, v2
	v_add_lshl_u32 v10, v4, v22, 2
	s_waitcnt vmcnt(0)
	v_pk_mul_f32 v[2:3], v[48:49], s[40:41] op_sel_hi:[1,0]
	v_pk_mul_f32 v[4:5], v[50:51], s[40:41] op_sel_hi:[1,0]
	v_cvt_f16_f32_e32 v11, v3
	v_cvt_f16_f32_e32 v5, v5
	;; [unrolled: 1-line block ×4, first 2 shown]
	v_pack_b32_f16 v3, v9, v8
	v_pack_b32_f16 v2, v7, v6
	;; [unrolled: 1-line block ×4, first 2 shown]
	ds_write2_b64 v10, v[2:3], v[4:5] offset1:32
	s_waitcnt lgkmcnt(0)
	s_barrier
	s_cbranch_scc1 .LBB70_6
; %bb.5:
	s_load_dword s9, s[6:7], 0xd0
	s_mov_b32 s13, 0
	s_waitcnt lgkmcnt(0)
	s_mul_i32 s9, s9, s33
	s_add_i32 s12, s9, s10
	s_lshl_b64 s[12:13], s[12:13], 2
	s_add_u32 s12, s26, s12
	s_addc_u32 s13, s27, s13
	s_load_dword s46, s[12:13], 0x0
.LBB70_6:
	s_load_dwordx2 s[16:17], s[6:7], 0x8c
	s_nop 0
	s_load_dwordx4 s[12:15], s[6:7], 0x98
	s_load_dwordx2 s[42:43], s[6:7], 0xa8
	s_ashr_i32 s9, s33, 31
	s_ashr_i32 s26, s49, 1
	s_waitcnt lgkmcnt(0)
	s_ashr_i32 s27, s16, 2
	s_ashr_i32 s10, s14, 2
	s_mul_i32 s13, s33, s13
	s_mul_hi_u32 s14, s33, s12
	s_add_i32 s13, s14, s13
	s_mul_i32 s14, s9, s12
	s_add_i32 s13, s13, s14
	s_mul_i32 s12, s33, s12
	s_add_u32 s12, s18, s12
	s_mul_i32 s14, s48, s47
	s_addc_u32 s13, s19, s13
	s_sub_i32 s14, s50, s14
	s_xor_b32 s8, s35, s8
	s_add_i32 s16, s48, 1
	s_sub_i32 s18, s14, s47
	s_cmp_ge_u32 s14, s47
	s_cselect_b32 s16, s16, s48
	s_cselect_b32 s14, s18, s14
	s_add_i32 s18, s16, 1
	s_cmp_ge_u32 s14, s47
	s_cselect_b32 s14, s18, s16
	s_xor_b32 s14, s14, s8
	s_sub_i32 s8, s14, s8
	s_mul_i32 s14, s8, s17
	s_ashr_i32 s16, s14, 31
	s_add_u32 s40, s12, s14
	s_addc_u32 s41, s13, s16
	s_mul_i32 s12, s33, s43
	s_mul_hi_u32 s13, s33, s42
	s_add_i32 s12, s13, s12
	s_mul_i32 s9, s9, s42
	s_add_i32 s12, s12, s9
	s_mul_i32 s9, s33, s42
	s_add_u32 s9, s20, s9
	s_mul_i32 s8, s8, s15
	s_addc_u32 s12, s21, s12
	s_ashr_i32 s13, s8, 31
	s_add_u32 s18, s9, s8
	s_addc_u32 s19, s12, s13
	s_lshl_b32 s20, s11, 5
	s_sub_i32 s21, s46, 32
	v_mul_lo_u32 v22, s10, v34
	s_mov_b32 s12, 0xfeffffff
	s_cmp_ge_i32 s20, s21
	v_mov_b32_e32 v5, 0
	v_mov_b32_e32 v50, 0
	v_lshrrev_b32_e32 v11, 4, v31
	v_and_b32_e32 v10, 60, v25
	v_lshlrev_b32_e32 v55, 11, v34
	v_lshlrev_b32_e32 v35, 2, v25
	v_ashrrev_i32_e32 v23, 31, v22
	v_lshl_add_u32 v20, s10, 3, v22
	v_mbcnt_lo_u32_b32 v54, -1, 0
	s_cbranch_scc1 .LBB70_38
; %bb.7:
	s_movk_i32 s8, 0x110
	v_mov_b32_e32 v6, 0x4000
	v_mad_u32_u24 v58, v31, s8, v6
	v_or_b32_e32 v6, 1, v33
	v_mul_hi_u32 v7, s36, v6
	v_add_u32_e32 v7, v6, v7
	v_lshrrev_b32_e32 v7, s37, v7
	v_mul_lo_u32 v7, v7, s38
	v_sub_u32_e32 v6, v6, v7
	v_mul_lo_u32 v60, v6, s26
	v_or_b32_e32 v6, 2, v33
	v_mul_hi_u32 v7, s36, v6
	v_add_u32_e32 v7, v6, v7
	v_lshrrev_b32_e32 v7, s37, v7
	v_mul_lo_u32 v7, v7, s38
	v_sub_u32_e32 v6, v6, v7
	v_mul_lo_u32 v61, v6, s26
	v_or_b32_e32 v6, 3, v33
	v_mul_hi_u32 v7, s36, v6
	v_add_u32_e32 v7, v6, v7
	v_lshrrev_b32_e32 v7, s37, v7
	v_lshl_add_u32 v2, v34, 1, v11
	v_lshlrev_b32_e32 v3, 2, v10
	v_mul_lo_u32 v7, v7, s38
	v_mad_u32_u24 v4, v2, s8, v3
	v_mul_lo_u32 v2, s27, v2
	v_sub_u32_e32 v6, v6, v7
	v_add_u32_e32 v56, 0x4000, v4
	v_add_u32_e32 v57, 0x5100, v4
	v_lshl_add_u32 v4, s27, 4, v2
	s_cmp_lg_u64 s[44:45], 0
	v_mul_lo_u32 v62, v6, s26
	v_mov_b32_e32 v6, 0x6200
	v_mov_b32_e32 v37, 0
	v_ashrrev_i32_e32 v3, 31, v2
	v_ashrrev_i32_e32 v5, 31, v4
	s_cselect_b64 s[12:13], -1, 0
	v_lshl_add_u32 v63, v34, 8, v6
	v_lshl_add_u32 v6, v34, 9, v35
	v_ashrrev_i32_e32 v21, 31, v20
	s_add_u32 s14, s6, 0xd0
	v_mul_lo_u32 v59, v1, s26
	v_add_u32_e32 v64, 0x4000, v6
	v_add_u32_e32 v65, 0x5000, v6
	s_addc_u32 s15, s7, 0
	v_mov_b32_e32 v71, 0xfeffffff
	v_lshlrev_b64 v[12:13], 2, v[2:3]
	v_lshlrev_b32_e32 v66, 2, v10
	v_lshlrev_b64 v[14:15], 2, v[4:5]
	s_mov_b32 s42, 0x3f200000
	s_mov_b32 s43, 0x3fb8aa3b
	;; [unrolled: 1-line block ×4, first 2 shown]
	v_mov_b32_e32 v67, 0xbd5c1c4e
	v_mov_b32_e32 v68, 0x3e088382
	;; [unrolled: 1-line block ×3, first 2 shown]
	s_brev_b32 s49, -2
	v_mbcnt_hi_u32_b32 v70, -1, v54
	v_lshlrev_b64 v[16:17], 2, v[22:23]
	v_lshlrev_b64 v[18:19], 2, v[20:21]
	v_mov_b32_e32 v21, 0x7f800000
	v_mov_b32_e32 v39, 0
	;; [unrolled: 1-line block ×23, first 2 shown]
.LBB70_8:                               ; =>This Inner Loop Header: Depth=1
	s_mul_hi_i32 s9, s20, s27
	s_mul_i32 s8, s20, s27
	s_lshl_b64 s[8:9], s[8:9], 2
	s_add_u32 s8, s40, s8
	s_addc_u32 s9, s41, s9
	v_mov_b32_e32 v6, s9
	v_add_co_u32_e32 v7, vcc, s8, v12
	v_addc_co_u32_e32 v8, vcc, v6, v13, vcc
	v_add_co_u32_e32 v6, vcc, v7, v66
	v_addc_co_u32_e32 v7, vcc, 0, v8, vcc
	v_mov_b32_e32 v8, s9
	v_add_co_u32_e32 v9, vcc, s8, v14
	v_addc_co_u32_e32 v75, vcc, v8, v15, vcc
	v_add_co_u32_e32 v8, vcc, v9, v66
	v_addc_co_u32_e32 v9, vcc, 0, v75, vcc
	global_load_dwordx4 v[80:83], v[6:7], off
	global_load_dwordx4 v[84:87], v[8:9], off
	v_mov_b32_e32 v78, 0
	v_mov_b32_e32 v77, 0
	;; [unrolled: 1-line block ×4, first 2 shown]
	s_waitcnt vmcnt(1)
	ds_write_b128 v56, v[80:83]
	s_waitcnt vmcnt(0)
	ds_write_b128 v57, v[84:87]
	s_waitcnt lgkmcnt(0)
	s_barrier
	ds_read_b128 v[80:83], v58
	ds_read_b128 v[84:87], v55
	ds_read_b128 v[88:91], v55 offset:512
	ds_read_b128 v[92:95], v55 offset:1024
	ds_read_b128 v[96:99], v55 offset:1536
	s_waitcnt lgkmcnt(3)
	;;#ASMSTART
	v_dot2_f32_f16 v78, v80, v84, v78
	;;#ASMEND
	;;#ASMSTART
	v_dot2_f32_f16 v78, v81, v85, v78
	;;#ASMEND
	;;#ASMSTART
	v_dot2_f32_f16 v78, v82, v86, v78
	;;#ASMEND
	;;#ASMSTART
	v_dot2_f32_f16 v78, v83, v87, v78
	;;#ASMEND
	s_waitcnt lgkmcnt(2)
	;;#ASMSTART
	v_dot2_f32_f16 v77, v80, v88, v77
	;;#ASMEND
	;;#ASMSTART
	v_dot2_f32_f16 v77, v81, v89, v77
	;;#ASMEND
	;;#ASMSTART
	v_dot2_f32_f16 v77, v82, v90, v77
	;;#ASMEND
	;;#ASMSTART
	v_dot2_f32_f16 v77, v83, v91, v77
	;;#ASMEND
	s_waitcnt lgkmcnt(1)
	;;#ASMSTART
	v_dot2_f32_f16 v76, v80, v92, v76
	;;#ASMEND
	;;#ASMSTART
	v_dot2_f32_f16 v76, v81, v93, v76
	;;#ASMEND
	;;#ASMSTART
	v_dot2_f32_f16 v76, v82, v94, v76
	;;#ASMEND
	;;#ASMSTART
	v_dot2_f32_f16 v76, v83, v95, v76
	;;#ASMEND
	s_waitcnt lgkmcnt(0)
	;;#ASMSTART
	v_dot2_f32_f16 v75, v80, v96, v75
	;;#ASMEND
	;;#ASMSTART
	v_dot2_f32_f16 v75, v81, v97, v75
	;;#ASMEND
	;;#ASMSTART
	v_dot2_f32_f16 v75, v82, v98, v75
	;;#ASMEND
	;;#ASMSTART
	v_dot2_f32_f16 v75, v83, v99, v75
	;;#ASMEND
	ds_read_b128 v[80:83], v58 offset:16
	ds_read_b128 v[84:87], v55 offset:16
	ds_read_b128 v[88:91], v55 offset:528
	ds_read_b128 v[92:95], v55 offset:1040
	ds_read_b128 v[96:99], v55 offset:1552
	s_waitcnt lgkmcnt(3)
	;;#ASMSTART
	v_dot2_f32_f16 v78, v80, v84, v78
	;;#ASMEND
	;;#ASMSTART
	v_dot2_f32_f16 v78, v81, v85, v78
	;;#ASMEND
	;;#ASMSTART
	v_dot2_f32_f16 v78, v82, v86, v78
	;;#ASMEND
	;;#ASMSTART
	v_dot2_f32_f16 v78, v83, v87, v78
	;;#ASMEND
	s_waitcnt lgkmcnt(2)
	;;#ASMSTART
	v_dot2_f32_f16 v77, v80, v88, v77
	;;#ASMEND
	;;#ASMSTART
	v_dot2_f32_f16 v77, v81, v89, v77
	;;#ASMEND
	;;#ASMSTART
	v_dot2_f32_f16 v77, v82, v90, v77
	;;#ASMEND
	;;#ASMSTART
	v_dot2_f32_f16 v77, v83, v91, v77
	;;#ASMEND
	s_waitcnt lgkmcnt(1)
	;;#ASMSTART
	v_dot2_f32_f16 v76, v80, v92, v76
	;;#ASMEND
	;;#ASMSTART
	v_dot2_f32_f16 v76, v81, v93, v76
	;;#ASMEND
	;;#ASMSTART
	v_dot2_f32_f16 v76, v82, v94, v76
	;;#ASMEND
	;;#ASMSTART
	v_dot2_f32_f16 v76, v83, v95, v76
	;;#ASMEND
	s_waitcnt lgkmcnt(0)
	;;#ASMSTART
	v_dot2_f32_f16 v75, v80, v96, v75
	;;#ASMEND
	;;#ASMSTART
	v_dot2_f32_f16 v75, v81, v97, v75
	;;#ASMEND
	;;#ASMSTART
	v_dot2_f32_f16 v75, v82, v98, v75
	;;#ASMEND
	;;#ASMSTART
	v_dot2_f32_f16 v75, v83, v99, v75
	;;#ASMEND
	ds_read_b128 v[80:83], v58 offset:32
	ds_read_b128 v[84:87], v55 offset:32
	;; [unrolled: 57-line block ×15, first 2 shown]
	ds_read_b128 v[88:91], v55 offset:752
	ds_read_b128 v[92:95], v55 offset:1264
	;; [unrolled: 1-line block ×3, first 2 shown]
	s_waitcnt lgkmcnt(3)
	;;#ASMSTART
	v_dot2_f32_f16 v78, v80, v84, v78
	;;#ASMEND
	;;#ASMSTART
	v_dot2_f32_f16 v78, v81, v85, v78
	;;#ASMEND
	;;#ASMSTART
	v_dot2_f32_f16 v78, v82, v86, v78
	;;#ASMEND
	;;#ASMSTART
	v_dot2_f32_f16 v78, v83, v87, v78
	;;#ASMEND
	s_waitcnt lgkmcnt(2)
	;;#ASMSTART
	v_dot2_f32_f16 v77, v80, v88, v77
	;;#ASMEND
	;;#ASMSTART
	v_dot2_f32_f16 v77, v81, v89, v77
	;;#ASMEND
	;;#ASMSTART
	v_dot2_f32_f16 v77, v82, v90, v77
	;;#ASMEND
	;;#ASMSTART
	v_dot2_f32_f16 v77, v83, v91, v77
	;;#ASMEND
	s_waitcnt lgkmcnt(1)
	;;#ASMSTART
	v_dot2_f32_f16 v76, v80, v92, v76
	;;#ASMEND
	;;#ASMSTART
	v_dot2_f32_f16 v76, v81, v93, v76
	;;#ASMEND
	;;#ASMSTART
	v_dot2_f32_f16 v76, v82, v94, v76
	;;#ASMEND
	;;#ASMSTART
	v_dot2_f32_f16 v76, v83, v95, v76
	;;#ASMEND
	s_waitcnt lgkmcnt(0)
	;;#ASMSTART
	v_dot2_f32_f16 v75, v80, v96, v75
	;;#ASMEND
	;;#ASMSTART
	v_dot2_f32_f16 v75, v81, v97, v75
	;;#ASMEND
	;;#ASMSTART
	v_dot2_f32_f16 v75, v82, v98, v75
	;;#ASMEND
	;;#ASMSTART
	v_dot2_f32_f16 v75, v83, v99, v75
	;;#ASMEND
	s_barrier
	global_load_dwordx4 v[80:83], v[6:7], off offset:256
	global_load_dwordx4 v[84:87], v[8:9], off offset:256
	s_waitcnt vmcnt(1)
	ds_write_b128 v56, v[80:83]
	s_waitcnt vmcnt(0)
	ds_write_b128 v57, v[84:87]
	s_waitcnt lgkmcnt(0)
	s_barrier
	ds_read_b128 v[6:9], v58
	ds_read_b128 v[80:83], v55 offset:256
	ds_read_b128 v[84:87], v55 offset:768
	ds_read_b128 v[88:91], v55 offset:1280
	ds_read_b128 v[92:95], v55 offset:1792
	s_waitcnt lgkmcnt(3)
	;;#ASMSTART
	v_dot2_f32_f16 v78, v6, v80, v78
	;;#ASMEND
	;;#ASMSTART
	v_dot2_f32_f16 v78, v7, v81, v78
	;;#ASMEND
	;;#ASMSTART
	v_dot2_f32_f16 v78, v8, v82, v78
	;;#ASMEND
	;;#ASMSTART
	v_dot2_f32_f16 v78, v9, v83, v78
	;;#ASMEND
	s_waitcnt lgkmcnt(2)
	;;#ASMSTART
	v_dot2_f32_f16 v77, v6, v84, v77
	;;#ASMEND
	;;#ASMSTART
	v_dot2_f32_f16 v77, v7, v85, v77
	;;#ASMEND
	;;#ASMSTART
	v_dot2_f32_f16 v77, v8, v86, v77
	;;#ASMEND
	;;#ASMSTART
	v_dot2_f32_f16 v77, v9, v87, v77
	;;#ASMEND
	s_waitcnt lgkmcnt(1)
	;;#ASMSTART
	v_dot2_f32_f16 v76, v6, v88, v76
	;;#ASMEND
	;;#ASMSTART
	v_dot2_f32_f16 v76, v7, v89, v76
	;;#ASMEND
	;;#ASMSTART
	v_dot2_f32_f16 v76, v8, v90, v76
	;;#ASMEND
	;;#ASMSTART
	v_dot2_f32_f16 v76, v9, v91, v76
	;;#ASMEND
	s_waitcnt lgkmcnt(0)
	;;#ASMSTART
	v_dot2_f32_f16 v75, v6, v92, v75
	;;#ASMEND
	;;#ASMSTART
	v_dot2_f32_f16 v75, v7, v93, v75
	;;#ASMEND
	;;#ASMSTART
	v_dot2_f32_f16 v75, v8, v94, v75
	;;#ASMEND
	;;#ASMSTART
	v_dot2_f32_f16 v75, v9, v95, v75
	;;#ASMEND
	ds_read_b128 v[6:9], v58 offset:16
	ds_read_b128 v[80:83], v55 offset:272
	ds_read_b128 v[84:87], v55 offset:784
	ds_read_b128 v[88:91], v55 offset:1296
	ds_read_b128 v[92:95], v55 offset:1808
	s_waitcnt lgkmcnt(3)
	;;#ASMSTART
	v_dot2_f32_f16 v78, v6, v80, v78
	;;#ASMEND
	;;#ASMSTART
	v_dot2_f32_f16 v78, v7, v81, v78
	;;#ASMEND
	;;#ASMSTART
	v_dot2_f32_f16 v78, v8, v82, v78
	;;#ASMEND
	;;#ASMSTART
	v_dot2_f32_f16 v78, v9, v83, v78
	;;#ASMEND
	s_waitcnt lgkmcnt(2)
	;;#ASMSTART
	v_dot2_f32_f16 v77, v6, v84, v77
	;;#ASMEND
	;;#ASMSTART
	v_dot2_f32_f16 v77, v7, v85, v77
	;;#ASMEND
	;;#ASMSTART
	v_dot2_f32_f16 v77, v8, v86, v77
	;;#ASMEND
	;;#ASMSTART
	v_dot2_f32_f16 v77, v9, v87, v77
	;;#ASMEND
	s_waitcnt lgkmcnt(1)
	;;#ASMSTART
	v_dot2_f32_f16 v76, v6, v88, v76
	;;#ASMEND
	;;#ASMSTART
	v_dot2_f32_f16 v76, v7, v89, v76
	;;#ASMEND
	;;#ASMSTART
	v_dot2_f32_f16 v76, v8, v90, v76
	;;#ASMEND
	;;#ASMSTART
	v_dot2_f32_f16 v76, v9, v91, v76
	;;#ASMEND
	s_waitcnt lgkmcnt(0)
	;;#ASMSTART
	v_dot2_f32_f16 v75, v6, v92, v75
	;;#ASMEND
	;;#ASMSTART
	v_dot2_f32_f16 v75, v7, v93, v75
	;;#ASMEND
	;;#ASMSTART
	v_dot2_f32_f16 v75, v8, v94, v75
	;;#ASMEND
	;;#ASMSTART
	v_dot2_f32_f16 v75, v9, v95, v75
	;;#ASMEND
	ds_read_b128 v[6:9], v58 offset:32
	;; [unrolled: 57-line block ×15, first 2 shown]
	ds_read_b128 v[80:83], v55 offset:496
	ds_read_b128 v[84:87], v55 offset:1008
	;; [unrolled: 1-line block ×4, first 2 shown]
	s_waitcnt lgkmcnt(3)
	;;#ASMSTART
	v_dot2_f32_f16 v78, v6, v80, v78
	;;#ASMEND
	;;#ASMSTART
	v_dot2_f32_f16 v78, v7, v81, v78
	;;#ASMEND
	;;#ASMSTART
	v_dot2_f32_f16 v78, v8, v82, v78
	;;#ASMEND
	;;#ASMSTART
	v_dot2_f32_f16 v78, v9, v83, v78
	;;#ASMEND
	s_waitcnt lgkmcnt(2)
	;;#ASMSTART
	v_dot2_f32_f16 v77, v6, v84, v77
	;;#ASMEND
	;;#ASMSTART
	v_dot2_f32_f16 v77, v7, v85, v77
	;;#ASMEND
	;;#ASMSTART
	v_dot2_f32_f16 v77, v8, v86, v77
	;;#ASMEND
	;;#ASMSTART
	v_dot2_f32_f16 v77, v9, v87, v77
	;;#ASMEND
	;; [unrolled: 13-line block ×3, first 2 shown]
	s_waitcnt lgkmcnt(0)
	;;#ASMSTART
	v_dot2_f32_f16 v75, v6, v92, v75
	;;#ASMEND
	;;#ASMSTART
	v_dot2_f32_f16 v75, v7, v93, v75
	;;#ASMEND
	;; [unrolled: 3-line block ×3, first 2 shown]
	v_cmp_nlt_f32_e64 s[8:9], |v78|, s42
	;;#ASMSTART
	v_dot2_f32_f16 v75, v9, v95, v75
	;;#ASMEND
                                        ; implicit-def: $vgpr7
	s_and_saveexec_b64 s[16:17], s[8:9]
	s_xor_b64 s[8:9], exec, s[16:17]
	s_cbranch_execz .LBB70_10
; %bb.9:                                ;   in Loop: Header=BB70_8 Depth=1
	v_add_f32_e64 v6, |v78|, |v78|
	v_mul_f32_e32 v7, 0x3fb8aa3b, v6
	v_rndne_f32_e32 v8, v7
	v_sub_f32_e32 v9, v7, v8
	v_fma_f32 v7, v6, s43, -v7
	v_fmac_f32_e32 v7, 0x32a5705f, v6
	v_add_f32_e32 v7, v9, v7
	v_cvt_i32_f32_e32 v8, v8
	v_exp_f32_e32 v7, v7
	v_cmp_ngt_f32_e32 vcc, s47, v6
	v_ldexp_f32 v7, v7, v8
	v_cndmask_b32_e32 v7, 0, v7, vcc
	v_cmp_nlt_f32_e32 vcc, s48, v6
	v_cndmask_b32_e32 v6, v21, v7, vcc
	v_add_f32_e32 v6, 1.0, v6
	v_rcp_f32_e32 v6, v6
	v_fma_f32 v7, v6, -2.0, 1.0
.LBB70_10:                              ;   in Loop: Header=BB70_8 Depth=1
	s_andn2_saveexec_b64 s[8:9], s[8:9]
; %bb.11:                               ;   in Loop: Header=BB70_8 Depth=1
	v_mul_f32_e32 v6, v78, v78
	v_mov_b32_e32 v7, 0x3ca908c9
	v_fmac_f32_e32 v7, 0xbbbac73d, v6
	v_fma_f32 v7, v6, v7, v67
	v_fma_f32 v7, v6, v7, v68
	;; [unrolled: 1-line block ×3, first 2 shown]
	v_mul_f32_e64 v7, |v78|, v7
	v_fma_f32 v7, v6, v7, |v78|
; %bb.12:                               ;   in Loop: Header=BB70_8 Depth=1
	s_or_b64 exec, exec, s[8:9]
	v_cndmask_b32_e64 v6, 0, 1, s[12:13]
	v_cmp_ne_u32_e64 s[8:9], 1, v6
	s_andn2_b64 vcc, exec, s[12:13]
	v_add_u32_e32 v6, s20, v31
	s_cbranch_vccnz .LBB70_14
; %bb.13:                               ;   in Loop: Header=BB70_8 Depth=1
	v_add_u32_e32 v8, v6, v59
	v_ashrrev_i32_e32 v9, 31, v8
	v_lshlrev_b64 v[8:9], 1, v[8:9]
	v_mov_b32_e32 v79, s45
	v_add_co_u32_e32 v8, vcc, s44, v8
	v_addc_co_u32_e32 v9, vcc, v79, v9, vcc
	flat_load_ushort v8, v[8:9]
	s_waitcnt vmcnt(0) lgkmcnt(0)
	v_cvt_f32_f16_e32 v8, v8
	v_mul_f32_e32 v9, v38, v8
	s_branch .LBB70_15
.LBB70_14:                              ;   in Loop: Header=BB70_8 Depth=1
	v_mov_b32_e32 v9, 0
.LBB70_15:                              ;   in Loop: Header=BB70_8 Depth=1
	v_bfi_b32 v8, s49, v7, v78
	v_and_b32_e32 v7, 0x60, v70
	v_add_u32_e32 v78, 32, v7
	v_xor_b32_e32 v7, 16, v70
	v_cmp_lt_i32_e32 vcc, v7, v78
	v_fmac_f32_e32 v9, s23, v8
	v_cndmask_b32_e32 v7, v70, v7, vcc
	v_add_f32_e32 v8, 0x40051340, v9
	v_max_f32_e32 v79, v71, v71
	v_lshlrev_b32_e32 v7, 2, v7
	v_max_f32_e32 v8, v79, v8
	ds_bpermute_b32 v79, v7, v8
	v_xor_b32_e32 v80, 8, v70
	v_cmp_lt_i32_e32 vcc, v80, v78
	v_cndmask_b32_e32 v80, v70, v80, vcc
	v_lshlrev_b32_e32 v81, 2, v80
	s_waitcnt lgkmcnt(0)
	v_max_f32_e32 v79, v79, v79
	v_max_f32_e32 v8, v8, v79
	ds_bpermute_b32 v80, v81, v8
	v_xor_b32_e32 v79, 4, v70
	v_cmp_lt_i32_e32 vcc, v79, v78
	v_cndmask_b32_e32 v79, v70, v79, vcc
	v_lshlrev_b32_e32 v79, 2, v79
	s_waitcnt lgkmcnt(0)
	v_max_f32_e32 v80, v80, v80
	;; [unrolled: 8-line block ×4, first 2 shown]
	v_max_f32_e32 v80, v80, v82
	ds_bpermute_b32 v82, v78, v80
	v_cmp_nlt_f32_e64 s[16:17], |v77|, s42
                                        ; implicit-def: $vgpr84
	s_and_saveexec_b64 s[50:51], s[16:17]
	s_xor_b64 s[16:17], exec, s[50:51]
	s_cbranch_execnz .LBB70_19
; %bb.16:                               ;   in Loop: Header=BB70_8 Depth=1
	s_andn2_saveexec_b64 s[16:17], s[16:17]
	s_cbranch_execnz .LBB70_20
.LBB70_17:                              ;   in Loop: Header=BB70_8 Depth=1
	s_or_b64 exec, exec, s[16:17]
	s_and_b64 vcc, exec, s[8:9]
	s_cbranch_vccnz .LBB70_21
.LBB70_18:                              ;   in Loop: Header=BB70_8 Depth=1
	v_add_u32_e32 v86, v6, v60
	v_ashrrev_i32_e32 v87, 31, v86
	v_lshlrev_b64 v[86:87], 1, v[86:87]
	v_mov_b32_e32 v83, s45
	v_add_co_u32_e32 v86, vcc, s44, v86
	v_addc_co_u32_e32 v87, vcc, v83, v87, vcc
	flat_load_ushort v83, v[86:87]
	s_waitcnt vmcnt(0) lgkmcnt(0)
	v_cvt_f32_f16_e32 v83, v83
	v_mul_f32_e32 v83, v38, v83
	s_branch .LBB70_22
.LBB70_19:                              ;   in Loop: Header=BB70_8 Depth=1
	v_add_f32_e64 v83, |v77|, |v77|
	v_mul_f32_e32 v84, 0x3fb8aa3b, v83
	v_rndne_f32_e32 v85, v84
	v_sub_f32_e32 v86, v84, v85
	v_fma_f32 v84, v83, s43, -v84
	v_fmac_f32_e32 v84, 0x32a5705f, v83
	v_add_f32_e32 v84, v86, v84
	v_cvt_i32_f32_e32 v85, v85
	v_exp_f32_e32 v84, v84
	v_cmp_ngt_f32_e32 vcc, s47, v83
	v_ldexp_f32 v84, v84, v85
	v_cndmask_b32_e32 v84, 0, v84, vcc
	v_cmp_nlt_f32_e32 vcc, s48, v83
	v_cndmask_b32_e32 v83, v21, v84, vcc
	v_add_f32_e32 v83, 1.0, v83
	v_rcp_f32_e32 v83, v83
	v_fma_f32 v84, v83, -2.0, 1.0
	s_andn2_saveexec_b64 s[16:17], s[16:17]
	s_cbranch_execz .LBB70_17
.LBB70_20:                              ;   in Loop: Header=BB70_8 Depth=1
	v_mul_f32_e32 v83, v77, v77
	v_mov_b32_e32 v84, 0x3ca908c9
	v_fmac_f32_e32 v84, 0xbbbac73d, v83
	v_fma_f32 v84, v83, v84, v67
	v_fma_f32 v84, v83, v84, v68
	;; [unrolled: 1-line block ×3, first 2 shown]
	v_mul_f32_e64 v84, |v77|, v84
	v_fma_f32 v84, v83, v84, |v77|
	s_or_b64 exec, exec, s[16:17]
	s_and_b64 vcc, exec, s[8:9]
	s_cbranch_vccz .LBB70_18
.LBB70_21:                              ;   in Loop: Header=BB70_8 Depth=1
	v_mov_b32_e32 v83, 0
.LBB70_22:                              ;   in Loop: Header=BB70_8 Depth=1
	v_bfi_b32 v77, s49, v84, v77
	v_fmac_f32_e32 v83, s23, v77
	v_add_f32_e32 v77, 0x40051340, v83
	v_max_f32_e32 v84, v72, v72
	v_max_f32_e32 v77, v84, v77
	ds_bpermute_b32 v84, v7, v77
	v_cmp_nlt_f32_e64 s[16:17], |v76|, s42
                                        ; implicit-def: $vgpr86
	s_waitcnt lgkmcnt(0)
	v_max_f32_e32 v84, v84, v84
	v_max_f32_e32 v77, v77, v84
	ds_bpermute_b32 v84, v81, v77
	s_waitcnt lgkmcnt(0)
	v_max_f32_e32 v84, v84, v84
	v_max_f32_e32 v77, v77, v84
	ds_bpermute_b32 v84, v79, v77
	;; [unrolled: 4-line block ×4, first 2 shown]
	s_and_saveexec_b64 s[50:51], s[16:17]
	s_xor_b64 s[16:17], exec, s[50:51]
	s_cbranch_execnz .LBB70_26
; %bb.23:                               ;   in Loop: Header=BB70_8 Depth=1
	s_andn2_saveexec_b64 s[16:17], s[16:17]
	s_cbranch_execnz .LBB70_27
.LBB70_24:                              ;   in Loop: Header=BB70_8 Depth=1
	s_or_b64 exec, exec, s[16:17]
	s_and_b64 vcc, exec, s[8:9]
	s_cbranch_vccnz .LBB70_28
.LBB70_25:                              ;   in Loop: Header=BB70_8 Depth=1
	v_add_u32_e32 v88, v6, v61
	v_ashrrev_i32_e32 v89, 31, v88
	v_lshlrev_b64 v[88:89], 1, v[88:89]
	v_mov_b32_e32 v85, s45
	v_add_co_u32_e32 v88, vcc, s44, v88
	v_addc_co_u32_e32 v89, vcc, v85, v89, vcc
	flat_load_ushort v85, v[88:89]
	s_waitcnt vmcnt(0) lgkmcnt(0)
	v_cvt_f32_f16_e32 v85, v85
	v_mul_f32_e32 v85, v38, v85
	s_branch .LBB70_29
.LBB70_26:                              ;   in Loop: Header=BB70_8 Depth=1
	v_add_f32_e64 v85, |v76|, |v76|
	v_mul_f32_e32 v86, 0x3fb8aa3b, v85
	v_rndne_f32_e32 v87, v86
	v_sub_f32_e32 v88, v86, v87
	v_fma_f32 v86, v85, s43, -v86
	v_fmac_f32_e32 v86, 0x32a5705f, v85
	v_add_f32_e32 v86, v88, v86
	v_cvt_i32_f32_e32 v87, v87
	v_exp_f32_e32 v86, v86
	v_cmp_ngt_f32_e32 vcc, s47, v85
	v_ldexp_f32 v86, v86, v87
	v_cndmask_b32_e32 v86, 0, v86, vcc
	v_cmp_nlt_f32_e32 vcc, s48, v85
	v_cndmask_b32_e32 v85, v21, v86, vcc
	v_add_f32_e32 v85, 1.0, v85
	v_rcp_f32_e32 v85, v85
	v_fma_f32 v86, v85, -2.0, 1.0
	s_andn2_saveexec_b64 s[16:17], s[16:17]
	s_cbranch_execz .LBB70_24
.LBB70_27:                              ;   in Loop: Header=BB70_8 Depth=1
	v_mul_f32_e32 v85, v76, v76
	v_mov_b32_e32 v86, 0x3ca908c9
	v_fmac_f32_e32 v86, 0xbbbac73d, v85
	v_fma_f32 v86, v85, v86, v67
	v_fma_f32 v86, v85, v86, v68
	v_fma_f32 v86, v85, v86, v69
	v_mul_f32_e64 v86, |v76|, v86
	v_fma_f32 v86, v85, v86, |v76|
	s_or_b64 exec, exec, s[16:17]
	s_and_b64 vcc, exec, s[8:9]
	s_cbranch_vccz .LBB70_25
.LBB70_28:                              ;   in Loop: Header=BB70_8 Depth=1
	v_mov_b32_e32 v85, 0
.LBB70_29:                              ;   in Loop: Header=BB70_8 Depth=1
	v_bfi_b32 v76, s49, v86, v76
	v_fmac_f32_e32 v85, s23, v76
	v_add_f32_e32 v76, 0x40051340, v85
	v_max_f32_e32 v86, v73, v73
	v_max_f32_e32 v76, v86, v76
	ds_bpermute_b32 v86, v7, v76
	v_cmp_nlt_f32_e64 s[16:17], |v75|, s42
                                        ; implicit-def: $vgpr88
	s_waitcnt lgkmcnt(0)
	v_max_f32_e32 v86, v86, v86
	v_max_f32_e32 v76, v76, v86
	ds_bpermute_b32 v86, v81, v76
	s_waitcnt lgkmcnt(0)
	v_max_f32_e32 v86, v86, v86
	v_max_f32_e32 v76, v76, v86
	ds_bpermute_b32 v86, v79, v76
	;; [unrolled: 4-line block ×4, first 2 shown]
	s_and_saveexec_b64 s[50:51], s[16:17]
	s_xor_b64 s[16:17], exec, s[50:51]
	s_cbranch_execnz .LBB70_33
; %bb.30:                               ;   in Loop: Header=BB70_8 Depth=1
	s_andn2_saveexec_b64 s[16:17], s[16:17]
	s_cbranch_execnz .LBB70_34
.LBB70_31:                              ;   in Loop: Header=BB70_8 Depth=1
	s_or_b64 exec, exec, s[16:17]
	s_and_b64 vcc, exec, s[8:9]
	s_cbranch_vccnz .LBB70_35
.LBB70_32:                              ;   in Loop: Header=BB70_8 Depth=1
	v_add_u32_e32 v90, v6, v62
	v_ashrrev_i32_e32 v91, 31, v90
	v_lshlrev_b64 v[90:91], 1, v[90:91]
	v_mov_b32_e32 v6, s45
	v_add_co_u32_e32 v90, vcc, s44, v90
	v_addc_co_u32_e32 v91, vcc, v6, v91, vcc
	flat_load_ushort v6, v[90:91]
	s_waitcnt vmcnt(0) lgkmcnt(0)
	v_cvt_f32_f16_e32 v6, v6
	v_mul_f32_e32 v87, v38, v6
	s_branch .LBB70_36
.LBB70_33:                              ;   in Loop: Header=BB70_8 Depth=1
	v_add_f32_e64 v87, |v75|, |v75|
	v_mul_f32_e32 v88, 0x3fb8aa3b, v87
	v_rndne_f32_e32 v89, v88
	v_sub_f32_e32 v90, v88, v89
	v_fma_f32 v88, v87, s43, -v88
	v_fmac_f32_e32 v88, 0x32a5705f, v87
	v_add_f32_e32 v88, v90, v88
	v_cvt_i32_f32_e32 v89, v89
	v_exp_f32_e32 v88, v88
	v_cmp_ngt_f32_e32 vcc, s47, v87
	v_ldexp_f32 v88, v88, v89
	v_cndmask_b32_e32 v88, 0, v88, vcc
	v_cmp_nlt_f32_e32 vcc, s48, v87
	v_cndmask_b32_e32 v87, v21, v88, vcc
	v_add_f32_e32 v87, 1.0, v87
	v_rcp_f32_e32 v87, v87
	v_fma_f32 v88, v87, -2.0, 1.0
	s_andn2_saveexec_b64 s[16:17], s[16:17]
	s_cbranch_execz .LBB70_31
.LBB70_34:                              ;   in Loop: Header=BB70_8 Depth=1
	v_mul_f32_e32 v87, v75, v75
	v_mov_b32_e32 v88, 0x3ca908c9
	v_fmac_f32_e32 v88, 0xbbbac73d, v87
	v_fma_f32 v88, v87, v88, v67
	v_fma_f32 v88, v87, v88, v68
	;; [unrolled: 1-line block ×3, first 2 shown]
	v_mul_f32_e64 v88, |v75|, v88
	v_fma_f32 v88, v87, v88, |v75|
	s_or_b64 exec, exec, s[16:17]
	s_and_b64 vcc, exec, s[8:9]
	s_cbranch_vccz .LBB70_32
.LBB70_35:                              ;   in Loop: Header=BB70_8 Depth=1
	v_mov_b32_e32 v87, 0
.LBB70_36:                              ;   in Loop: Header=BB70_8 Depth=1
	v_bfi_b32 v6, s49, v88, v75
	v_fmac_f32_e32 v87, s23, v6
	v_add_f32_e32 v6, 0x40051340, v87
	v_max_f32_e32 v75, v74, v74
	v_max_f32_e32 v6, v75, v6
	ds_bpermute_b32 v7, v7, v6
	s_waitcnt lgkmcnt(1)
	v_max_f32_e32 v75, v86, v86
	v_max_f32_e32 v76, v76, v76
	;; [unrolled: 1-line block ×3, first 2 shown]
	s_mul_hi_i32 s9, s20, s10
	s_waitcnt lgkmcnt(0)
	v_max_f32_e32 v7, v7, v7
	v_max_f32_e32 v6, v6, v7
	ds_bpermute_b32 v7, v81, v6
	v_max_f32_e32 v81, v82, v82
	s_mul_i32 s8, s20, s10
	s_lshl_b64 s[8:9], s[8:9], 2
	s_add_u32 s8, s18, s8
	s_waitcnt lgkmcnt(0)
	v_max_f32_e32 v7, v7, v7
	v_max_f32_e32 v6, v6, v7
	ds_bpermute_b32 v7, v79, v6
	v_max_f32_e32 v79, v84, v84
	s_addc_u32 s9, s19, s9
	s_waitcnt lgkmcnt(0)
	s_barrier
	v_max_f32_e32 v7, v7, v7
	v_max_f32_e32 v82, v6, v7
	ds_bpermute_b32 v84, v8, v82
	v_max_f32_e32 v8, v76, v75
	v_max_f32_e32 v6, v80, v80
	;; [unrolled: 1-line block ×4, first 2 shown]
	s_waitcnt lgkmcnt(0)
	v_max_f32_e32 v75, v84, v84
	v_max_f32_e32 v75, v82, v75
	ds_bpermute_b32 v76, v78, v75
	v_sub_f32_e32 v79, v9, v6
	v_mul_f32_e32 v80, 0x3fb8aa3b, v79
	v_sub_f32_e32 v78, v83, v7
	v_rndne_f32_e32 v83, v80
	s_waitcnt lgkmcnt(0)
	v_max_f32_e32 v9, v76, v76
	v_max_f32_e32 v9, v75, v9
	v_sub_f32_e32 v75, v87, v9
	v_mul_f32_e32 v76, 0x3fb8aa3b, v75
	v_fma_f32 v81, v75, s43, -v76
	v_rndne_f32_e32 v82, v76
	v_fmac_f32_e32 v81, 0x32a5705f, v75
	v_sub_f32_e32 v76, v76, v82
	v_add_f32_e32 v76, v76, v81
	v_cvt_i32_f32_e32 v82, v82
	v_exp_f32_e32 v76, v76
	v_fma_f32 v81, v79, s43, -v80
	v_fmac_f32_e32 v81, 0x32a5705f, v79
	v_sub_f32_e32 v80, v80, v83
	v_add_f32_e32 v80, v80, v81
	v_ldexp_f32 v76, v76, v82
	v_exp_f32_e32 v80, v80
	v_cvt_i32_f32_e32 v82, v83
	v_cmp_ngt_f32_e32 vcc, s47, v75
	v_cndmask_b32_e32 v76, 0, v76, vcc
	v_cmp_nlt_f32_e32 vcc, s48, v75
	v_cndmask_b32_e32 v81, v21, v76, vcc
	v_mul_f32_e32 v76, 0x3fb8aa3b, v78
	v_ldexp_f32 v75, v80, v82
	v_fma_f32 v80, v78, s43, -v76
	v_rndne_f32_e32 v82, v76
	v_fmac_f32_e32 v80, 0x32a5705f, v78
	v_sub_f32_e32 v76, v76, v82
	v_add_f32_e32 v76, v76, v80
	v_exp_f32_e32 v76, v76
	v_cvt_i32_f32_e32 v80, v82
	v_cmp_ngt_f32_e32 vcc, s47, v79
	v_sub_f32_e32 v77, v85, v8
	v_cndmask_b32_e32 v75, 0, v75, vcc
	v_cmp_nlt_f32_e32 vcc, s48, v79
	v_cndmask_b32_e32 v82, v21, v75, vcc
	v_ldexp_f32 v75, v76, v80
	v_mul_f32_e32 v76, 0x3fb8aa3b, v77
	v_fma_f32 v79, v77, s43, -v76
	v_rndne_f32_e32 v80, v76
	v_fmac_f32_e32 v79, 0x32a5705f, v77
	v_sub_f32_e32 v76, v76, v80
	v_add_f32_e32 v76, v76, v79
	v_exp_f32_e32 v76, v76
	v_cvt_i32_f32_e32 v79, v80
	v_cmp_ngt_f32_e32 vcc, s47, v78
	v_cndmask_b32_e32 v75, 0, v75, vcc
	v_cmp_nlt_f32_e32 vcc, s48, v78
	v_cndmask_b32_e32 v83, v21, v75, vcc
	v_ldexp_f32 v75, v76, v79
	v_cmp_ngt_f32_e32 vcc, s47, v77
	v_cndmask_b32_e32 v75, 0, v75, vcc
	v_cmp_nlt_f32_e32 vcc, s48, v77
	v_cndmask_b32_e32 v80, v21, v75, vcc
	v_sub_f32_e32 v89, v73, v8
	v_sub_f32_e32 v90, v72, v7
	v_mov_b32_e32 v72, s9
	v_add_co_u32_e32 v73, vcc, s8, v16
	v_addc_co_u32_e32 v72, vcc, v72, v17, vcc
	v_add_co_u32_e32 v84, vcc, v73, v35
	v_addc_co_u32_e32 v85, vcc, 0, v72, vcc
	v_mov_b32_e32 v72, s9
	v_add_co_u32_e32 v73, vcc, s8, v18
	v_addc_co_u32_e32 v72, vcc, v72, v19, vcc
	v_add_co_u32_e32 v86, vcc, v73, v35
	v_sub_f32_e32 v88, v74, v9
	v_addc_co_u32_e32 v87, vcc, 0, v72, vcc
	global_load_dwordx4 v[72:75], v[84:85], off
	global_load_dwordx4 v[76:79], v[86:87], off
	v_mul_f32_e32 v84, 0x3fb8aa3b, v90
	v_fma_f32 v85, v90, s43, -v84
	v_rndne_f32_e32 v86, v84
	v_sub_f32_e32 v71, v71, v6
	v_fmac_f32_e32 v85, 0x32a5705f, v90
	v_sub_f32_e32 v84, v84, v86
	v_add_f32_e32 v84, v84, v85
	v_cvt_i32_f32_e32 v85, v86
	v_mul_f32_e32 v86, 0x3fb8aa3b, v71
	v_fma_f32 v87, v71, s43, -v86
	v_rndne_f32_e32 v91, v86
	v_fmac_f32_e32 v87, 0x32a5705f, v71
	v_sub_f32_e32 v86, v86, v91
	v_exp_f32_e32 v84, v84
	v_add_f32_e32 v86, v86, v87
	v_exp_f32_e32 v86, v86
	v_cvt_i32_f32_e32 v87, v91
	v_ldexp_f32 v84, v84, v85
	v_cmp_ngt_f32_e32 vcc, s47, v90
	v_cndmask_b32_e32 v85, 0, v84, vcc
	v_ldexp_f32 v84, v86, v87
	v_cmp_ngt_f32_e32 vcc, s47, v71
	v_cndmask_b32_e32 v84, 0, v84, vcc
	v_cmp_nlt_f32_e32 vcc, s48, v71
	v_mul_f32_e32 v86, 0x3fb8aa3b, v88
	v_cndmask_b32_e32 v84, v21, v84, vcc
	v_cmp_nlt_f32_e32 vcc, s48, v90
	v_fma_f32 v87, v88, s43, -v86
	v_rndne_f32_e32 v90, v86
	v_cndmask_b32_e32 v85, v21, v85, vcc
	v_fmac_f32_e32 v87, 0x32a5705f, v88
	v_sub_f32_e32 v86, v86, v90
	v_cvt_f16_f32_e32 v71, v84
	v_cvt_f16_f32_e32 v92, v85
	v_add_f32_e32 v86, v86, v87
	v_cvt_i32_f32_e32 v87, v90
	v_mul_f32_e32 v90, 0x3fb8aa3b, v89
	v_fma_f32 v91, v89, s43, -v90
	v_rndne_f32_e32 v97, v90
	v_fmac_f32_e32 v91, 0x32a5705f, v89
	v_sub_f32_e32 v90, v90, v97
	v_add_f32_e32 v90, v90, v91
	v_pk_mul_f16 v93, v71, v53 op_sel_hi:[0,1]
	v_pk_mul_f16 v94, v71, v52 op_sel_hi:[0,1]
	;; [unrolled: 1-line block ×4, first 2 shown]
	v_cvt_f16_f32_e32 v48, v81
	v_cvt_f16_f32_e32 v49, v80
	;; [unrolled: 1-line block ×4, first 2 shown]
	v_exp_f32_e32 v90, v90
	v_cvt_i32_f32_e32 v91, v97
	v_exp_f32_e32 v86, v86
	v_pack_b32_f16 v49, v49, v48
	v_pack_b32_f16 v48, v53, v52
	v_ldexp_f32 v52, v90, v91
	v_cmp_ngt_f32_e32 vcc, s47, v89
	v_cndmask_b32_e32 v52, 0, v52, vcc
	v_cmp_nlt_f32_e32 vcc, s48, v89
	v_ldexp_f32 v53, v86, v87
	v_cndmask_b32_e32 v52, v21, v52, vcc
	v_cmp_ngt_f32_e32 vcc, s47, v88
	v_cndmask_b32_e32 v53, 0, v53, vcc
	v_cmp_nlt_f32_e32 vcc, s48, v88
	v_cndmask_b32_e32 v53, v21, v53, vcc
	v_cvt_f16_f32_e32 v97, v52
	v_cvt_f16_f32_e32 v86, v53
	v_pk_mul_f16 v51, v71, v51 op_sel_hi:[0,1]
	v_pk_fma_f32 v[4:5], v[4:5], v[52:53], v[80:81]
	v_pk_mul_f16 v98, v97, v44 op_sel_hi:[0,1]
	v_pk_mul_f16 v44, v86, v40 op_sel_hi:[0,1]
	v_add_u32_e32 v40, v63, v36
	ds_write_b64 v40, v[48:49]
	s_waitcnt vmcnt(1)
	ds_write_b128 v64, v[72:75]
	s_waitcnt vmcnt(0)
	ds_write_b128 v65, v[76:79]
	v_add_u32_e32 v40, 0x4000, v36
	s_waitcnt lgkmcnt(0)
	s_barrier
	ds_read2_b64 v[72:75], v40 offset1:32
	ds_read_b128 v[76:79], v63
	v_pk_mul_f16 v45, v97, v45 op_sel_hi:[0,1]
	v_pk_mul_f16 v43, v97, v43 op_sel_hi:[0,1]
	v_pk_fma_f32 v[2:3], v[2:3], v[84:85], v[82:83]
	v_pk_mul_f16 v41, v86, v41 op_sel_hi:[0,1]
	s_waitcnt lgkmcnt(0)
	v_pk_mul_f16 v49, v72, v76 op_sel:[0,1]
	v_pk_mul_f16 v48, v72, v76 op_sel_hi:[1,0]
	v_pk_fma_f16 v46, v92, v46, v49 op_sel_hi:[0,1,1]
	v_pk_mul_f16 v49, v72, v77 op_sel_hi:[1,0]
	v_pk_mul_f16 v39, v86, v39 op_sel_hi:[0,1]
	;; [unrolled: 1-line block ×3, first 2 shown]
	ds_read_b128 v[80:83], v63 offset:16
	ds_read_b128 v[84:87], v63 offset:32
	;; [unrolled: 1-line block ×3, first 2 shown]
	v_pk_fma_f16 v48, v71, v50, v48 op_sel_hi:[0,1,1]
	v_pk_fma_f16 v49, v97, v42, v49 op_sel_hi:[0,1,1]
	;; [unrolled: 1-line block ×3, first 2 shown]
	v_pk_fma_f16 v52, v73, v76, v95 op_sel:[0,1,0]
	v_pk_fma_f16 v53, v73, v77, v45 op_sel_hi:[1,0,1]
	v_pk_fma_f16 v71, v73, v77, v44 op_sel:[0,1,0]
	v_pk_fma_f16 v73, v74, v77, v43 op_sel_hi:[1,0,1]
	ds_read2_b64 v[42:45], v40 offset0:64 offset1:96
	v_pk_mul_f16 v47, v92, v47 op_sel_hi:[0,1]
	v_pk_fma_f16 v41, v72, v77, v41 op_sel:[0,1,0]
	v_pk_fma_f16 v51, v74, v76, v51 op_sel_hi:[1,0,1]
	v_pk_fma_f16 v72, v74, v76, v96 op_sel:[0,1,0]
	v_pk_fma_f16 v39, v74, v77, v39 op_sel:[0,1,0]
	v_pk_fma_f16 v74, v75, v76, v94 op_sel_hi:[1,0,1]
	v_pk_fma_f16 v76, v75, v76, v47 op_sel:[0,1,0]
	v_pk_fma_f16 v92, v75, v77, v98 op_sel_hi:[1,0,1]
	v_pk_fma_f16 v37, v75, v77, v37 op_sel:[0,1,0]
	s_waitcnt lgkmcnt(0)
	v_pk_fma_f16 v75, v42, v78, v48 op_sel_hi:[1,0,1]
	v_pk_fma_f16 v77, v42, v78, v46 op_sel:[0,1,0]
	v_pk_fma_f16 v93, v42, v79, v49 op_sel_hi:[1,0,1]
	ds_read2_b64 v[46:49], v40 offset0:128 offset1:160
	v_pk_fma_f16 v41, v42, v79, v41 op_sel:[0,1,0]
	v_pk_fma_f16 v42, v43, v78, v50 op_sel_hi:[1,0,1]
	v_pk_fma_f16 v50, v43, v78, v52 op_sel:[0,1,0]
	v_pk_fma_f16 v52, v43, v79, v53 op_sel_hi:[1,0,1]
	;; [unrolled: 2-line block ×6, first 2 shown]
	v_pk_fma_f16 v37, v45, v79, v37 op_sel:[0,1,0]
	s_waitcnt lgkmcnt(0)
	v_pk_fma_f16 v75, v46, v80, v75 op_sel_hi:[1,0,1]
	v_pk_fma_f16 v76, v46, v80, v77 op_sel:[0,1,0]
	v_pk_fma_f16 v77, v46, v81, v93 op_sel_hi:[1,0,1]
	v_pk_fma_f16 v41, v46, v81, v41 op_sel:[0,1,0]
	;; [unrolled: 2-line block ×4, first 2 shown]
	ds_read2_b64 v[42:45], v40 offset0:192 offset1:224
	v_pk_fma_f16 v51, v48, v80, v51 op_sel_hi:[1,0,1]
	v_pk_fma_f16 v53, v48, v80, v53 op_sel:[0,1,0]
	v_pk_fma_f16 v71, v48, v81, v71 op_sel_hi:[1,0,1]
	v_pk_fma_f16 v39, v48, v81, v39 op_sel:[0,1,0]
	s_waitcnt lgkmcnt(0)
	v_pk_fma_f16 v75, v42, v82, v75 op_sel_hi:[1,0,1]
	v_pk_fma_f16 v76, v42, v82, v76 op_sel:[0,1,0]
	v_pk_fma_f16 v77, v42, v83, v77 op_sel_hi:[1,0,1]
	v_pk_fma_f16 v42, v42, v83, v41 op_sel:[0,1,0]
	v_add_u32_e32 v41, 0x4800, v36
	v_pk_fma_f16 v72, v49, v80, v72 op_sel_hi:[1,0,1]
	v_pk_fma_f16 v73, v49, v80, v73 op_sel:[0,1,0]
	v_pk_fma_f16 v74, v49, v81, v74 op_sel_hi:[1,0,1]
	v_pk_fma_f16 v37, v49, v81, v37 op_sel:[0,1,0]
	v_pk_fma_f16 v78, v43, v82, v46 op_sel_hi:[1,0,1]
	v_pk_fma_f16 v50, v43, v82, v50 op_sel:[0,1,0]
	v_pk_fma_f16 v52, v43, v83, v52 op_sel_hi:[1,0,1]
	v_pk_fma_f16 v43, v43, v83, v47 op_sel:[0,1,0]
	ds_read2_b64 v[46:49], v41 offset1:32
	v_pk_fma_f16 v51, v44, v82, v51 op_sel_hi:[1,0,1]
	v_pk_fma_f16 v53, v44, v82, v53 op_sel:[0,1,0]
	v_pk_fma_f16 v71, v44, v83, v71 op_sel_hi:[1,0,1]
	v_pk_fma_f16 v39, v44, v83, v39 op_sel:[0,1,0]
	v_pk_fma_f16 v72, v45, v82, v72 op_sel_hi:[1,0,1]
	v_pk_fma_f16 v73, v45, v82, v73 op_sel:[0,1,0]
	v_pk_fma_f16 v74, v45, v83, v74 op_sel_hi:[1,0,1]
	v_pk_fma_f16 v37, v45, v83, v37 op_sel:[0,1,0]
	s_waitcnt lgkmcnt(0)
	v_pk_fma_f16 v75, v46, v84, v75 op_sel_hi:[1,0,1]
	v_pk_fma_f16 v76, v46, v84, v76 op_sel:[0,1,0]
	v_pk_fma_f16 v77, v46, v85, v77 op_sel_hi:[1,0,1]
	v_pk_fma_f16 v46, v46, v85, v42 op_sel:[0,1,0]
	v_pk_fma_f16 v78, v47, v84, v78 op_sel_hi:[1,0,1]
	v_pk_fma_f16 v50, v47, v84, v50 op_sel:[0,1,0]
	v_pk_fma_f16 v52, v47, v85, v52 op_sel_hi:[1,0,1]
	v_pk_fma_f16 v47, v47, v85, v43 op_sel:[0,1,0]
	ds_read2_b64 v[42:45], v41 offset0:64 offset1:96
	v_pk_fma_f16 v51, v48, v84, v51 op_sel_hi:[1,0,1]
	v_pk_fma_f16 v53, v48, v84, v53 op_sel:[0,1,0]
	v_pk_fma_f16 v71, v48, v85, v71 op_sel_hi:[1,0,1]
	v_pk_fma_f16 v39, v48, v85, v39 op_sel:[0,1,0]
	v_pk_fma_f16 v72, v49, v84, v72 op_sel_hi:[1,0,1]
	v_pk_fma_f16 v73, v49, v84, v73 op_sel:[0,1,0]
	v_pk_fma_f16 v74, v49, v85, v74 op_sel_hi:[1,0,1]
	v_pk_fma_f16 v37, v49, v85, v37 op_sel:[0,1,0]
	s_waitcnt lgkmcnt(0)
	v_pk_fma_f16 v75, v42, v86, v75 op_sel_hi:[1,0,1]
	v_pk_fma_f16 v76, v42, v86, v76 op_sel:[0,1,0]
	v_pk_fma_f16 v77, v42, v87, v77 op_sel_hi:[1,0,1]
	v_pk_fma_f16 v42, v42, v87, v46 op_sel:[0,1,0]
	v_pk_fma_f16 v78, v43, v86, v78 op_sel_hi:[1,0,1]
	v_pk_fma_f16 v50, v43, v86, v50 op_sel:[0,1,0]
	v_pk_fma_f16 v52, v43, v87, v52 op_sel_hi:[1,0,1]
	v_pk_fma_f16 v43, v43, v87, v47 op_sel:[0,1,0]
	ds_read2_b64 v[46:49], v41 offset0:128 offset1:160
	;; [unrolled: 18-line block ×3, first 2 shown]
	v_pk_fma_f16 v51, v48, v88, v51 op_sel_hi:[1,0,1]
	v_pk_fma_f16 v53, v48, v88, v53 op_sel:[0,1,0]
	v_pk_fma_f16 v71, v48, v89, v71 op_sel_hi:[1,0,1]
	v_pk_fma_f16 v39, v48, v89, v39 op_sel:[0,1,0]
	;; [unrolled: 2-line block ×4, first 2 shown]
	v_add_u32_e32 v37, 0x5000, v36
	s_waitcnt lgkmcnt(0)
	v_pk_fma_f16 v79, v42, v91, v46 op_sel:[0,1,0]
	v_pk_fma_f16 v80, v43, v90, v50 op_sel:[0,1,0]
	v_pk_fma_f16 v81, v43, v91, v52 op_sel_hi:[1,0,1]
	v_pk_fma_f16 v82, v43, v91, v47 op_sel:[0,1,0]
	v_pk_fma_f16 v83, v44, v90, v51 op_sel_hi:[1,0,1]
	;; [unrolled: 2-line block ×3, first 2 shown]
	ds_read2_b64 v[46:49], v37 offset1:32
	ds_read_b128 v[50:53], v63 offset:64
	v_pk_fma_f16 v75, v42, v90, v75 op_sel_hi:[1,0,1]
	v_pk_fma_f16 v86, v45, v90, v72 op_sel:[0,1,0]
	v_pk_fma_f16 v87, v45, v91, v73 op_sel_hi:[1,0,1]
	v_pk_fma_f16 v88, v45, v91, v74 op_sel:[0,1,0]
	s_waitcnt lgkmcnt(0)
	v_pk_fma_f16 v89, v46, v50, v75 op_sel_hi:[1,0,1]
	ds_read2_b64 v[72:75], v37 offset0:64 offset1:96
	v_pk_fma_f16 v76, v42, v90, v76 op_sel:[0,1,0]
	v_pk_fma_f16 v77, v42, v91, v77 op_sel_hi:[1,0,1]
	v_pk_fma_f16 v78, v43, v90, v78 op_sel_hi:[1,0,1]
	v_pk_fma_f16 v71, v44, v91, v71 op_sel_hi:[1,0,1]
	v_pk_fma_f16 v39, v44, v91, v39 op_sel:[0,1,0]
	v_pk_fma_f16 v76, v46, v50, v76 op_sel:[0,1,0]
	v_pk_fma_f16 v77, v46, v51, v77 op_sel_hi:[1,0,1]
	v_pk_fma_f16 v46, v46, v51, v79 op_sel:[0,1,0]
	v_pk_fma_f16 v78, v47, v50, v78 op_sel_hi:[1,0,1]
	;; [unrolled: 2-line block ×3, first 2 shown]
	v_pk_fma_f16 v47, v47, v51, v82 op_sel:[0,1,0]
	ds_read_b128 v[42:45], v63 offset:80
	v_pk_fma_f16 v81, v48, v50, v83 op_sel_hi:[1,0,1]
	v_pk_fma_f16 v82, v48, v50, v84 op_sel:[0,1,0]
	v_pk_fma_f16 v71, v48, v51, v71 op_sel_hi:[1,0,1]
	v_pk_fma_f16 v39, v48, v51, v39 op_sel:[0,1,0]
	;; [unrolled: 2-line block ×4, first 2 shown]
	s_waitcnt lgkmcnt(1)
	v_pk_fma_f16 v85, v72, v52, v89 op_sel_hi:[1,0,1]
	v_pk_fma_f16 v76, v72, v52, v76 op_sel:[0,1,0]
	v_pk_fma_f16 v77, v72, v53, v77 op_sel_hi:[1,0,1]
	v_pk_fma_f16 v72, v72, v53, v46 op_sel:[0,1,0]
	;; [unrolled: 2-line block ×4, first 2 shown]
	ds_read2_b64 v[46:49], v37 offset0:128 offset1:160
	s_or_b32 s8, s20, 16
	s_mul_hi_i32 s9, s8, s10
	s_mul_i32 s8, s8, s10
	s_lshl_b64 s[8:9], s[8:9], 2
	s_add_u32 s8, s18, s8
	v_pk_fma_f16 v81, v74, v52, v81 op_sel_hi:[1,0,1]
	v_pk_fma_f16 v82, v74, v52, v82 op_sel:[0,1,0]
	v_pk_fma_f16 v71, v74, v53, v71 op_sel_hi:[1,0,1]
	v_pk_fma_f16 v39, v74, v53, v39 op_sel:[0,1,0]
	;; [unrolled: 2-line block ×4, first 2 shown]
	s_addc_u32 s9, s19, s9
	s_waitcnt lgkmcnt(0)
	v_pk_fma_f16 v85, v46, v42, v85 op_sel_hi:[1,0,1]
	v_pk_fma_f16 v102, v46, v42, v76 op_sel:[0,1,0]
	v_pk_fma_f16 v103, v46, v43, v77 op_sel_hi:[1,0,1]
	v_pk_fma_f16 v104, v46, v43, v72 op_sel:[0,1,0]
	;; [unrolled: 2-line block ×8, first 2 shown]
	v_mov_b32_e32 v42, s9
	v_add_co_u32_e32 v43, vcc, s8, v16
	v_addc_co_u32_e32 v92, vcc, v42, v17, vcc
	ds_read2_b64 v[50:53], v37 offset0:192 offset1:224
	v_add_co_u32_e32 v42, vcc, v43, v35
	v_addc_co_u32_e32 v43, vcc, 0, v92, vcc
	v_mov_b32_e32 v92, s9
	v_add_co_u32_e32 v93, vcc, s8, v18
	v_addc_co_u32_e32 v92, vcc, v92, v19, vcc
	v_add_u32_e32 v39, 0x5800, v36
	v_add_co_u32_e32 v100, vcc, v93, v35
	s_waitcnt lgkmcnt(0)
	v_pk_fma_f16 v116, v50, v44, v85 op_sel_hi:[1,0,1]
	ds_read2_b64 v[46:49], v39 offset1:32
	ds_read2_b64 v[72:75], v39 offset0:64 offset1:96
	ds_read2_b64 v[76:79], v39 offset0:128 offset1:160
	ds_read_b128 v[80:83], v63 offset:96
	ds_read_b128 v[84:87], v63 offset:112
	ds_read2_b64 v[88:91], v39 offset0:192 offset1:224
	s_waitcnt lgkmcnt(0)
	s_barrier
	v_addc_co_u32_e32 v101, vcc, 0, v92, vcc
	global_load_dwordx4 v[92:95], v[42:43], off
	global_load_dwordx4 v[96:99], v[100:101], off
	v_pk_fma_f16 v42, v50, v44, v102 op_sel:[0,1,0]
	v_pk_fma_f16 v43, v50, v45, v103 op_sel_hi:[1,0,1]
	v_pk_fma_f16 v50, v50, v45, v104 op_sel:[0,1,0]
	v_pk_fma_f16 v100, v51, v44, v105 op_sel_hi:[1,0,1]
	;; [unrolled: 2-line block ×38, first 2 shown]
	v_pk_fma_f16 v86, v91, v86, v44 op_sel:[0,1,0]
	s_waitcnt vmcnt(1)
	ds_write_b128 v64, v[92:95]
	s_waitcnt vmcnt(0)
	ds_write_b128 v65, v[96:99]
	s_waitcnt lgkmcnt(0)
	s_barrier
	ds_read2_b64 v[42:45], v40 offset1:32
	ds_read_b128 v[46:49], v63 offset:128
	v_pk_fma_f16 v103, v91, v87, v74 op_sel_hi:[1,0,1]
	v_pk_fma_f16 v87, v91, v87, v75 op_sel:[0,1,0]
	ds_read_b128 v[50:53], v63 offset:144
	ds_read_b128 v[72:75], v63 offset:160
	;; [unrolled: 1-line block ×3, first 2 shown]
	s_waitcnt lgkmcnt(3)
	v_pk_fma_f16 v91, v42, v46, v80 op_sel_hi:[1,0,1]
	v_pk_fma_f16 v92, v42, v46, v81 op_sel:[0,1,0]
	v_pk_fma_f16 v93, v42, v47, v82 op_sel_hi:[1,0,1]
	v_pk_fma_f16 v42, v42, v47, v83 op_sel:[0,1,0]
	ds_read2_b64 v[80:83], v40 offset0:64 offset1:96
	v_pk_fma_f16 v84, v43, v46, v84 op_sel_hi:[1,0,1]
	v_pk_fma_f16 v85, v43, v46, v85 op_sel:[0,1,0]
	v_pk_fma_f16 v88, v43, v47, v88 op_sel_hi:[1,0,1]
	v_pk_fma_f16 v43, v43, v47, v89 op_sel:[0,1,0]
	;; [unrolled: 2-line block ×6, first 2 shown]
	s_waitcnt lgkmcnt(0)
	v_pk_fma_f16 v87, v80, v48, v91 op_sel_hi:[1,0,1]
	v_pk_fma_f16 v91, v80, v48, v92 op_sel:[0,1,0]
	v_pk_fma_f16 v92, v80, v49, v93 op_sel_hi:[1,0,1]
	v_pk_fma_f16 v80, v80, v49, v42 op_sel:[0,1,0]
	;; [unrolled: 2-line block ×6, first 2 shown]
	ds_read2_b64 v[42:45], v40 offset0:128 offset1:160
	v_pk_fma_f16 v90, v83, v48, v90 op_sel_hi:[1,0,1]
	v_pk_fma_f16 v94, v83, v48, v46 op_sel:[0,1,0]
	v_pk_fma_f16 v86, v83, v49, v86 op_sel_hi:[1,0,1]
	v_pk_fma_f16 v83, v83, v49, v47 op_sel:[0,1,0]
	ds_read2_b64 v[46:49], v40 offset0:192 offset1:224
	s_waitcnt lgkmcnt(1)
	v_pk_fma_f16 v87, v42, v50, v87 op_sel_hi:[1,0,1]
	v_pk_fma_f16 v91, v42, v50, v91 op_sel:[0,1,0]
	v_pk_fma_f16 v92, v42, v51, v92 op_sel_hi:[1,0,1]
	v_pk_fma_f16 v42, v42, v51, v80 op_sel:[0,1,0]
	;; [unrolled: 2-line block ×8, first 2 shown]
	s_waitcnt lgkmcnt(0)
	v_pk_fma_f16 v83, v46, v52, v87 op_sel_hi:[1,0,1]
	v_pk_fma_f16 v86, v46, v52, v91 op_sel:[0,1,0]
	v_pk_fma_f16 v87, v46, v53, v92 op_sel_hi:[1,0,1]
	v_pk_fma_f16 v46, v46, v53, v42 op_sel:[0,1,0]
	;; [unrolled: 2-line block ×6, first 2 shown]
	ds_read2_b64 v[42:45], v41 offset1:32
	v_pk_fma_f16 v40, v49, v52, v40 op_sel_hi:[1,0,1]
	v_pk_fma_f16 v50, v49, v52, v50 op_sel:[0,1,0]
	v_pk_fma_f16 v52, v49, v53, v82 op_sel_hi:[1,0,1]
	v_pk_fma_f16 v51, v49, v53, v51 op_sel:[0,1,0]
	s_waitcnt lgkmcnt(0)
	v_pk_fma_f16 v53, v42, v72, v83 op_sel_hi:[1,0,1]
	v_pk_fma_f16 v82, v42, v72, v86 op_sel:[0,1,0]
	v_pk_fma_f16 v83, v42, v73, v87 op_sel_hi:[1,0,1]
	v_pk_fma_f16 v42, v42, v73, v46 op_sel:[0,1,0]
	;; [unrolled: 2-line block ×6, first 2 shown]
	ds_read2_b64 v[46:49], v41 offset0:64 offset1:96
	v_pk_fma_f16 v40, v45, v72, v40 op_sel_hi:[1,0,1]
	v_pk_fma_f16 v50, v45, v72, v50 op_sel:[0,1,0]
	v_pk_fma_f16 v52, v45, v73, v52 op_sel_hi:[1,0,1]
	v_pk_fma_f16 v51, v45, v73, v51 op_sel:[0,1,0]
	s_waitcnt lgkmcnt(0)
	v_pk_fma_f16 v53, v46, v74, v53 op_sel_hi:[1,0,1]
	v_pk_fma_f16 v72, v46, v74, v82 op_sel:[0,1,0]
	v_pk_fma_f16 v73, v46, v75, v83 op_sel_hi:[1,0,1]
	v_pk_fma_f16 v46, v46, v75, v42 op_sel:[0,1,0]
	;; [unrolled: 2-line block ×6, first 2 shown]
	ds_read2_b64 v[42:45], v41 offset0:128 offset1:160
	v_pk_fma_f16 v85, v49, v74, v40 op_sel_hi:[1,0,1]
	v_pk_fma_f16 v50, v49, v74, v50 op_sel:[0,1,0]
	v_pk_fma_f16 v52, v49, v75, v52 op_sel_hi:[1,0,1]
	v_pk_fma_f16 v49, v49, v75, v51 op_sel:[0,1,0]
	s_waitcnt lgkmcnt(0)
	v_pk_fma_f16 v51, v42, v76, v53 op_sel_hi:[1,0,1]
	v_pk_fma_f16 v53, v42, v76, v72 op_sel:[0,1,0]
	v_pk_fma_f16 v72, v42, v77, v73 op_sel_hi:[1,0,1]
	v_pk_fma_f16 v46, v42, v77, v46 op_sel:[0,1,0]
	;; [unrolled: 2-line block ×4, first 2 shown]
	ds_read2_b64 v[40:43], v41 offset0:192 offset1:224
	v_pk_fma_f16 v80, v44, v76, v81 op_sel_hi:[1,0,1]
	v_pk_fma_f16 v81, v44, v76, v84 op_sel:[0,1,0]
	v_pk_fma_f16 v71, v44, v77, v71 op_sel_hi:[1,0,1]
	v_pk_fma_f16 v44, v44, v77, v48 op_sel:[0,1,0]
	;; [unrolled: 2-line block ×4, first 2 shown]
	s_waitcnt lgkmcnt(0)
	v_pk_fma_f16 v82, v40, v78, v51 op_sel_hi:[1,0,1]
	v_pk_fma_f16 v83, v40, v79, v46 op_sel:[0,1,0]
	v_pk_fma_f16 v84, v41, v79, v47 op_sel:[0,1,0]
	;; [unrolled: 1-line block ×3, first 2 shown]
	v_pk_fma_f16 v86, v43, v78, v48 op_sel_hi:[1,0,1]
	ds_read2_b64 v[44:47], v37 offset1:32
	ds_read_b128 v[48:51], v63 offset:192
	v_pk_fma_f16 v53, v40, v78, v53 op_sel:[0,1,0]
	v_pk_fma_f16 v72, v40, v79, v72 op_sel_hi:[1,0,1]
	v_pk_fma_f16 v73, v41, v78, v73 op_sel_hi:[1,0,1]
	v_pk_fma_f16 v74, v41, v78, v74 op_sel:[0,1,0]
	v_pk_fma_f16 v75, v41, v79, v75 op_sel_hi:[1,0,1]
	v_pk_fma_f16 v80, v42, v78, v80 op_sel_hi:[1,0,1]
	v_pk_fma_f16 v81, v42, v78, v81 op_sel:[0,1,0]
	v_pk_fma_f16 v71, v42, v79, v71 op_sel_hi:[1,0,1]
	v_pk_fma_f16 v76, v43, v78, v76 op_sel:[0,1,0]
	;; [unrolled: 2-line block ×3, first 2 shown]
	s_waitcnt lgkmcnt(0)
	v_pk_fma_f16 v78, v44, v48, v82 op_sel_hi:[1,0,1]
	v_pk_fma_f16 v53, v44, v48, v53 op_sel:[0,1,0]
	v_pk_fma_f16 v79, v44, v49, v72 op_sel_hi:[1,0,1]
	v_pk_fma_f16 v44, v44, v49, v83 op_sel:[0,1,0]
	;; [unrolled: 2-line block ×3, first 2 shown]
	v_pk_fma_f16 v87, v45, v49, v75 op_sel_hi:[1,0,1]
	ds_read2_b64 v[72:75], v37 offset0:64 offset1:96
	v_pk_fma_f16 v45, v45, v49, v84 op_sel:[0,1,0]
	v_pk_fma_f16 v80, v46, v48, v80 op_sel_hi:[1,0,1]
	v_pk_fma_f16 v81, v46, v48, v81 op_sel:[0,1,0]
	v_pk_fma_f16 v71, v46, v49, v71 op_sel_hi:[1,0,1]
	v_pk_fma_f16 v46, v46, v49, v85 op_sel:[0,1,0]
	ds_read_b128 v[40:43], v63 offset:208
	v_pk_fma_f16 v84, v47, v48, v86 op_sel_hi:[1,0,1]
	v_pk_fma_f16 v48, v47, v48, v76 op_sel:[0,1,0]
	v_pk_fma_f16 v52, v47, v49, v52 op_sel_hi:[1,0,1]
	v_pk_fma_f16 v49, v47, v49, v77 op_sel:[0,1,0]
	s_waitcnt lgkmcnt(1)
	v_pk_fma_f16 v76, v72, v50, v78 op_sel_hi:[1,0,1]
	v_pk_fma_f16 v53, v72, v50, v53 op_sel:[0,1,0]
	v_pk_fma_f16 v77, v72, v51, v79 op_sel_hi:[1,0,1]
	v_pk_fma_f16 v72, v72, v51, v44 op_sel:[0,1,0]
	;; [unrolled: 2-line block ×6, first 2 shown]
	ds_read2_b64 v[44:47], v37 offset0:128 offset1:160
	v_pk_fma_f16 v83, v75, v50, v84 op_sel_hi:[1,0,1]
	v_pk_fma_f16 v84, v75, v50, v48 op_sel:[0,1,0]
	v_pk_fma_f16 v52, v75, v51, v52 op_sel_hi:[1,0,1]
	v_pk_fma_f16 v75, v75, v51, v49 op_sel:[0,1,0]
	ds_read2_b64 v[48:51], v37 offset0:192 offset1:224
	s_waitcnt lgkmcnt(1)
	v_pk_fma_f16 v76, v44, v40, v76 op_sel_hi:[1,0,1]
	v_pk_fma_f16 v53, v44, v40, v53 op_sel:[0,1,0]
	v_pk_fma_f16 v77, v44, v41, v77 op_sel_hi:[1,0,1]
	v_pk_fma_f16 v44, v44, v41, v72 op_sel:[0,1,0]
	;; [unrolled: 2-line block ×8, first 2 shown]
	s_waitcnt lgkmcnt(0)
	v_pk_fma_f16 v81, v48, v42, v76 op_sel_hi:[1,0,1]
	v_pk_fma_f16 v53, v48, v42, v53 op_sel:[0,1,0]
	v_pk_fma_f16 v82, v48, v43, v77 op_sel_hi:[1,0,1]
	v_pk_fma_f16 v48, v48, v43, v44 op_sel:[0,1,0]
	;; [unrolled: 2-line block ×6, first 2 shown]
	ds_read2_b64 v[44:47], v39 offset1:32
	ds_read_b128 v[72:75], v63 offset:224
	v_pk_fma_f16 v37, v51, v42, v37 op_sel_hi:[1,0,1]
	v_pk_fma_f16 v87, v51, v42, v40 op_sel:[0,1,0]
	v_pk_fma_f16 v52, v51, v43, v52 op_sel_hi:[1,0,1]
	v_pk_fma_f16 v51, v51, v43, v41 op_sel:[0,1,0]
	ds_read2_b64 v[40:43], v39 offset0:64 offset1:96
	s_waitcnt lgkmcnt(1)
	v_pk_fma_f16 v81, v44, v72, v81 op_sel_hi:[1,0,1]
	v_pk_fma_f16 v53, v44, v72, v53 op_sel:[0,1,0]
	v_pk_fma_f16 v82, v44, v73, v82 op_sel_hi:[1,0,1]
	v_pk_fma_f16 v44, v44, v73, v48 op_sel:[0,1,0]
	;; [unrolled: 2-line block ×6, first 2 shown]
	ds_read_b128 v[76:79], v63 offset:240
	v_pk_fma_f16 v37, v47, v72, v37 op_sel_hi:[1,0,1]
	v_pk_fma_f16 v50, v47, v72, v87 op_sel:[0,1,0]
	v_pk_fma_f16 v52, v47, v73, v52 op_sel_hi:[1,0,1]
	v_pk_fma_f16 v51, v47, v73, v51 op_sel:[0,1,0]
	s_waitcnt lgkmcnt(1)
	v_pk_fma_f16 v72, v40, v74, v81 op_sel_hi:[1,0,1]
	v_pk_fma_f16 v53, v40, v74, v53 op_sel:[0,1,0]
	v_pk_fma_f16 v73, v40, v75, v82 op_sel_hi:[1,0,1]
	v_pk_fma_f16 v40, v40, v75, v44 op_sel:[0,1,0]
	;; [unrolled: 2-line block ×6, first 2 shown]
	ds_read2_b64 v[44:47], v39 offset0:128 offset1:160
	v_pk_fma_f16 v37, v43, v74, v37 op_sel_hi:[1,0,1]
	v_pk_fma_f16 v50, v43, v74, v50 op_sel:[0,1,0]
	v_pk_fma_f16 v52, v43, v75, v52 op_sel_hi:[1,0,1]
	v_pk_fma_f16 v43, v43, v75, v51 op_sel:[0,1,0]
	s_waitcnt lgkmcnt(0)
	v_pk_fma_f16 v51, v44, v76, v72 op_sel_hi:[1,0,1]
	v_pk_fma_f16 v83, v44, v77, v73 op_sel_hi:[1,0,1]
	ds_read2_b64 v[72:75], v39 offset0:192 offset1:224
	s_waitcnt lgkmcnt(0)
	s_barrier
	s_load_dword s8, s[14:15], 0x4
	v_pk_fma_f16 v53, v44, v76, v53 op_sel:[0,1,0]
	v_pk_fma_f16 v40, v44, v77, v40 op_sel:[0,1,0]
	v_pk_fma_f16 v44, v45, v76, v48 op_sel_hi:[1,0,1]
	v_pk_fma_f16 v48, v45, v76, v81 op_sel:[0,1,0]
	s_waitcnt lgkmcnt(0)
	s_lshl_b32 s8, s8, 5
	v_pk_fma_f16 v81, v45, v77, v82 op_sel_hi:[1,0,1]
	v_pk_fma_f16 v82, v45, v77, v41 op_sel:[0,1,0]
	v_pk_fma_f16 v84, v46, v76, v49 op_sel_hi:[1,0,1]
	v_pk_fma_f16 v80, v46, v76, v80 op_sel:[0,1,0]
	v_pk_fma_f16 v71, v46, v77, v71 op_sel_hi:[1,0,1]
	v_pk_fma_f16 v85, v46, v77, v42 op_sel:[0,1,0]
	v_pk_fma_f16 v37, v47, v76, v37 op_sel_hi:[1,0,1]
	v_pk_fma_f16 v76, v47, v76, v50 op_sel:[0,1,0]
	v_pk_fma_f16 v86, v47, v77, v52 op_sel_hi:[1,0,1]
	v_pk_fma_f16 v77, v47, v77, v43 op_sel:[0,1,0]
	s_add_i32 s20, s8, s20
	v_pk_fma_f16 v50, v72, v78, v51 op_sel_hi:[1,0,1]
	v_pk_fma_f16 v46, v72, v78, v53 op_sel:[0,1,0]
	v_pk_fma_f16 v42, v72, v79, v83 op_sel_hi:[1,0,1]
	v_pk_fma_f16 v41, v72, v79, v40 op_sel:[0,1,0]
	;; [unrolled: 2-line block ×7, first 2 shown]
	v_pk_fma_f16 v44, v75, v79, v86 op_sel_hi:[1,0,1]
	s_cmp_lt_i32 s20, s21
	v_pk_fma_f16 v37, v75, v79, v77 op_sel:[0,1,0]
	s_cbranch_scc0 .LBB70_39
; %bb.37:                               ;   in Loop: Header=BB70_8 Depth=1
	v_mov_b32_e32 v71, v6
	v_mov_b32_e32 v72, v7
	;; [unrolled: 1-line block ×4, first 2 shown]
	s_branch .LBB70_8
.LBB70_38:
	s_mov_b32 s13, s12
	s_mov_b32 s14, s12
	;; [unrolled: 1-line block ×3, first 2 shown]
	v_pk_mov_b32 v[6:7], s[12:13], s[12:13] op_sel:[0,1]
	v_pk_mov_b32 v[8:9], s[14:15], s[14:15] op_sel:[0,1]
	v_mov_b32_e32 v4, v5
	v_mov_b32_e32 v3, v5
	;; [unrolled: 1-line block ×18, first 2 shown]
.LBB70_39:
	s_cmp_gt_i32 s46, s20
	s_cbranch_scc1 .LBB70_41
; %bb.40:
	v_mbcnt_hi_u32_b32 v56, -1, v54
	v_and_b32_e32 v12, 0x60, v56
	v_add_u32_e32 v57, 32, v12
	v_xor_b32_e32 v60, 16, v56
	v_xor_b32_e32 v61, 8, v56
	;; [unrolled: 1-line block ×5, first 2 shown]
	s_cbranch_execz .LBB70_42
	s_branch .LBB70_79
.LBB70_41:
                                        ; implicit-def: $vgpr56
                                        ; implicit-def: $vgpr57
                                        ; implicit-def: $vgpr60
                                        ; implicit-def: $vgpr61
                                        ; implicit-def: $vgpr62
                                        ; implicit-def: $vgpr59
                                        ; implicit-def: $vgpr58
.LBB70_42:
	s_mul_hi_i32 s9, s20, s27
	s_mul_i32 s8, s20, s27
	v_lshl_add_u32 v16, v34, 1, v11
	s_sub_i32 s16, s46, s20
	s_lshl_b64 s[8:9], s[8:9], 2
	v_mul_lo_u32 v14, s27, v16
	s_add_u32 s12, s40, s8
	v_ashrrev_i32_e32 v15, 31, v14
	s_addc_u32 s13, s41, s9
	v_lshlrev_b32_e32 v17, 2, v10
	v_lshlrev_b64 v[10:11], 2, v[14:15]
	v_mov_b32_e32 v12, s13
	v_add_co_u32_e32 v10, vcc, s12, v10
	v_addc_co_u32_e32 v11, vcc, v12, v11, vcc
	s_mov_b64 s[8:9], src_private_base
	v_add_co_u32_e32 v60, vcc, v10, v17
	v_mov_b32_e32 v19, 0
	v_addc_co_u32_e32 v61, vcc, 0, v11, vcc
	v_mov_b32_e32 v56, s9
	v_cmp_gt_i32_e64 s[8:9], s16, v16
	v_mov_b32_e32 v57, 0
	buffer_store_dword v19, off, s[0:3], 0
	buffer_store_dword v19, off, s[0:3], 0 offset:8
	buffer_store_dword v19, off, s[0:3], 0 offset:4
	;; [unrolled: 1-line block ×3, first 2 shown]
	v_cndmask_b32_e64 v11, v56, v61, s[8:9]
	v_cndmask_b32_e64 v10, v57, v60, s[8:9]
	flat_load_dwordx4 v[10:13], v[10:11]
	v_lshl_add_u32 v14, s27, 4, v14
	v_ashrrev_i32_e32 v15, 31, v14
	v_lshlrev_b64 v[14:15], 2, v[14:15]
	v_mov_b32_e32 v18, s13
	v_add_co_u32_e32 v14, vcc, s12, v14
	v_addc_co_u32_e32 v15, vcc, v18, v15, vcc
	s_movk_i32 s14, 0x110
	v_add_co_u32_e32 v58, vcc, v14, v17
	v_mad_u32_u24 v21, v16, s14, v17
	v_add_u32_e32 v16, 16, v16
	v_addc_co_u32_e32 v59, vcc, 0, v15, vcc
	v_cmp_gt_i32_e32 vcc, s16, v16
	v_cndmask_b32_e32 v15, v56, v59, vcc
	v_cndmask_b32_e32 v14, v57, v58, vcc
	buffer_store_dword v19, off, s[0:3], 0
	buffer_store_dword v19, off, s[0:3], 0 offset:8
	buffer_store_dword v19, off, s[0:3], 0 offset:4
	;; [unrolled: 1-line block ×3, first 2 shown]
	v_mul_u32_u24_e32 v18, 0x110, v31
	v_mov_b32_e32 v16, 0
	v_mov_b32_e32 v17, 0
	s_movk_i32 s14, 0x100
	v_add_co_u32_e64 v78, s[12:13], s14, v60
	v_addc_co_u32_e64 v79, s[12:13], 0, v61, s[12:13]
	s_waitcnt vmcnt(0) lgkmcnt(0)
	ds_write_b128 v21, v[10:13] offset:16384
	flat_load_dwordx4 v[12:15], v[14:15]
	v_mov_b32_e32 v10, 0
	v_mov_b32_e32 v11, 0
	s_waitcnt vmcnt(0) lgkmcnt(0)
	ds_write_b128 v21, v[12:15] offset:20736
	s_waitcnt lgkmcnt(0)
	s_barrier
	ds_read_b128 v[12:15], v18 offset:16384
	ds_read_b128 v[62:65], v55
	ds_read_b128 v[66:69], v55 offset:512
	ds_read_b128 v[70:73], v55 offset:1024
	ds_read_b128 v[74:77], v55 offset:1536
	s_waitcnt lgkmcnt(3)
	;;#ASMSTART
	v_dot2_f32_f16 v16, v12, v62, v16
	;;#ASMEND
	;;#ASMSTART
	v_dot2_f32_f16 v16, v13, v63, v16
	;;#ASMEND
	;;#ASMSTART
	v_dot2_f32_f16 v16, v14, v64, v16
	;;#ASMEND
	;;#ASMSTART
	v_dot2_f32_f16 v16, v15, v65, v16
	;;#ASMEND
	s_waitcnt lgkmcnt(2)
	;;#ASMSTART
	v_dot2_f32_f16 v17, v12, v66, v17
	;;#ASMEND
	;;#ASMSTART
	v_dot2_f32_f16 v17, v13, v67, v17
	;;#ASMEND
	;;#ASMSTART
	v_dot2_f32_f16 v17, v14, v68, v17
	;;#ASMEND
	;;#ASMSTART
	v_dot2_f32_f16 v17, v15, v69, v17
	;;#ASMEND
	s_waitcnt lgkmcnt(1)
	;;#ASMSTART
	v_dot2_f32_f16 v10, v12, v70, v10
	;;#ASMEND
	;;#ASMSTART
	v_dot2_f32_f16 v10, v13, v71, v10
	;;#ASMEND
	;;#ASMSTART
	v_dot2_f32_f16 v10, v14, v72, v10
	;;#ASMEND
	;;#ASMSTART
	v_dot2_f32_f16 v10, v15, v73, v10
	;;#ASMEND
	s_waitcnt lgkmcnt(0)
	;;#ASMSTART
	v_dot2_f32_f16 v11, v12, v74, v11
	;;#ASMEND
	;;#ASMSTART
	v_dot2_f32_f16 v11, v13, v75, v11
	;;#ASMEND
	;;#ASMSTART
	v_dot2_f32_f16 v11, v14, v76, v11
	;;#ASMEND
	;;#ASMSTART
	v_dot2_f32_f16 v11, v15, v77, v11
	;;#ASMEND
	ds_read_b128 v[12:15], v18 offset:16400
	ds_read_b128 v[62:65], v55 offset:16
	ds_read_b128 v[66:69], v55 offset:528
	ds_read_b128 v[70:73], v55 offset:1040
	ds_read_b128 v[74:77], v55 offset:1552
	s_waitcnt lgkmcnt(3)
	;;#ASMSTART
	v_dot2_f32_f16 v16, v12, v62, v16
	;;#ASMEND
	;;#ASMSTART
	v_dot2_f32_f16 v16, v13, v63, v16
	;;#ASMEND
	;;#ASMSTART
	v_dot2_f32_f16 v16, v14, v64, v16
	;;#ASMEND
	;;#ASMSTART
	v_dot2_f32_f16 v16, v15, v65, v16
	;;#ASMEND
	s_waitcnt lgkmcnt(2)
	;;#ASMSTART
	v_dot2_f32_f16 v17, v12, v66, v17
	;;#ASMEND
	;;#ASMSTART
	v_dot2_f32_f16 v17, v13, v67, v17
	;;#ASMEND
	;;#ASMSTART
	v_dot2_f32_f16 v17, v14, v68, v17
	;;#ASMEND
	;;#ASMSTART
	v_dot2_f32_f16 v17, v15, v69, v17
	;;#ASMEND
	s_waitcnt lgkmcnt(1)
	;;#ASMSTART
	v_dot2_f32_f16 v10, v12, v70, v10
	;;#ASMEND
	;;#ASMSTART
	v_dot2_f32_f16 v10, v13, v71, v10
	;;#ASMEND
	;;#ASMSTART
	v_dot2_f32_f16 v10, v14, v72, v10
	;;#ASMEND
	;;#ASMSTART
	v_dot2_f32_f16 v10, v15, v73, v10
	;;#ASMEND
	s_waitcnt lgkmcnt(0)
	;;#ASMSTART
	v_dot2_f32_f16 v11, v12, v74, v11
	;;#ASMEND
	;;#ASMSTART
	v_dot2_f32_f16 v11, v13, v75, v11
	;;#ASMEND
	;;#ASMSTART
	v_dot2_f32_f16 v11, v14, v76, v11
	;;#ASMEND
	;;#ASMSTART
	v_dot2_f32_f16 v11, v15, v77, v11
	;;#ASMEND
	ds_read_b128 v[12:15], v18 offset:16416
	ds_read_b128 v[62:65], v55 offset:32
	;; [unrolled: 57-line block ×15, first 2 shown]
	ds_read_b128 v[64:67], v55 offset:752
	ds_read_b128 v[68:71], v55 offset:1264
	;; [unrolled: 1-line block ×3, first 2 shown]
	s_waitcnt lgkmcnt(3)
	;;#ASMSTART
	v_dot2_f32_f16 v16, v12, v60, v16
	;;#ASMEND
	;;#ASMSTART
	v_dot2_f32_f16 v16, v13, v61, v16
	;;#ASMEND
	;;#ASMSTART
	v_dot2_f32_f16 v16, v14, v62, v16
	;;#ASMEND
	;;#ASMSTART
	v_dot2_f32_f16 v16, v15, v63, v16
	;;#ASMEND
	s_waitcnt lgkmcnt(2)
	;;#ASMSTART
	v_dot2_f32_f16 v17, v12, v64, v17
	;;#ASMEND
	;;#ASMSTART
	v_dot2_f32_f16 v17, v13, v65, v17
	;;#ASMEND
	;;#ASMSTART
	v_dot2_f32_f16 v17, v14, v66, v17
	;;#ASMEND
	;;#ASMSTART
	v_dot2_f32_f16 v17, v15, v67, v17
	;;#ASMEND
	;; [unrolled: 13-line block ×3, first 2 shown]
	s_waitcnt lgkmcnt(0)
	;;#ASMSTART
	v_dot2_f32_f16 v11, v12, v72, v11
	;;#ASMEND
	;;#ASMSTART
	v_dot2_f32_f16 v11, v13, v73, v11
	;;#ASMEND
	;; [unrolled: 3-line block ×3, first 2 shown]
	v_cndmask_b32_e64 v76, v57, v78, s[8:9]
	v_cndmask_b32_e64 v77, v56, v79, s[8:9]
	;;#ASMSTART
	v_dot2_f32_f16 v11, v15, v75, v11
	;;#ASMEND
	s_barrier
	buffer_store_dword v19, off, s[0:3], 0
	buffer_store_dword v19, off, s[0:3], 0 offset:8
	buffer_store_dword v19, off, s[0:3], 0 offset:4
	;; [unrolled: 1-line block ×3, first 2 shown]
	flat_load_dwordx4 v[12:15], v[76:77]
	v_add_co_u32_e64 v58, s[8:9], s14, v58
	v_addc_co_u32_e64 v59, s[8:9], 0, v59, s[8:9]
	v_cndmask_b32_e32 v59, v56, v59, vcc
	v_cndmask_b32_e32 v58, v57, v58, vcc
	buffer_store_dword v19, off, s[0:3], 0
	buffer_store_dword v19, off, s[0:3], 0 offset:8
	buffer_store_dword v19, off, s[0:3], 0 offset:4
	;; [unrolled: 1-line block ×3, first 2 shown]
	s_mov_b32 s8, 0x3f200000
	s_waitcnt vmcnt(0) lgkmcnt(0)
	ds_write_b128 v21, v[12:15] offset:16384
	flat_load_dwordx4 v[12:15], v[58:59]
	s_waitcnt vmcnt(0) lgkmcnt(0)
	ds_write_b128 v21, v[12:15] offset:20736
	s_waitcnt lgkmcnt(0)
	s_barrier
	ds_read_b128 v[12:15], v18 offset:16384
	ds_read_b128 v[56:59], v55 offset:256
	ds_read_b128 v[60:63], v55 offset:768
	ds_read_b128 v[64:67], v55 offset:1280
	ds_read_b128 v[68:71], v55 offset:1792
	s_waitcnt lgkmcnt(3)
	;;#ASMSTART
	v_dot2_f32_f16 v16, v12, v56, v16
	;;#ASMEND
	;;#ASMSTART
	v_dot2_f32_f16 v16, v13, v57, v16
	;;#ASMEND
	;;#ASMSTART
	v_dot2_f32_f16 v16, v14, v58, v16
	;;#ASMEND
	;;#ASMSTART
	v_dot2_f32_f16 v16, v15, v59, v16
	;;#ASMEND
	s_waitcnt lgkmcnt(2)
	;;#ASMSTART
	v_dot2_f32_f16 v17, v12, v60, v17
	;;#ASMEND
	;;#ASMSTART
	v_dot2_f32_f16 v17, v13, v61, v17
	;;#ASMEND
	;;#ASMSTART
	v_dot2_f32_f16 v17, v14, v62, v17
	;;#ASMEND
	;;#ASMSTART
	v_dot2_f32_f16 v17, v15, v63, v17
	;;#ASMEND
	s_waitcnt lgkmcnt(1)
	;;#ASMSTART
	v_dot2_f32_f16 v10, v12, v64, v10
	;;#ASMEND
	;;#ASMSTART
	v_dot2_f32_f16 v10, v13, v65, v10
	;;#ASMEND
	;;#ASMSTART
	v_dot2_f32_f16 v10, v14, v66, v10
	;;#ASMEND
	;;#ASMSTART
	v_dot2_f32_f16 v10, v15, v67, v10
	;;#ASMEND
	s_waitcnt lgkmcnt(0)
	;;#ASMSTART
	v_dot2_f32_f16 v11, v12, v68, v11
	;;#ASMEND
	;;#ASMSTART
	v_dot2_f32_f16 v11, v13, v69, v11
	;;#ASMEND
	;;#ASMSTART
	v_dot2_f32_f16 v11, v14, v70, v11
	;;#ASMEND
	;;#ASMSTART
	v_dot2_f32_f16 v11, v15, v71, v11
	;;#ASMEND
	ds_read_b128 v[12:15], v18 offset:16400
	ds_read_b128 v[56:59], v55 offset:272
	ds_read_b128 v[60:63], v55 offset:784
	ds_read_b128 v[64:67], v55 offset:1296
	ds_read_b128 v[68:71], v55 offset:1808
	s_waitcnt lgkmcnt(3)
	;;#ASMSTART
	v_dot2_f32_f16 v16, v12, v56, v16
	;;#ASMEND
	;;#ASMSTART
	v_dot2_f32_f16 v16, v13, v57, v16
	;;#ASMEND
	;;#ASMSTART
	v_dot2_f32_f16 v16, v14, v58, v16
	;;#ASMEND
	;;#ASMSTART
	v_dot2_f32_f16 v16, v15, v59, v16
	;;#ASMEND
	s_waitcnt lgkmcnt(2)
	;;#ASMSTART
	v_dot2_f32_f16 v17, v12, v60, v17
	;;#ASMEND
	;;#ASMSTART
	v_dot2_f32_f16 v17, v13, v61, v17
	;;#ASMEND
	;;#ASMSTART
	v_dot2_f32_f16 v17, v14, v62, v17
	;;#ASMEND
	;;#ASMSTART
	v_dot2_f32_f16 v17, v15, v63, v17
	;;#ASMEND
	s_waitcnt lgkmcnt(1)
	;;#ASMSTART
	v_dot2_f32_f16 v10, v12, v64, v10
	;;#ASMEND
	;;#ASMSTART
	v_dot2_f32_f16 v10, v13, v65, v10
	;;#ASMEND
	;;#ASMSTART
	v_dot2_f32_f16 v10, v14, v66, v10
	;;#ASMEND
	;;#ASMSTART
	v_dot2_f32_f16 v10, v15, v67, v10
	;;#ASMEND
	s_waitcnt lgkmcnt(0)
	;;#ASMSTART
	v_dot2_f32_f16 v11, v12, v68, v11
	;;#ASMEND
	;;#ASMSTART
	v_dot2_f32_f16 v11, v13, v69, v11
	;;#ASMEND
	;;#ASMSTART
	v_dot2_f32_f16 v11, v14, v70, v11
	;;#ASMEND
	;;#ASMSTART
	v_dot2_f32_f16 v11, v15, v71, v11
	;;#ASMEND
	;; [unrolled: 57-line block ×15, first 2 shown]
	ds_read_b128 v[12:15], v18 offset:16624
	ds_read_b128 v[56:59], v55 offset:496
	;; [unrolled: 1-line block ×5, first 2 shown]
	s_waitcnt lgkmcnt(3)
	;;#ASMSTART
	v_dot2_f32_f16 v16, v12, v56, v16
	;;#ASMEND
	;;#ASMSTART
	v_dot2_f32_f16 v16, v13, v57, v16
	;;#ASMEND
	;;#ASMSTART
	v_dot2_f32_f16 v16, v14, v58, v16
	;;#ASMEND
	;;#ASMSTART
	v_dot2_f32_f16 v16, v15, v59, v16
	;;#ASMEND
	s_waitcnt lgkmcnt(2)
	;;#ASMSTART
	v_dot2_f32_f16 v17, v12, v60, v17
	;;#ASMEND
	;;#ASMSTART
	v_dot2_f32_f16 v17, v13, v61, v17
	;;#ASMEND
	;;#ASMSTART
	v_dot2_f32_f16 v17, v14, v62, v17
	;;#ASMEND
	;;#ASMSTART
	v_dot2_f32_f16 v17, v15, v63, v17
	;;#ASMEND
	;; [unrolled: 13-line block ×3, first 2 shown]
	s_waitcnt lgkmcnt(0)
	;;#ASMSTART
	v_dot2_f32_f16 v11, v12, v68, v11
	;;#ASMEND
	;;#ASMSTART
	v_dot2_f32_f16 v11, v13, v69, v11
	;;#ASMEND
	;; [unrolled: 3-line block ×3, first 2 shown]
	v_cmp_nlt_f32_e64 s[8:9], |v16|, s8
	;;#ASMSTART
	v_dot2_f32_f16 v11, v15, v71, v11
	;;#ASMEND
                                        ; implicit-def: $vgpr12
	s_and_saveexec_b64 s[12:13], s[8:9]
	s_xor_b64 s[8:9], exec, s[12:13]
	s_cbranch_execz .LBB70_44
; %bb.43:
	v_add_f32_e64 v12, |v16|, |v16|
	v_mul_f32_e32 v13, 0x3fb8aa3b, v12
	s_mov_b32 s12, 0x3fb8aa3b
	v_rndne_f32_e32 v14, v13
	v_sub_f32_e32 v15, v13, v14
	v_fma_f32 v13, v12, s12, -v13
	v_fmac_f32_e32 v13, 0x32a5705f, v12
	v_add_f32_e32 v13, v15, v13
	v_exp_f32_e32 v13, v13
	v_cvt_i32_f32_e32 v14, v14
	s_mov_b32 s12, 0xc2ce8ed0
	v_cmp_ngt_f32_e32 vcc, s12, v12
	s_mov_b32 s12, 0x42b17218
	v_ldexp_f32 v13, v13, v14
	v_cndmask_b32_e32 v13, 0, v13, vcc
	v_mov_b32_e32 v14, 0x7f800000
	v_cmp_nlt_f32_e32 vcc, s12, v12
	v_cndmask_b32_e32 v12, v14, v13, vcc
	v_add_f32_e32 v12, 1.0, v12
	v_rcp_f32_e32 v12, v12
	v_fma_f32 v12, v12, -2.0, 1.0
.LBB70_44:
	s_andn2_saveexec_b64 s[8:9], s[8:9]
; %bb.45:
	v_mul_f32_e32 v12, v16, v16
	v_mov_b32_e32 v13, 0x3ca908c9
	v_fmac_f32_e32 v13, 0xbbbac73d, v12
	v_mov_b32_e32 v14, 0xbd5c1c4e
	v_fmac_f32_e32 v14, v12, v13
	;; [unrolled: 2-line block ×4, first 2 shown]
	v_mul_f32_e64 v13, |v16|, v14
	v_fma_f32 v12, v12, v13, |v16|
; %bb.46:
	s_or_b64 exec, exec, s[8:9]
	s_cmp_lg_u64 s[44:45], 0
	s_brev_b32 s12, -2
	v_bfi_b32 v12, s12, v12, v16
	s_cselect_b64 s[12:13], -1, 0
	v_mul_f32_e32 v16, s23, v12
	v_cndmask_b32_e64 v12, 0, 1, s[12:13]
	v_cmp_ne_u32_e64 s[12:13], 1, v12
	v_pk_mov_b32 v[14:15], v[8:9], v[8:9] op_sel:[0,1]
	v_cmp_gt_i32_e64 s[8:9], s16, v31
	v_add_u32_e32 v18, s20, v31
	v_pk_mov_b32 v[12:13], v[6:7], v[6:7] op_sel:[0,1]
	v_mov_b32_e32 v19, v6
	s_and_saveexec_b64 s[14:15], s[8:9]
	s_cbranch_execz .LBB70_51
; %bb.47:
	s_and_b64 vcc, exec, s[12:13]
	s_cbranch_vccnz .LBB70_49
; %bb.48:
	v_mad_u64_u32 v[12:13], s[40:41], v1, s26, v[18:19]
	v_ashrrev_i32_e32 v13, 31, v12
	v_lshlrev_b64 v[12:13], 1, v[12:13]
	v_mov_b32_e32 v1, s45
	v_add_co_u32_e32 v12, vcc, s44, v12
	v_addc_co_u32_e32 v13, vcc, v1, v13, vcc
	flat_load_ushort v1, v[12:13]
	s_waitcnt vmcnt(0) lgkmcnt(0)
	v_cvt_f32_f16_e32 v1, v1
	v_mul_f32_e32 v1, v38, v1
	s_branch .LBB70_50
.LBB70_49:
	v_mov_b32_e32 v1, 0
.LBB70_50:
	v_add_f32_e32 v16, v16, v1
	v_add_f32_e32 v1, 0x40051340, v16
	v_max_f32_e32 v12, v6, v6
	v_max_f32_e32 v19, v12, v1
	v_pk_mov_b32 v[14:15], v[8:9], v[8:9] op_sel:[0,1]
	v_pk_mov_b32 v[12:13], v[6:7], v[6:7] op_sel:[0,1]
                                        ; kill: def $vgpr12 killed $vgpr19 killed $exec
.LBB70_51:
	s_or_b64 exec, exec, s[14:15]
	v_mbcnt_hi_u32_b32 v56, -1, v54
	v_and_b32_e32 v1, 0x60, v56
	v_add_u32_e32 v57, 32, v1
	v_xor_b32_e32 v60, 16, v56
	v_cmp_lt_i32_e32 vcc, v60, v57
	v_cndmask_b32_e32 v1, v56, v60, vcc
	v_lshlrev_b32_e32 v55, 2, v1
	ds_bpermute_b32 v1, v55, v19
	v_xor_b32_e32 v61, 8, v56
	v_cmp_lt_i32_e32 vcc, v61, v57
	v_cndmask_b32_e32 v12, v56, v61, vcc
	v_lshlrev_b32_e32 v63, 2, v12
	s_waitcnt lgkmcnt(0)
	v_max_f32_e32 v1, v1, v1
	v_max_f32_e32 v12, v19, v19
	;; [unrolled: 1-line block ×3, first 2 shown]
	ds_bpermute_b32 v12, v63, v1
	v_xor_b32_e32 v62, 4, v56
	v_cmp_lt_i32_e32 vcc, v62, v57
	v_cndmask_b32_e32 v19, v56, v62, vcc
	v_lshlrev_b32_e32 v54, 2, v19
	s_waitcnt lgkmcnt(0)
	v_max_f32_e32 v12, v12, v12
	v_max_f32_e32 v1, v1, v12
	ds_bpermute_b32 v12, v54, v1
	v_xor_b32_e32 v59, 2, v56
	v_cmp_lt_i32_e32 vcc, v59, v57
	v_cndmask_b32_e32 v19, v56, v59, vcc
	v_lshlrev_b32_e32 v19, 2, v19
	s_waitcnt lgkmcnt(0)
	v_max_f32_e32 v12, v12, v12
	v_max_f32_e32 v1, v1, v12
	;; [unrolled: 8-line block ×3, first 2 shown]
	ds_bpermute_b32 v12, v21, v1
	s_mov_b32 s14, 0x3f200000
	v_cmp_nlt_f32_e64 s[14:15], |v17|, s14
                                        ; implicit-def: $vgpr64
	s_and_saveexec_b64 s[40:41], s[14:15]
	s_xor_b64 s[14:15], exec, s[40:41]
	s_cbranch_execz .LBB70_53
; %bb.52:
	v_add_f32_e64 v64, |v17|, |v17|
	v_mul_f32_e32 v65, 0x3fb8aa3b, v64
	s_mov_b32 s17, 0x3fb8aa3b
	v_rndne_f32_e32 v66, v65
	v_sub_f32_e32 v67, v65, v66
	v_fma_f32 v65, v64, s17, -v65
	v_fmac_f32_e32 v65, 0x32a5705f, v64
	v_add_f32_e32 v65, v67, v65
	v_exp_f32_e32 v65, v65
	v_cvt_i32_f32_e32 v66, v66
	s_mov_b32 s17, 0xc2ce8ed0
	v_cmp_ngt_f32_e32 vcc, s17, v64
	s_mov_b32 s17, 0x42b17218
	v_ldexp_f32 v65, v65, v66
	v_cndmask_b32_e32 v65, 0, v65, vcc
	v_mov_b32_e32 v66, 0x7f800000
	v_cmp_nlt_f32_e32 vcc, s17, v64
	v_cndmask_b32_e32 v64, v66, v65, vcc
	v_add_f32_e32 v64, 1.0, v64
	v_rcp_f32_e32 v64, v64
	v_fma_f32 v64, v64, -2.0, 1.0
.LBB70_53:
	s_andn2_saveexec_b64 s[14:15], s[14:15]
; %bb.54:
	v_mul_f32_e32 v64, v17, v17
	v_mov_b32_e32 v65, 0x3ca908c9
	v_fmac_f32_e32 v65, 0xbbbac73d, v64
	v_mov_b32_e32 v66, 0xbd5c1c4e
	v_fmac_f32_e32 v66, v64, v65
	;; [unrolled: 2-line block ×4, first 2 shown]
	v_mul_f32_e64 v65, |v17|, v66
	v_fma_f32 v64, v64, v65, |v17|
; %bb.55:
	s_or_b64 exec, exec, s[14:15]
	s_waitcnt lgkmcnt(0)
	v_max_f32_e32 v12, v12, v12
	v_max_f32_e32 v1, v1, v1
	s_brev_b32 s14, -2
	v_max_f32_e32 v12, v1, v12
	v_bfi_b32 v1, s14, v64, v17
	v_mul_f32_e32 v1, s23, v1
	s_and_saveexec_b64 s[14:15], s[8:9]
	s_cbranch_execz .LBB70_60
; %bb.56:
	s_and_b64 vcc, exec, s[12:13]
	s_cbranch_vccnz .LBB70_58
; %bb.57:
	v_or_b32_e32 v17, 1, v33
	v_mul_hi_u32 v64, s36, v17
	v_add_u32_e32 v64, v17, v64
	v_lshrrev_b32_e32 v64, s37, v64
	v_mul_lo_u32 v64, v64, s38
	v_sub_u32_e32 v17, v17, v64
	v_mad_u64_u32 v[64:65], s[40:41], v17, s26, v[18:19]
	v_ashrrev_i32_e32 v65, 31, v64
	v_lshlrev_b64 v[64:65], 1, v[64:65]
	v_mov_b32_e32 v17, s45
	v_add_co_u32_e32 v64, vcc, s44, v64
	v_addc_co_u32_e32 v65, vcc, v17, v65, vcc
	flat_load_ushort v17, v[64:65]
	s_waitcnt vmcnt(0) lgkmcnt(0)
	v_cvt_f32_f16_e32 v17, v17
	v_mul_f32_e32 v17, v38, v17
	s_branch .LBB70_59
.LBB70_58:
	v_mov_b32_e32 v17, 0
.LBB70_59:
	v_add_f32_e32 v1, v1, v17
	v_add_f32_e32 v17, 0x40051340, v1
	v_max_f32_e32 v13, v13, v13
	v_max_f32_e32 v13, v13, v17
.LBB70_60:
	s_or_b64 exec, exec, s[14:15]
	ds_bpermute_b32 v17, v55, v13
	v_max_f32_e32 v13, v13, v13
	s_mov_b32 s14, 0x3f200000
	v_cmp_nlt_f32_e64 s[14:15], |v10|, s14
                                        ; implicit-def: $vgpr64
	s_waitcnt lgkmcnt(0)
	v_max_f32_e32 v17, v17, v17
	v_max_f32_e32 v13, v13, v17
	ds_bpermute_b32 v17, v63, v13
	s_waitcnt lgkmcnt(0)
	v_max_f32_e32 v17, v17, v17
	v_max_f32_e32 v13, v13, v17
	ds_bpermute_b32 v17, v54, v13
	;; [unrolled: 4-line block ×4, first 2 shown]
	s_and_saveexec_b64 s[40:41], s[14:15]
	s_xor_b64 s[14:15], exec, s[40:41]
	s_cbranch_execz .LBB70_62
; %bb.61:
	v_add_f32_e64 v64, |v10|, |v10|
	v_mul_f32_e32 v65, 0x3fb8aa3b, v64
	s_mov_b32 s17, 0x3fb8aa3b
	v_rndne_f32_e32 v66, v65
	v_sub_f32_e32 v67, v65, v66
	v_fma_f32 v65, v64, s17, -v65
	v_fmac_f32_e32 v65, 0x32a5705f, v64
	v_add_f32_e32 v65, v67, v65
	v_exp_f32_e32 v65, v65
	v_cvt_i32_f32_e32 v66, v66
	s_mov_b32 s17, 0xc2ce8ed0
	v_cmp_ngt_f32_e32 vcc, s17, v64
	s_mov_b32 s17, 0x42b17218
	v_ldexp_f32 v65, v65, v66
	v_cndmask_b32_e32 v65, 0, v65, vcc
	v_mov_b32_e32 v66, 0x7f800000
	v_cmp_nlt_f32_e32 vcc, s17, v64
	v_cndmask_b32_e32 v64, v66, v65, vcc
	v_add_f32_e32 v64, 1.0, v64
	v_rcp_f32_e32 v64, v64
	v_fma_f32 v64, v64, -2.0, 1.0
.LBB70_62:
	s_andn2_saveexec_b64 s[14:15], s[14:15]
; %bb.63:
	v_mul_f32_e32 v64, v10, v10
	v_mov_b32_e32 v65, 0x3ca908c9
	v_fmac_f32_e32 v65, 0xbbbac73d, v64
	v_mov_b32_e32 v66, 0xbd5c1c4e
	v_fmac_f32_e32 v66, v64, v65
	;; [unrolled: 2-line block ×4, first 2 shown]
	v_mul_f32_e64 v65, |v10|, v66
	v_fma_f32 v64, v64, v65, |v10|
; %bb.64:
	s_or_b64 exec, exec, s[14:15]
	s_brev_b32 s14, -2
	s_waitcnt lgkmcnt(0)
	v_max_f32_e32 v17, v17, v17
	v_max_f32_e32 v13, v13, v13
	v_bfi_b32 v10, s14, v64, v10
	v_max_f32_e32 v13, v13, v17
	v_mul_f32_e32 v10, s23, v10
	s_and_saveexec_b64 s[14:15], s[8:9]
	s_cbranch_execz .LBB70_69
; %bb.65:
	s_and_b64 vcc, exec, s[12:13]
	s_cbranch_vccnz .LBB70_67
; %bb.66:
	v_or_b32_e32 v17, 2, v33
	v_mul_hi_u32 v64, s36, v17
	v_add_u32_e32 v64, v17, v64
	v_lshrrev_b32_e32 v64, s37, v64
	v_mul_lo_u32 v64, v64, s38
	v_sub_u32_e32 v17, v17, v64
	v_mad_u64_u32 v[64:65], s[40:41], v17, s26, v[18:19]
	v_ashrrev_i32_e32 v65, 31, v64
	v_lshlrev_b64 v[64:65], 1, v[64:65]
	v_mov_b32_e32 v17, s45
	v_add_co_u32_e32 v64, vcc, s44, v64
	v_addc_co_u32_e32 v65, vcc, v17, v65, vcc
	flat_load_ushort v17, v[64:65]
	s_waitcnt vmcnt(0) lgkmcnt(0)
	v_cvt_f32_f16_e32 v17, v17
	v_mul_f32_e32 v17, v38, v17
	s_branch .LBB70_68
.LBB70_67:
	v_mov_b32_e32 v17, 0
.LBB70_68:
	v_add_f32_e32 v10, v10, v17
	v_add_f32_e32 v17, 0x40051340, v10
	v_max_f32_e32 v14, v14, v14
	v_max_f32_e32 v14, v14, v17
.LBB70_69:
	s_or_b64 exec, exec, s[14:15]
	ds_bpermute_b32 v17, v55, v14
	v_max_f32_e32 v14, v14, v14
	s_mov_b32 s14, 0x3f200000
	v_cmp_nlt_f32_e64 s[14:15], |v11|, s14
                                        ; implicit-def: $vgpr64
	s_waitcnt lgkmcnt(0)
	v_max_f32_e32 v17, v17, v17
	v_max_f32_e32 v14, v14, v17
	ds_bpermute_b32 v17, v63, v14
	s_waitcnt lgkmcnt(0)
	v_max_f32_e32 v17, v17, v17
	v_max_f32_e32 v14, v14, v17
	ds_bpermute_b32 v17, v54, v14
	;; [unrolled: 4-line block ×4, first 2 shown]
	s_and_saveexec_b64 s[40:41], s[14:15]
	s_xor_b64 s[14:15], exec, s[40:41]
	s_cbranch_execz .LBB70_71
; %bb.70:
	v_add_f32_e64 v64, |v11|, |v11|
	v_mul_f32_e32 v65, 0x3fb8aa3b, v64
	s_mov_b32 s17, 0x3fb8aa3b
	v_rndne_f32_e32 v66, v65
	v_sub_f32_e32 v67, v65, v66
	v_fma_f32 v65, v64, s17, -v65
	v_fmac_f32_e32 v65, 0x32a5705f, v64
	v_add_f32_e32 v65, v67, v65
	v_exp_f32_e32 v65, v65
	v_cvt_i32_f32_e32 v66, v66
	s_mov_b32 s17, 0xc2ce8ed0
	v_cmp_ngt_f32_e32 vcc, s17, v64
	s_mov_b32 s17, 0x42b17218
	v_ldexp_f32 v65, v65, v66
	v_cndmask_b32_e32 v65, 0, v65, vcc
	v_mov_b32_e32 v66, 0x7f800000
	v_cmp_nlt_f32_e32 vcc, s17, v64
	v_cndmask_b32_e32 v64, v66, v65, vcc
	v_add_f32_e32 v64, 1.0, v64
	v_rcp_f32_e32 v64, v64
	v_fma_f32 v64, v64, -2.0, 1.0
.LBB70_71:
	s_andn2_saveexec_b64 s[14:15], s[14:15]
; %bb.72:
	v_mul_f32_e32 v64, v11, v11
	v_mov_b32_e32 v65, 0x3ca908c9
	v_fmac_f32_e32 v65, 0xbbbac73d, v64
	v_mov_b32_e32 v66, 0xbd5c1c4e
	v_fmac_f32_e32 v66, v64, v65
	;; [unrolled: 2-line block ×4, first 2 shown]
	v_mul_f32_e64 v65, |v11|, v66
	v_fma_f32 v64, v64, v65, |v11|
; %bb.73:
	s_or_b64 exec, exec, s[14:15]
	s_brev_b32 s14, -2
	s_waitcnt lgkmcnt(0)
	v_max_f32_e32 v17, v17, v17
	v_max_f32_e32 v14, v14, v14
	v_bfi_b32 v11, s14, v64, v11
	v_max_f32_e32 v14, v14, v17
	v_mul_f32_e32 v11, s23, v11
	s_and_saveexec_b64 s[14:15], s[8:9]
	s_cbranch_execz .LBB70_78
; %bb.74:
	s_and_b64 vcc, exec, s[12:13]
	s_cbranch_vccnz .LBB70_76
; %bb.75:
	v_or_b32_e32 v17, 3, v33
	v_mul_hi_u32 v64, s36, v17
	v_add_u32_e32 v64, v17, v64
	v_lshrrev_b32_e32 v64, s37, v64
	v_mul_lo_u32 v64, v64, s38
	v_sub_u32_e32 v17, v17, v64
	v_mad_u64_u32 v[64:65], s[8:9], v17, s26, v[18:19]
	v_ashrrev_i32_e32 v65, 31, v64
	v_lshlrev_b64 v[64:65], 1, v[64:65]
	v_mov_b32_e32 v17, s45
	v_add_co_u32_e32 v64, vcc, s44, v64
	v_addc_co_u32_e32 v65, vcc, v17, v65, vcc
	flat_load_ushort v17, v[64:65]
	s_waitcnt vmcnt(0) lgkmcnt(0)
	v_cvt_f32_f16_e32 v17, v17
	v_mul_f32_e32 v17, v38, v17
	s_branch .LBB70_77
.LBB70_76:
	v_mov_b32_e32 v17, 0
.LBB70_77:
	v_add_f32_e32 v11, v11, v17
	v_add_f32_e32 v17, 0x40051340, v11
	v_max_f32_e32 v15, v15, v15
	v_max_f32_e32 v15, v15, v17
.LBB70_78:
	s_or_b64 exec, exec, s[14:15]
	ds_bpermute_b32 v17, v55, v15
	v_max_f32_e32 v15, v15, v15
	s_load_dwordx2 s[4:5], s[4:5], 0x4
	v_sub_f32_e32 v16, v16, v12
	s_mov_b32 s8, 0x3fb8aa3b
	s_waitcnt lgkmcnt(0)
	v_max_f32_e32 v17, v17, v17
	v_max_f32_e32 v15, v15, v17
	ds_bpermute_b32 v17, v63, v15
	s_lshr_b32 s4, s4, 16
	v_mul_f32_e32 v18, 0x3fb8aa3b, v16
	s_mul_i32 s4, s4, s5
	v_fma_f32 v38, v16, s8, -v18
	s_waitcnt lgkmcnt(0)
	v_max_f32_e32 v17, v17, v17
	v_max_f32_e32 v15, v15, v17
	ds_bpermute_b32 v17, v54, v15
	v_rndne_f32_e32 v63, v18
	v_bfe_u32 v0, v0, 20, 10
	v_fmac_f32_e32 v38, 0x32a5705f, v16
	v_sub_f32_e32 v18, v18, v63
	s_waitcnt lgkmcnt(0)
	v_max_f32_e32 v17, v17, v17
	v_max_f32_e32 v15, v15, v17
	ds_bpermute_b32 v17, v19, v15
	v_mul_lo_u32 v19, s4, v31
	v_mad_u32_u24 v19, v34, s5, v19
	v_add_f32_e32 v18, v18, v38
	v_add_lshl_u32 v55, v19, v0, 4
	s_waitcnt lgkmcnt(0)
	v_max_f32_e32 v17, v17, v17
	v_max_f32_e32 v15, v15, v17
	ds_bpermute_b32 v17, v21, v15
	s_mov_b32 s12, 0xc2ce8ed0
	s_mov_b32 s9, 0x42b17218
	v_cmp_ngt_f32_e32 vcc, s12, v16
	v_sub_f32_e32 v1, v1, v13
	s_waitcnt lgkmcnt(0)
	v_max_f32_e32 v0, v17, v17
	v_max_f32_e32 v15, v15, v0
	v_exp_f32_e32 v0, v18
	v_cvt_i32_f32_e32 v17, v63
	v_sub_f32_e32 v10, v10, v14
	v_cmp_ngt_f32_e64 s[4:5], s12, v1
	v_mov_b32_e32 v72, 0x7f800000
	v_ldexp_f32 v0, v0, v17
	v_cndmask_b32_e32 v0, 0, v0, vcc
	v_cmp_nlt_f32_e32 vcc, s9, v16
	v_mul_f32_e32 v16, 0x3fb8aa3b, v1
	v_fma_f32 v17, v1, s8, -v16
	v_rndne_f32_e32 v18, v16
	v_fmac_f32_e32 v17, 0x32a5705f, v1
	v_sub_f32_e32 v16, v16, v18
	v_add_f32_e32 v16, v16, v17
	v_exp_f32_e32 v17, v16
	v_cvt_i32_f32_e32 v18, v18
	v_cndmask_b32_e32 v0, v72, v0, vcc
	v_cmp_gt_u32_e32 vcc, s16, v31
	v_sub_f32_e32 v11, v11, v15
	v_ldexp_f32 v17, v17, v18
	v_mul_f32_e32 v18, 0x3fb8aa3b, v10
	v_fma_f32 v19, v10, s8, -v18
	v_rndne_f32_e32 v21, v18
	v_fmac_f32_e32 v19, 0x32a5705f, v10
	v_sub_f32_e32 v18, v18, v21
	v_add_f32_e32 v18, v18, v19
	v_exp_f32_e32 v18, v18
	v_cvt_i32_f32_e32 v19, v21
	v_cndmask_b32_e64 v17, 0, v17, s[4:5]
	v_cmp_nlt_f32_e64 s[4:5], s9, v1
	v_cndmask_b32_e64 v1, v72, v17, s[4:5]
	v_cndmask_b32_e32 v17, 0, v1, vcc
	v_ldexp_f32 v1, v18, v19
	v_mul_f32_e32 v18, 0x3fb8aa3b, v11
	v_fma_f32 v19, v11, s8, -v18
	v_rndne_f32_e32 v38, v18
	v_fmac_f32_e32 v19, 0x32a5705f, v11
	v_sub_f32_e32 v18, v18, v38
	v_add_f32_e32 v18, v18, v19
	v_exp_f32_e32 v19, v18
	v_cvt_i32_f32_e32 v38, v38
	v_cmp_ngt_f32_e64 s[4:5], s12, v10
	v_cndmask_b32_e64 v1, 0, v1, s[4:5]
	v_cmp_nlt_f32_e64 s[4:5], s9, v10
	v_cndmask_b32_e64 v1, v72, v1, s[4:5]
	v_ldexp_f32 v10, v19, v38
	v_cmp_ngt_f32_e64 s[4:5], s12, v11
	v_cndmask_b32_e64 v10, 0, v10, s[4:5]
	v_cmp_nlt_f32_e64 s[4:5], s9, v11
	v_cndmask_b32_e64 v10, v72, v10, s[4:5]
	v_cndmask_b32_e32 v16, 0, v0, vcc
	v_cndmask_b32_e32 v18, 0, v1, vcc
	;; [unrolled: 1-line block ×3, first 2 shown]
	v_cvt_f16_f32_e32 v0, v16
	v_cvt_f16_f32_e32 v21, v17
	;; [unrolled: 1-line block ×4, first 2 shown]
	v_lshlrev_b32_e32 v38, 8, v34
	s_movk_i32 s4, 0x6200
	s_mul_hi_i32 s15, s20, s10
	s_mul_i32 s14, s20, s10
	v_add3_u32 v11, v38, s4, v36
	s_mov_b64 s[4:5], src_shared_base
	s_lshl_b64 s[14:15], s[14:15], 2
	s_add_u32 s4, s18, s14
	v_pack_b32_f16 v1, v1, v10
	v_pack_b32_f16 v0, v0, v21
	s_addc_u32 s13, s19, s15
	v_lshlrev_b64 v[22:23], 2, v[22:23]
	s_barrier
	ds_write_b64 v11, v[0:1]
	v_mov_b32_e32 v0, s13
	v_add_co_u32_e32 v1, vcc, s4, v22
	v_addc_co_u32_e32 v0, vcc, v0, v23, vcc
	v_add_co_u32_e32 v10, vcc, v1, v35
	v_addc_co_u32_e32 v0, vcc, 0, v0, vcc
	v_add_u32_e32 v54, 0x6a00, v55
	v_mov_b32_e32 v64, 0
	v_mov_b32_e32 v65, s5
	v_cmp_gt_i32_e32 vcc, s16, v34
	v_add_u32_e32 v63, 0x6a04, v55
	ds_write_b32 v55, v64 offset:27136
	ds_write2_b32 v63, v64, v64 offset1:1
	ds_write_b32 v55, v64 offset:27148
	v_cndmask_b32_e32 v1, v65, v0, vcc
	v_cndmask_b32_e32 v0, v54, v10, vcc
	flat_load_dwordx4 v[68:71], v[0:1]
	v_ashrrev_i32_e32 v21, 31, v20
	v_lshlrev_b64 v[10:11], 2, v[20:21]
	v_mov_b32_e32 v0, s13
	v_add_co_u32_e32 v1, vcc, s4, v10
	v_addc_co_u32_e32 v0, vcc, v0, v11, vcc
	v_add_co_u32_e32 v20, vcc, v1, v35
	v_add_u32_e32 v66, 8, v34
	v_addc_co_u32_e32 v0, vcc, 0, v0, vcc
	v_cmp_gt_i32_e32 vcc, s16, v66
	v_lshl_add_u32 v67, v34, 9, v35
	v_cndmask_b32_e32 v1, v65, v0, vcc
	v_cndmask_b32_e32 v0, v54, v20, vcc
	v_sub_f32_e32 v6, v6, v12
	v_cmp_ngt_f32_e32 vcc, s12, v6
	s_or_b32 s4, s20, 16
	s_mul_hi_i32 s5, s4, s10
	s_mul_i32 s4, s4, s10
	s_lshl_b64 s[4:5], s[4:5], 2
	s_add_u32 s4, s18, s4
	s_addc_u32 s5, s19, s5
	s_add_i32 s16, s16, -16
	ds_write_b32 v55, v64 offset:27136
	ds_write2_b32 v63, v64, v64 offset1:1
	s_waitcnt vmcnt(0) lgkmcnt(0)
	ds_write_b128 v67, v[68:71] offset:16384
	ds_write_b32 v55, v64 offset:27148
	flat_load_dwordx4 v[68:71], v[0:1]
	v_mul_f32_e32 v0, 0x3fb8aa3b, v6
	v_fma_f32 v1, v6, s8, -v0
	v_rndne_f32_e32 v20, v0
	v_fmac_f32_e32 v1, 0x32a5705f, v6
	v_sub_f32_e32 v0, v0, v20
	v_add_f32_e32 v0, v0, v1
	v_exp_f32_e32 v0, v0
	v_cvt_i32_f32_e32 v1, v20
	v_add_u32_e32 v20, 0x4000, v36
	v_ldexp_f32 v0, v0, v1
	v_cndmask_b32_e32 v0, 0, v0, vcc
	v_cmp_nlt_f32_e32 vcc, s9, v6
	v_cndmask_b32_e32 v0, v72, v0, vcc
	v_fmac_f32_e32 v16, v2, v0
	v_cvt_f16_f32_e32 v21, v0
	v_sub_f32_e32 v0, v7, v13
	v_mul_f32_e32 v1, 0x3fb8aa3b, v0
	v_fma_f32 v2, v0, s8, -v1
	v_rndne_f32_e32 v6, v1
	v_fmac_f32_e32 v2, 0x32a5705f, v0
	v_sub_f32_e32 v1, v1, v6
	v_add_f32_e32 v1, v1, v2
	v_exp_f32_e32 v1, v1
	v_cvt_i32_f32_e32 v2, v6
	v_cmp_ngt_f32_e32 vcc, s12, v0
	v_pk_mul_f16 v53, v21, v53 op_sel_hi:[0,1]
	v_pk_mul_f16 v51, v21, v51 op_sel_hi:[0,1]
	v_ldexp_f32 v1, v1, v2
	v_cndmask_b32_e32 v1, 0, v1, vcc
	v_cmp_nlt_f32_e32 vcc, s9, v0
	v_cndmask_b32_e32 v0, v72, v1, vcc
	v_sub_f32_e32 v1, v8, v14
	v_mul_f32_e32 v2, 0x3fb8aa3b, v1
	v_fma_f32 v6, v1, s8, -v2
	v_rndne_f32_e32 v7, v2
	v_fmac_f32_e32 v6, 0x32a5705f, v1
	v_sub_f32_e32 v2, v2, v7
	v_add_f32_e32 v2, v2, v6
	v_exp_f32_e32 v2, v2
	v_cvt_i32_f32_e32 v6, v7
	v_cvt_f16_f32_e32 v80, v0
	v_fmac_f32_e32 v17, v3, v0
	v_cmp_ngt_f32_e32 vcc, s12, v1
	v_ldexp_f32 v0, v2, v6
	v_cndmask_b32_e32 v0, 0, v0, vcc
	v_cmp_nlt_f32_e32 vcc, s9, v1
	v_sub_f32_e32 v1, v9, v15
	v_mul_f32_e32 v2, 0x3fb8aa3b, v1
	v_fma_f32 v3, v1, s8, -v2
	v_rndne_f32_e32 v6, v2
	v_fmac_f32_e32 v3, 0x32a5705f, v1
	v_sub_f32_e32 v2, v2, v6
	v_add_f32_e32 v2, v2, v3
	v_exp_f32_e32 v2, v2
	v_cvt_i32_f32_e32 v3, v6
	v_cndmask_b32_e32 v0, v72, v0, vcc
	v_pk_mul_f16 v8, v80, v49 op_sel_hi:[0,1]
	v_cvt_f16_f32_e32 v49, v0
	v_fmac_f32_e32 v18, v4, v0
	v_ldexp_f32 v0, v2, v3
	v_cmp_ngt_f32_e32 vcc, s12, v1
	v_cndmask_b32_e32 v0, 0, v0, vcc
	v_cmp_nlt_f32_e32 vcc, s9, v1
	v_cndmask_b32_e32 v0, v72, v0, vcc
	v_cvt_f16_f32_e32 v1, v0
	v_pk_mul_f16 v9, v80, v47 op_sel_hi:[0,1]
	v_fmac_f32_e32 v19, v5, v0
	v_pk_mul_f16 v52, v21, v52 op_sel_hi:[0,1]
	v_pk_mul_f16 v47, v1, v39 op_sel_hi:[0,1]
	v_lshl_add_u32 v39, v66, 9, v35
	v_pk_mul_f16 v45, v49, v45 op_sel_hi:[0,1]
	v_pk_mul_f16 v43, v49, v43 op_sel_hi:[0,1]
	;; [unrolled: 1-line block ×7, first 2 shown]
	s_waitcnt vmcnt(0) lgkmcnt(0)
	ds_write_b128 v39, v[68:71] offset:16384
	s_waitcnt lgkmcnt(0)
	s_barrier
	ds_read2_b64 v[4:7], v20 offset1:32
	ds_read_b128 v[68:71], v38 offset:25088
	ds_read_b128 v[72:75], v38 offset:25104
	;; [unrolled: 1-line block ×4, first 2 shown]
	v_add_co_u32_e32 v22, vcc, s4, v22
	s_waitcnt lgkmcnt(3)
	v_pk_mul_f16 v81, v4, v68 op_sel_hi:[1,0]
	v_pk_fma_f16 v21, v21, v50, v81 op_sel_hi:[0,1,1]
	v_pk_mul_f16 v50, v4, v68 op_sel:[0,1]
	v_pk_fma_f16 v46, v80, v46, v50 op_sel_hi:[0,1,1]
	v_pk_mul_f16 v50, v4, v69 op_sel_hi:[1,0]
	v_pk_fma_f16 v49, v49, v42, v50 op_sel_hi:[0,1,1]
	v_pk_fma_f16 v4, v4, v69, v41 op_sel:[0,1,0]
	v_pk_fma_f16 v50, v5, v68, v53 op_sel_hi:[1,0,1]
	v_pk_fma_f16 v8, v5, v68, v8 op_sel:[0,1,0]
	;; [unrolled: 2-line block ×3, first 2 shown]
	v_pk_fma_f16 v53, v6, v69, v43 op_sel_hi:[1,0,1]
	ds_read2_b64 v[40:43], v20 offset0:64 offset1:96
	v_pk_fma_f16 v51, v6, v68, v51 op_sel_hi:[1,0,1]
	v_pk_fma_f16 v48, v6, v68, v48 op_sel:[0,1,0]
	v_pk_fma_f16 v6, v6, v69, v47 op_sel:[0,1,0]
	v_pk_fma_f16 v47, v7, v68, v52 op_sel_hi:[1,0,1]
	v_pk_fma_f16 v9, v7, v68, v9 op_sel:[0,1,0]
	v_pk_fma_f16 v44, v7, v69, v44 op_sel_hi:[1,0,1]
	v_pk_fma_f16 v37, v7, v69, v37 op_sel:[0,1,0]
	s_waitcnt lgkmcnt(0)
	v_pk_fma_f16 v21, v40, v70, v21 op_sel_hi:[1,0,1]
	v_pk_fma_f16 v46, v40, v70, v46 op_sel:[0,1,0]
	v_pk_fma_f16 v49, v40, v71, v49 op_sel_hi:[1,0,1]
	v_pk_fma_f16 v40, v40, v71, v4 op_sel:[0,1,0]
	;; [unrolled: 2-line block ×6, first 2 shown]
	ds_read2_b64 v[4:7], v20 offset0:128 offset1:160
	v_pk_fma_f16 v47, v43, v70, v47 op_sel_hi:[1,0,1]
	v_pk_fma_f16 v9, v43, v70, v9 op_sel:[0,1,0]
	v_pk_fma_f16 v44, v43, v71, v44 op_sel_hi:[1,0,1]
	v_pk_fma_f16 v37, v43, v71, v37 op_sel:[0,1,0]
	s_waitcnt lgkmcnt(0)
	v_pk_fma_f16 v21, v4, v72, v21 op_sel_hi:[1,0,1]
	v_pk_fma_f16 v46, v4, v72, v46 op_sel:[0,1,0]
	v_pk_fma_f16 v49, v4, v73, v49 op_sel_hi:[1,0,1]
	v_pk_fma_f16 v4, v4, v73, v40 op_sel:[0,1,0]
	;; [unrolled: 2-line block ×6, first 2 shown]
	ds_read2_b64 v[40:43], v20 offset0:192 offset1:224
	v_pk_fma_f16 v47, v7, v72, v47 op_sel_hi:[1,0,1]
	v_pk_fma_f16 v9, v7, v72, v9 op_sel:[0,1,0]
	v_pk_fma_f16 v44, v7, v73, v44 op_sel_hi:[1,0,1]
	v_pk_fma_f16 v37, v7, v73, v37 op_sel:[0,1,0]
	s_waitcnt lgkmcnt(0)
	v_pk_fma_f16 v53, v40, v74, v21 op_sel_hi:[1,0,1]
	v_add_u32_e32 v21, 0x4800, v36
	v_pk_fma_f16 v46, v40, v74, v46 op_sel:[0,1,0]
	v_pk_fma_f16 v49, v40, v75, v49 op_sel_hi:[1,0,1]
	v_pk_fma_f16 v40, v40, v75, v4 op_sel:[0,1,0]
	v_pk_fma_f16 v50, v41, v74, v50 op_sel_hi:[1,0,1]
	v_pk_fma_f16 v8, v41, v74, v8 op_sel:[0,1,0]
	v_pk_fma_f16 v45, v41, v75, v45 op_sel_hi:[1,0,1]
	v_pk_fma_f16 v41, v41, v75, v5 op_sel:[0,1,0]
	v_pk_fma_f16 v51, v42, v74, v51 op_sel_hi:[1,0,1]
	v_pk_fma_f16 v48, v42, v74, v48 op_sel:[0,1,0]
	v_pk_fma_f16 v52, v42, v75, v52 op_sel_hi:[1,0,1]
	v_pk_fma_f16 v42, v42, v75, v6 op_sel:[0,1,0]
	ds_read2_b64 v[4:7], v21 offset1:32
	v_pk_fma_f16 v47, v43, v74, v47 op_sel_hi:[1,0,1]
	v_pk_fma_f16 v9, v43, v74, v9 op_sel:[0,1,0]
	v_pk_fma_f16 v44, v43, v75, v44 op_sel_hi:[1,0,1]
	v_pk_fma_f16 v37, v43, v75, v37 op_sel:[0,1,0]
	s_waitcnt lgkmcnt(0)
	v_pk_fma_f16 v53, v4, v76, v53 op_sel_hi:[1,0,1]
	v_pk_fma_f16 v46, v4, v76, v46 op_sel:[0,1,0]
	v_pk_fma_f16 v49, v4, v77, v49 op_sel_hi:[1,0,1]
	v_pk_fma_f16 v4, v4, v77, v40 op_sel:[0,1,0]
	;; [unrolled: 2-line block ×6, first 2 shown]
	ds_read2_b64 v[40:43], v21 offset0:64 offset1:96
	v_pk_fma_f16 v9, v7, v76, v9 op_sel:[0,1,0]
	v_pk_fma_f16 v68, v7, v76, v47 op_sel_hi:[1,0,1]
	v_pk_fma_f16 v69, v7, v77, v44 op_sel_hi:[1,0,1]
	v_pk_fma_f16 v7, v7, v77, v37 op_sel:[0,1,0]
	s_waitcnt lgkmcnt(0)
	v_pk_fma_f16 v115, v41, v78, v8 op_sel:[0,1,0]
	v_pk_fma_f16 v122, v43, v78, v9 op_sel:[0,1,0]
	v_add_u32_e32 v9, 0x5000, v36
	v_add_u32_e32 v8, 0x5800, v36
	v_mov_b32_e32 v36, s5
	v_addc_co_u32_e32 v23, vcc, v36, v23, vcc
	v_add_co_u32_e32 v22, vcc, v22, v35
	v_addc_co_u32_e32 v23, vcc, 0, v23, vcc
	v_cmp_gt_i32_e32 vcc, s16, v34
	v_pk_fma_f16 v37, v40, v78, v53 op_sel_hi:[1,0,1]
	v_pk_fma_f16 v53, v40, v78, v46 op_sel:[0,1,0]
	v_pk_fma_f16 v112, v40, v79, v49 op_sel_hi:[1,0,1]
	v_pk_fma_f16 v113, v40, v79, v4 op_sel:[0,1,0]
	v_pk_fma_f16 v114, v41, v78, v50 op_sel_hi:[1,0,1]
	v_pk_fma_f16 v116, v41, v79, v45 op_sel_hi:[1,0,1]
	v_pk_fma_f16 v117, v41, v79, v5 op_sel:[0,1,0]
	v_pk_fma_f16 v118, v42, v78, v51 op_sel_hi:[1,0,1]
	v_pk_fma_f16 v119, v42, v78, v48 op_sel:[0,1,0]
	;; [unrolled: 2-line block ×3, first 2 shown]
	ds_read2_b64 v[44:47], v21 offset0:128 offset1:160
	v_pk_fma_f16 v121, v43, v78, v68 op_sel_hi:[1,0,1]
	v_pk_fma_f16 v123, v43, v79, v69 op_sel_hi:[1,0,1]
	v_pk_fma_f16 v124, v43, v79, v7 op_sel:[0,1,0]
	ds_read2_b64 v[40:43], v21 offset0:192 offset1:224
	ds_read2_b64 v[48:51], v9 offset1:32
	ds_read2_b64 v[68:71], v9 offset0:64 offset1:96
	ds_read2_b64 v[72:75], v9 offset0:128 offset1:160
	ds_read_b128 v[76:79], v38 offset:25152
	ds_read_b128 v[4:7], v38 offset:25168
	ds_read2_b64 v[80:83], v9 offset0:192 offset1:224
	ds_read2_b64 v[84:87], v8 offset1:32
	ds_read2_b64 v[88:91], v8 offset0:64 offset1:96
	ds_read2_b64 v[92:95], v8 offset0:128 offset1:160
	ds_read_b128 v[96:99], v38 offset:25184
	ds_read_b128 v[100:103], v38 offset:25200
	ds_read2_b64 v[104:107], v8 offset0:192 offset1:224
	s_waitcnt lgkmcnt(0)
	s_barrier
	ds_write_b32 v55, v64 offset:27136
	ds_write2_b32 v63, v64, v64 offset1:1
	ds_write_b32 v55, v64 offset:27148
	v_cndmask_b32_e32 v23, v65, v23, vcc
	v_cndmask_b32_e32 v22, v54, v22, vcc
	flat_load_dwordx4 v[108:111], v[22:23]
	v_pk_fma_f16 v37, v44, v0, v37 op_sel_hi:[1,0,1]
	v_pk_fma_f16 v22, v44, v0, v53 op_sel:[0,1,0]
	v_pk_fma_f16 v23, v44, v1, v112 op_sel_hi:[1,0,1]
	v_pk_fma_f16 v34, v44, v1, v113 op_sel:[0,1,0]
	;; [unrolled: 2-line block ×40, first 2 shown]
	v_mov_b32_e32 v0, s5
	v_add_co_u32_e32 v1, vcc, s4, v10
	v_addc_co_u32_e32 v0, vcc, v0, v11, vcc
	v_add_co_u32_e32 v2, vcc, v1, v35
	v_addc_co_u32_e32 v0, vcc, 0, v0, vcc
	v_cmp_gt_i32_e32 vcc, s16, v66
	s_waitcnt vmcnt(0) lgkmcnt(0)
	ds_write_b128 v67, v[108:111] offset:16384
	ds_write_b32 v55, v64 offset:27136
	ds_write2_b32 v63, v64, v64 offset1:1
	ds_write_b32 v55, v64 offset:27148
	v_cndmask_b32_e32 v1, v65, v0, vcc
	v_cndmask_b32_e32 v0, v54, v2, vcc
	flat_load_dwordx4 v[0:3], v[0:1]
	v_pk_fma_f16 v10, v80, v6, v47 op_sel_hi:[1,0,1]
	v_pk_fma_f16 v11, v80, v6, v22 op_sel:[0,1,0]
	v_pk_fma_f16 v22, v80, v7, v23 op_sel_hi:[1,0,1]
	v_pk_fma_f16 v23, v80, v7, v34 op_sel:[0,1,0]
	;; [unrolled: 2-line block ×6, first 2 shown]
	v_pk_fma_f16 v6, v83, v7, v48 op_sel_hi:[1,0,1]
	v_pk_fma_f16 v43, v82, v7, v45 op_sel_hi:[1,0,1]
	v_pk_fma_f16 v42, v82, v7, v42 op_sel:[0,1,0]
	v_pk_fma_f16 v5, v83, v7, v5 op_sel:[0,1,0]
	v_pk_fma_f16 v7, v84, v96, v10 op_sel_hi:[1,0,1]
	v_pk_fma_f16 v4, v87, v96, v4 op_sel:[0,1,0]
	v_pk_fma_f16 v6, v87, v97, v6 op_sel_hi:[1,0,1]
	;; [unrolled: 2-line block ×11, first 2 shown]
	v_pk_fma_f16 v43, v87, v96, v44 op_sel_hi:[1,0,1]
	v_pk_fma_f16 v44, v95, v101, v5 op_sel:[0,1,0]
	v_pk_fma_f16 v48, v104, v102, v7 op_sel_hi:[1,0,1]
	v_pk_fma_f16 v64, v107, v102, v4 op_sel:[0,1,0]
	;; [unrolled: 2-line block ×3, first 2 shown]
	v_pk_fma_f16 v10, v88, v98, v10 op_sel:[0,1,0]
	v_pk_fma_f16 v11, v88, v99, v11 op_sel_hi:[1,0,1]
	v_pk_fma_f16 v22, v88, v99, v22 op_sel:[0,1,0]
	v_pk_fma_f16 v23, v89, v98, v23 op_sel_hi:[1,0,1]
	;; [unrolled: 2-line block ×18, first 2 shown]
	s_waitcnt vmcnt(0) lgkmcnt(0)
	ds_write_b128 v39, v[0:3] offset:16384
	s_waitcnt lgkmcnt(0)
	s_barrier
	ds_read2_b64 v[0:3], v20 offset1:32
	ds_read_b128 v[4:7], v38 offset:25216
	v_pk_fma_f16 v39, v107, v103, v44 op_sel:[0,1,0]
	ds_read_b128 v[34:37], v38 offset:25232
	ds_read_b128 v[40:43], v38 offset:25248
	;; [unrolled: 1-line block ×3, first 2 shown]
	s_waitcnt lgkmcnt(3)
	v_pk_fma_f16 v66, v0, v4, v48 op_sel_hi:[1,0,1]
	v_pk_fma_f16 v10, v0, v4, v10 op_sel:[0,1,0]
	v_pk_fma_f16 v11, v0, v5, v11 op_sel_hi:[1,0,1]
	v_pk_fma_f16 v0, v0, v5, v22 op_sel:[0,1,0]
	;; [unrolled: 2-line block ×4, first 2 shown]
	ds_read2_b64 v[48:51], v20 offset0:64 offset1:96
	v_pk_fma_f16 v52, v2, v4, v52 op_sel_hi:[1,0,1]
	v_pk_fma_f16 v53, v2, v4, v53 op_sel:[0,1,0]
	v_pk_fma_f16 v54, v2, v5, v54 op_sel_hi:[1,0,1]
	v_pk_fma_f16 v2, v2, v5, v55 op_sel:[0,1,0]
	;; [unrolled: 2-line block ×4, first 2 shown]
	s_waitcnt lgkmcnt(0)
	v_pk_fma_f16 v39, v48, v6, v66 op_sel_hi:[1,0,1]
	v_pk_fma_f16 v10, v48, v6, v10 op_sel:[0,1,0]
	v_pk_fma_f16 v11, v48, v7, v11 op_sel_hi:[1,0,1]
	v_pk_fma_f16 v48, v48, v7, v0 op_sel:[0,1,0]
	v_pk_fma_f16 v22, v49, v6, v22 op_sel_hi:[1,0,1]
	v_pk_fma_f16 v23, v49, v6, v23 op_sel:[0,1,0]
	v_pk_fma_f16 v64, v49, v7, v67 op_sel_hi:[1,0,1]
	v_pk_fma_f16 v49, v49, v7, v1 op_sel:[0,1,0]
	v_pk_fma_f16 v52, v50, v6, v52 op_sel_hi:[1,0,1]
	v_pk_fma_f16 v53, v50, v6, v53 op_sel:[0,1,0]
	v_pk_fma_f16 v54, v50, v7, v54 op_sel_hi:[1,0,1]
	v_pk_fma_f16 v50, v50, v7, v2 op_sel:[0,1,0]
	ds_read2_b64 v[0:3], v20 offset0:128 offset1:160
	v_pk_fma_f16 v55, v51, v6, v55 op_sel_hi:[1,0,1]
	v_pk_fma_f16 v65, v51, v6, v4 op_sel:[0,1,0]
	v_pk_fma_f16 v63, v51, v7, v63 op_sel_hi:[1,0,1]
	v_pk_fma_f16 v51, v51, v7, v5 op_sel:[0,1,0]
	ds_read2_b64 v[4:7], v20 offset0:192 offset1:224
	s_waitcnt lgkmcnt(1)
	v_pk_fma_f16 v39, v0, v34, v39 op_sel_hi:[1,0,1]
	v_pk_fma_f16 v10, v0, v34, v10 op_sel:[0,1,0]
	v_pk_fma_f16 v11, v0, v35, v11 op_sel_hi:[1,0,1]
	v_pk_fma_f16 v0, v0, v35, v48 op_sel:[0,1,0]
	;; [unrolled: 2-line block ×8, first 2 shown]
	s_waitcnt lgkmcnt(0)
	v_pk_fma_f16 v39, v4, v36, v39 op_sel_hi:[1,0,1]
	v_pk_fma_f16 v10, v4, v36, v10 op_sel:[0,1,0]
	v_pk_fma_f16 v11, v4, v37, v11 op_sel_hi:[1,0,1]
	v_pk_fma_f16 v4, v4, v37, v0 op_sel:[0,1,0]
	;; [unrolled: 2-line block ×6, first 2 shown]
	ds_read2_b64 v[0:3], v21 offset1:32
	v_pk_fma_f16 v20, v7, v36, v20 op_sel_hi:[1,0,1]
	v_pk_fma_f16 v34, v7, v36, v34 op_sel:[0,1,0]
	v_pk_fma_f16 v36, v7, v37, v50 op_sel_hi:[1,0,1]
	v_pk_fma_f16 v35, v7, v37, v35 op_sel:[0,1,0]
	s_waitcnt lgkmcnt(0)
	v_pk_fma_f16 v37, v0, v40, v39 op_sel_hi:[1,0,1]
	v_pk_fma_f16 v10, v0, v40, v10 op_sel:[0,1,0]
	v_pk_fma_f16 v11, v0, v41, v11 op_sel_hi:[1,0,1]
	v_pk_fma_f16 v0, v0, v41, v4 op_sel:[0,1,0]
	v_pk_fma_f16 v22, v1, v40, v22 op_sel_hi:[1,0,1]
	v_pk_fma_f16 v23, v1, v40, v23 op_sel:[0,1,0]
	v_pk_fma_f16 v39, v1, v41, v48 op_sel_hi:[1,0,1]
	v_pk_fma_f16 v1, v1, v41, v5 op_sel:[0,1,0]
	v_pk_fma_f16 v48, v2, v40, v49 op_sel_hi:[1,0,1]
	v_pk_fma_f16 v49, v2, v40, v51 op_sel:[0,1,0]
	v_pk_fma_f16 v50, v2, v41, v52 op_sel_hi:[1,0,1]
	v_pk_fma_f16 v2, v2, v41, v6 op_sel:[0,1,0]
	ds_read2_b64 v[4:7], v21 offset0:64 offset1:96
	v_pk_fma_f16 v20, v3, v40, v20 op_sel_hi:[1,0,1]
	v_pk_fma_f16 v34, v3, v40, v34 op_sel:[0,1,0]
	v_pk_fma_f16 v36, v3, v41, v36 op_sel_hi:[1,0,1]
	v_pk_fma_f16 v35, v3, v41, v35 op_sel:[0,1,0]
	s_waitcnt lgkmcnt(0)
	v_pk_fma_f16 v37, v4, v42, v37 op_sel_hi:[1,0,1]
	v_pk_fma_f16 v10, v4, v42, v10 op_sel:[0,1,0]
	v_pk_fma_f16 v11, v4, v43, v11 op_sel_hi:[1,0,1]
	v_pk_fma_f16 v4, v4, v43, v0 op_sel:[0,1,0]
	v_pk_fma_f16 v22, v5, v42, v22 op_sel_hi:[1,0,1]
	v_pk_fma_f16 v23, v5, v42, v23 op_sel:[0,1,0]
	v_pk_fma_f16 v39, v5, v43, v39 op_sel_hi:[1,0,1]
	v_pk_fma_f16 v5, v5, v43, v1 op_sel:[0,1,0]
	v_pk_fma_f16 v40, v6, v42, v48 op_sel_hi:[1,0,1]
	v_pk_fma_f16 v41, v6, v42, v49 op_sel:[0,1,0]
	v_pk_fma_f16 v48, v6, v43, v50 op_sel_hi:[1,0,1]
	v_pk_fma_f16 v6, v6, v43, v2 op_sel:[0,1,0]
	ds_read2_b64 v[0:3], v21 offset0:128 offset1:160
	;; [unrolled: 18-line block ×3, first 2 shown]
	v_pk_fma_f16 v20, v3, v44, v20 op_sel_hi:[1,0,1]
	v_pk_fma_f16 v34, v3, v44, v34 op_sel:[0,1,0]
	v_pk_fma_f16 v36, v3, v45, v36 op_sel_hi:[1,0,1]
	v_pk_fma_f16 v35, v3, v45, v35 op_sel:[0,1,0]
	s_waitcnt lgkmcnt(0)
	v_pk_fma_f16 v43, v4, v47, v0 op_sel:[0,1,0]
	v_pk_fma_f16 v44, v5, v46, v22 op_sel_hi:[1,0,1]
	v_pk_fma_f16 v45, v5, v46, v23 op_sel:[0,1,0]
	v_pk_fma_f16 v48, v5, v47, v1 op_sel:[0,1,0]
	;; [unrolled: 1-line block ×3, first 2 shown]
	v_pk_fma_f16 v50, v7, v46, v20 op_sel_hi:[1,0,1]
	ds_read2_b64 v[0:3], v9 offset1:32
	ds_read_b128 v[20:23], v38 offset:25280
	v_pk_fma_f16 v37, v4, v46, v37 op_sel_hi:[1,0,1]
	v_pk_fma_f16 v10, v4, v46, v10 op_sel:[0,1,0]
	v_pk_fma_f16 v11, v4, v47, v11 op_sel_hi:[1,0,1]
	v_pk_fma_f16 v39, v5, v47, v39 op_sel_hi:[1,0,1]
	;; [unrolled: 1-line block ×3, first 2 shown]
	v_pk_fma_f16 v41, v6, v46, v41 op_sel:[0,1,0]
	v_pk_fma_f16 v42, v6, v47, v42 op_sel_hi:[1,0,1]
	v_pk_fma_f16 v46, v7, v46, v34 op_sel:[0,1,0]
	v_pk_fma_f16 v51, v7, v47, v36 op_sel_hi:[1,0,1]
	v_pk_fma_f16 v47, v7, v47, v35 op_sel:[0,1,0]
	s_waitcnt lgkmcnt(0)
	v_pk_fma_f16 v52, v0, v20, v37 op_sel_hi:[1,0,1]
	ds_read2_b64 v[34:37], v9 offset0:64 offset1:96
	v_pk_fma_f16 v10, v0, v20, v10 op_sel:[0,1,0]
	v_pk_fma_f16 v11, v0, v21, v11 op_sel_hi:[1,0,1]
	v_pk_fma_f16 v0, v0, v21, v43 op_sel:[0,1,0]
	v_pk_fma_f16 v43, v1, v20, v44 op_sel_hi:[1,0,1]
	;; [unrolled: 2-line block ×5, first 2 shown]
	v_pk_fma_f16 v2, v2, v21, v49 op_sel:[0,1,0]
	ds_read_b128 v[4:7], v38 offset:25296
	v_pk_fma_f16 v45, v3, v20, v50 op_sel_hi:[1,0,1]
	v_pk_fma_f16 v20, v3, v20, v46 op_sel:[0,1,0]
	v_pk_fma_f16 v46, v3, v21, v51 op_sel_hi:[1,0,1]
	v_pk_fma_f16 v21, v3, v21, v47 op_sel:[0,1,0]
	s_waitcnt lgkmcnt(1)
	v_pk_fma_f16 v47, v34, v22, v52 op_sel_hi:[1,0,1]
	v_pk_fma_f16 v10, v34, v22, v10 op_sel:[0,1,0]
	v_pk_fma_f16 v11, v34, v23, v11 op_sel_hi:[1,0,1]
	v_pk_fma_f16 v34, v34, v23, v0 op_sel:[0,1,0]
	;; [unrolled: 2-line block ×6, first 2 shown]
	ds_read2_b64 v[0:3], v9 offset0:128 offset1:160
	v_pk_fma_f16 v45, v37, v22, v45 op_sel_hi:[1,0,1]
	v_pk_fma_f16 v48, v37, v22, v20 op_sel:[0,1,0]
	v_pk_fma_f16 v46, v37, v23, v46 op_sel_hi:[1,0,1]
	v_pk_fma_f16 v37, v37, v23, v21 op_sel:[0,1,0]
	ds_read2_b64 v[20:23], v9 offset0:192 offset1:224
	s_waitcnt lgkmcnt(1)
	v_pk_fma_f16 v47, v0, v4, v47 op_sel_hi:[1,0,1]
	v_pk_fma_f16 v10, v0, v4, v10 op_sel:[0,1,0]
	v_pk_fma_f16 v11, v0, v5, v11 op_sel_hi:[1,0,1]
	v_pk_fma_f16 v0, v0, v5, v34 op_sel:[0,1,0]
	;; [unrolled: 2-line block ×8, first 2 shown]
	s_waitcnt lgkmcnt(0)
	v_pk_fma_f16 v44, v20, v6, v47 op_sel_hi:[1,0,1]
	v_pk_fma_f16 v10, v20, v6, v10 op_sel:[0,1,0]
	v_pk_fma_f16 v11, v20, v7, v11 op_sel_hi:[1,0,1]
	v_pk_fma_f16 v20, v20, v7, v0 op_sel:[0,1,0]
	;; [unrolled: 2-line block ×6, first 2 shown]
	ds_read2_b64 v[0:3], v8 offset1:32
	ds_read_b128 v[34:37], v38 offset:25312
	v_pk_fma_f16 v9, v23, v6, v9 op_sel_hi:[1,0,1]
	v_pk_fma_f16 v47, v23, v6, v4 op_sel:[0,1,0]
	v_pk_fma_f16 v42, v23, v7, v42 op_sel_hi:[1,0,1]
	v_pk_fma_f16 v48, v23, v7, v5 op_sel:[0,1,0]
	ds_read_b128 v[4:7], v38 offset:25328
	s_waitcnt lgkmcnt(1)
	v_pk_fma_f16 v38, v0, v34, v44 op_sel_hi:[1,0,1]
	v_pk_fma_f16 v10, v0, v34, v10 op_sel:[0,1,0]
	v_pk_fma_f16 v11, v0, v35, v11 op_sel_hi:[1,0,1]
	v_pk_fma_f16 v0, v0, v35, v20 op_sel:[0,1,0]
	;; [unrolled: 2-line block ×6, first 2 shown]
	ds_read2_b64 v[20:23], v8 offset0:64 offset1:96
	v_pk_fma_f16 v9, v3, v34, v9 op_sel_hi:[1,0,1]
	v_pk_fma_f16 v34, v3, v34, v47 op_sel:[0,1,0]
	v_pk_fma_f16 v42, v3, v35, v42 op_sel_hi:[1,0,1]
	v_pk_fma_f16 v35, v3, v35, v48 op_sel:[0,1,0]
	s_waitcnt lgkmcnt(0)
	v_pk_fma_f16 v38, v20, v36, v38 op_sel_hi:[1,0,1]
	v_pk_fma_f16 v10, v20, v36, v10 op_sel:[0,1,0]
	v_pk_fma_f16 v11, v20, v37, v11 op_sel_hi:[1,0,1]
	v_pk_fma_f16 v20, v20, v37, v0 op_sel:[0,1,0]
	v_pk_fma_f16 v44, v21, v36, v44 op_sel_hi:[1,0,1]
	v_pk_fma_f16 v43, v21, v36, v43 op_sel:[0,1,0]
	v_pk_fma_f16 v39, v21, v37, v39 op_sel_hi:[1,0,1]
	v_pk_fma_f16 v21, v21, v37, v1 op_sel:[0,1,0]
	v_pk_fma_f16 v45, v22, v36, v45 op_sel_hi:[1,0,1]
	v_pk_fma_f16 v40, v22, v36, v40 op_sel:[0,1,0]
	v_pk_fma_f16 v41, v22, v37, v41 op_sel_hi:[1,0,1]
	v_pk_fma_f16 v22, v22, v37, v2 op_sel:[0,1,0]
	ds_read2_b64 v[0:3], v8 offset0:128 offset1:160
	v_pk_fma_f16 v46, v23, v36, v9 op_sel_hi:[1,0,1]
	v_pk_fma_f16 v34, v23, v36, v34 op_sel:[0,1,0]
	v_pk_fma_f16 v36, v23, v37, v42 op_sel_hi:[1,0,1]
	v_pk_fma_f16 v23, v23, v37, v35 op_sel:[0,1,0]
	s_waitcnt lgkmcnt(0)
	v_pk_fma_f16 v35, v0, v4, v38 op_sel_hi:[1,0,1]
	v_pk_fma_f16 v37, v0, v4, v10 op_sel:[0,1,0]
	v_pk_fma_f16 v38, v0, v5, v11 op_sel_hi:[1,0,1]
	ds_read2_b64 v[8:11], v8 offset0:192 offset1:224
	v_pk_fma_f16 v0, v0, v5, v20 op_sel:[0,1,0]
	v_pk_fma_f16 v20, v1, v4, v44 op_sel_hi:[1,0,1]
	v_pk_fma_f16 v43, v1, v4, v43 op_sel:[0,1,0]
	v_pk_fma_f16 v39, v1, v5, v39 op_sel_hi:[1,0,1]
	;; [unrolled: 2-line block ×6, first 2 shown]
	v_pk_fma_f16 v3, v3, v5, v23 op_sel:[0,1,0]
	s_waitcnt lgkmcnt(0)
	v_pk_fma_f16 v50, v8, v6, v35 op_sel_hi:[1,0,1]
	v_pk_fma_f16 v46, v8, v6, v37 op_sel:[0,1,0]
	v_pk_fma_f16 v42, v8, v7, v38 op_sel_hi:[1,0,1]
	v_pk_fma_f16 v41, v8, v7, v0 op_sel:[0,1,0]
	;; [unrolled: 2-line block ×8, first 2 shown]
	v_pk_mov_b32 v[6:7], v[12:13], v[12:13] op_sel:[0,1]
	v_pk_mov_b32 v[2:3], v[16:17], v[16:17] op_sel:[0,1]
	;; [unrolled: 1-line block ×4, first 2 shown]
	s_barrier
.LBB70_79:
	v_cmp_lt_i32_e32 vcc, v60, v57
	v_cndmask_b32_e32 v0, v56, v60, vcc
	v_cmp_lt_i32_e32 vcc, v61, v57
	v_lshlrev_b32_e32 v11, 2, v0
	v_cndmask_b32_e32 v0, v56, v61, vcc
	v_cmp_lt_i32_e32 vcc, v62, v57
	v_lshlrev_b32_e32 v12, 2, v0
	v_cndmask_b32_e32 v0, v56, v62, vcc
	v_lshlrev_b32_e32 v13, 2, v0
	ds_bpermute_b32 v0, v11, v2
	ds_bpermute_b32 v1, v11, v3
	;; [unrolled: 1-line block ×4, first 2 shown]
	v_cmp_lt_i32_e32 vcc, v59, v57
	v_cndmask_b32_e32 v14, v56, v59, vcc
	s_waitcnt lgkmcnt(2)
	v_pk_add_f32 v[0:1], v[2:3], v[0:1]
	ds_bpermute_b32 v2, v12, v0
	s_waitcnt lgkmcnt(1)
	v_pk_add_f32 v[4:5], v[4:5], v[10:11]
	ds_bpermute_b32 v3, v12, v1
	ds_bpermute_b32 v10, v12, v4
	;; [unrolled: 1-line block ×3, first 2 shown]
	v_lshlrev_b32_e32 v12, 2, v14
	v_cmp_lt_i32_e32 vcc, v58, v57
	s_waitcnt lgkmcnt(2)
	v_pk_add_f32 v[0:1], v[0:1], v[2:3]
	ds_bpermute_b32 v2, v13, v0
	s_waitcnt lgkmcnt(1)
	v_pk_add_f32 v[4:5], v[4:5], v[10:11]
	ds_bpermute_b32 v3, v13, v1
	ds_bpermute_b32 v10, v13, v4
	;; [unrolled: 1-line block ×3, first 2 shown]
	v_cndmask_b32_e32 v13, v56, v58, vcc
	s_cmp_eq_u64 s[24:25], 0
	s_waitcnt lgkmcnt(2)
	v_pk_add_f32 v[0:1], v[0:1], v[2:3]
	ds_bpermute_b32 v2, v12, v0
	s_waitcnt lgkmcnt(1)
	v_pk_add_f32 v[4:5], v[4:5], v[10:11]
	ds_bpermute_b32 v3, v12, v1
	ds_bpermute_b32 v10, v12, v4
	;; [unrolled: 1-line block ×3, first 2 shown]
	v_lshlrev_b32_e32 v12, 2, v13
	s_cselect_b64 s[4:5], -1, 0
	s_waitcnt lgkmcnt(2)
	v_pk_add_f32 v[0:1], v[0:1], v[2:3]
	ds_bpermute_b32 v2, v12, v0
	s_waitcnt lgkmcnt(1)
	v_pk_add_f32 v[4:5], v[4:5], v[10:11]
	ds_bpermute_b32 v3, v12, v1
	ds_bpermute_b32 v10, v12, v4
	;; [unrolled: 1-line block ×3, first 2 shown]
	s_cmp_lg_u32 s11, 0
	s_cselect_b64 s[8:9], -1, 0
	s_or_b64 s[4:5], s[8:9], s[4:5]
	s_waitcnt lgkmcnt(2)
	v_pk_add_f32 v[2:3], v[0:1], v[2:3]
	s_waitcnt lgkmcnt(0)
	v_pk_add_f32 v[0:1], v[4:5], v[10:11]
	s_and_b64 vcc, exec, s[4:5]
	s_cbranch_vccnz .LBB70_81
; %bb.80:
	s_lshl_b64 s[4:5], s[34:35], 2
	s_add_u32 s4, s24, s4
	s_addc_u32 s5, s25, s5
	v_mov_b32_e32 v4, 0
	global_load_dword v14, v4, s[4:5]
	v_max_f32_e32 v4, v7, v7
	v_max_f32_e32 v5, v6, v6
	;; [unrolled: 1-line block ×4, first 2 shown]
	s_mov_b32 s8, 0x3fb8aa3b
	s_mov_b32 s4, 0xc2ce8ed0
	;; [unrolled: 1-line block ×3, first 2 shown]
	v_mov_b32_e32 v16, 0x7f800000
	s_waitcnt vmcnt(0)
	v_max_f32_e32 v17, v14, v14
	v_max_f32_e32 v11, v4, v17
	;; [unrolled: 1-line block ×5, first 2 shown]
	v_pk_add_f32 v[4:5], v[6:7], v[10:11] neg_lo:[0,1] neg_hi:[0,1]
	v_pk_add_f32 v[6:7], v[8:9], v[12:13] neg_lo:[0,1] neg_hi:[0,1]
	v_mul_f32_e32 v9, 0x3fb8aa3b, v5
	v_mul_f32_e32 v15, 0x3fb8aa3b, v4
	v_fma_f32 v21, v5, s8, -v9
	v_rndne_f32_e32 v22, v9
	v_mul_f32_e32 v18, 0x3fb8aa3b, v7
	v_fma_f32 v23, v4, s8, -v15
	v_rndne_f32_e32 v34, v15
	v_fmac_f32_e32 v21, 0x32a5705f, v5
	v_sub_f32_e32 v9, v9, v22
	v_mul_f32_e32 v19, 0x3fb8aa3b, v6
	v_fma_f32 v35, v7, s8, -v18
	v_rndne_f32_e32 v36, v18
	v_fmac_f32_e32 v23, 0x32a5705f, v4
	v_sub_f32_e32 v15, v15, v34
	v_add_f32_e32 v9, v9, v21
	v_fma_f32 v38, v6, s8, -v19
	v_rndne_f32_e32 v54, v19
	v_cvt_i32_f32_e32 v22, v22
	v_fmac_f32_e32 v35, 0x32a5705f, v7
	v_sub_f32_e32 v18, v18, v36
	v_add_f32_e32 v15, v15, v23
	v_exp_f32_e32 v9, v9
	v_cvt_i32_f32_e32 v34, v34
	v_fmac_f32_e32 v38, 0x32a5705f, v6
	v_sub_f32_e32 v19, v19, v54
	v_add_f32_e32 v18, v18, v35
	v_exp_f32_e32 v15, v15
	v_cvt_i32_f32_e32 v36, v36
	v_add_f32_e32 v19, v19, v38
	v_exp_f32_e32 v18, v18
	v_cvt_i32_f32_e32 v54, v54
	v_exp_f32_e32 v19, v19
	v_ldexp_f32 v9, v9, v22
	v_cmp_ngt_f32_e32 vcc, s4, v5
	v_ldexp_f32 v15, v15, v34
	v_cndmask_b32_e32 v9, 0, v9, vcc
	v_cmp_ngt_f32_e32 vcc, s4, v4
	v_ldexp_f32 v18, v18, v36
	v_cndmask_b32_e32 v15, 0, v15, vcc
	v_cmp_ngt_f32_e32 vcc, s4, v7
	v_ldexp_f32 v19, v19, v54
	v_cndmask_b32_e32 v18, 0, v18, vcc
	v_cmp_ngt_f32_e32 vcc, s4, v6
	v_cndmask_b32_e32 v19, 0, v19, vcc
	v_cmp_nlt_f32_e32 vcc, s5, v5
	v_sub_f32_e32 v8, v14, v11
	v_cndmask_b32_e32 v5, v16, v9, vcc
	v_cmp_nlt_f32_e32 vcc, s5, v4
	v_mul_f32_e32 v20, 0x3fb8aa3b, v8
	v_cndmask_b32_e32 v4, v16, v15, vcc
	v_cmp_nlt_f32_e32 vcc, s5, v7
	v_fma_f32 v55, v8, s8, -v20
	v_rndne_f32_e32 v56, v20
	v_cndmask_b32_e32 v7, v16, v18, vcc
	v_cmp_nlt_f32_e32 vcc, s5, v6
	v_fmac_f32_e32 v55, 0x32a5705f, v8
	v_sub_f32_e32 v20, v20, v56
	v_cndmask_b32_e32 v6, v16, v19, vcc
	v_cvt_f16_f32_e32 v15, v5
	v_add_f32_e32 v20, v20, v55
	v_cvt_f16_f32_e32 v18, v6
	v_cvt_i32_f32_e32 v56, v56
	v_exp_f32_e32 v20, v20
	v_cvt_f16_f32_e32 v9, v4
	v_cvt_f16_f32_e32 v19, v7
	v_sub_f32_e32 v17, v14, v12
	v_pk_mul_f16 v46, v15, v46 op_sel_hi:[0,1]
	v_pk_mul_f16 v49, v15, v49 op_sel_hi:[0,1]
	;; [unrolled: 1-line block ×4, first 2 shown]
	v_sub_f32_e32 v15, v14, v13
	v_sub_f32_e32 v14, v14, v10
	v_pk_mul_f16 v42, v18, v42 op_sel_hi:[0,1]
	v_pk_mul_f16 v45, v18, v45 op_sel_hi:[0,1]
	;; [unrolled: 1-line block ×4, first 2 shown]
	v_mul_f32_e32 v18, 0x3fb8aa3b, v14
	v_pk_mul_f16 v50, v9, v50 op_sel_hi:[0,1]
	v_pk_mul_f16 v53, v9, v53 op_sel_hi:[0,1]
	v_pk_mul_f16 v51, v9, v51 op_sel_hi:[0,1]
	v_pk_mul_f16 v52, v9, v52 op_sel_hi:[0,1]
	v_pk_mul_f16 v41, v19, v41 op_sel_hi:[0,1]
	v_pk_mul_f16 v40, v19, v40 op_sel_hi:[0,1]
	v_pk_mul_f16 v39, v19, v39 op_sel_hi:[0,1]
	v_pk_mul_f16 v37, v19, v37 op_sel_hi:[0,1]
	v_ldexp_f32 v9, v20, v56
	v_fma_f32 v19, v14, s8, -v18
	v_rndne_f32_e32 v20, v18
	v_fmac_f32_e32 v19, 0x32a5705f, v14
	v_sub_f32_e32 v18, v18, v20
	v_add_f32_e32 v18, v18, v19
	v_exp_f32_e32 v18, v18
	v_cvt_i32_f32_e32 v19, v20
	v_cmp_ngt_f32_e32 vcc, s4, v8
	v_cndmask_b32_e32 v9, 0, v9, vcc
	v_cmp_nlt_f32_e32 vcc, s5, v8
	v_ldexp_f32 v8, v18, v19
	v_mul_f32_e32 v18, 0x3fb8aa3b, v15
	v_fma_f32 v19, v15, s8, -v18
	v_rndne_f32_e32 v20, v18
	v_fmac_f32_e32 v19, 0x32a5705f, v15
	v_sub_f32_e32 v18, v18, v20
	v_add_f32_e32 v18, v18, v19
	v_exp_f32_e32 v18, v18
	v_cvt_i32_f32_e32 v19, v20
	v_cndmask_b32_e32 v9, v16, v9, vcc
	v_cmp_ngt_f32_e32 vcc, s4, v14
	v_cndmask_b32_e32 v8, 0, v8, vcc
	v_cmp_nlt_f32_e32 vcc, s5, v14
	v_ldexp_f32 v14, v18, v19
	v_mul_f32_e32 v18, 0x3fb8aa3b, v17
	v_fma_f32 v19, v17, s8, -v18
	v_rndne_f32_e32 v20, v18
	v_fmac_f32_e32 v19, 0x32a5705f, v17
	v_sub_f32_e32 v18, v18, v20
	v_add_f32_e32 v18, v18, v19
	v_exp_f32_e32 v18, v18
	v_cvt_i32_f32_e32 v19, v20
	v_cndmask_b32_e32 v8, v16, v8, vcc
	v_cmp_ngt_f32_e32 vcc, s4, v15
	v_cndmask_b32_e32 v14, 0, v14, vcc
	v_cmp_nlt_f32_e32 vcc, s5, v15
	v_cndmask_b32_e32 v15, v16, v14, vcc
	v_ldexp_f32 v14, v18, v19
	v_cmp_ngt_f32_e32 vcc, s4, v17
	v_cndmask_b32_e32 v14, 0, v14, vcc
	v_cmp_nlt_f32_e32 vcc, s5, v17
	v_cndmask_b32_e32 v14, v16, v14, vcc
	v_pk_fma_f32 v[0:1], v[0:1], v[6:7], v[14:15]
	v_pk_fma_f32 v[2:3], v[2:3], v[4:5], v[8:9]
	v_pk_mov_b32 v[6:7], v[10:11], v[10:11] op_sel:[0,1]
	v_pk_mov_b32 v[8:9], v[12:13], v[12:13] op_sel:[0,1]
.LBB70_81:
	v_cmp_gt_i32_e32 vcc, s38, v33
	s_and_saveexec_b64 s[4:5], vcc
	s_cbranch_execz .LBB70_101
; %bb.82:
	s_load_dword s10, s[6:7], 0xd4
	v_mov_b32_e32 v4, 1.0
	s_waitcnt lgkmcnt(0)
	s_cmp_lg_u32 s10, 1
	s_cselect_b64 s[6:7], -1, 0
	s_cmp_eq_u32 s10, 1
	s_cselect_b64 s[8:9], -1, 0
	s_and_b64 vcc, exec, s[6:7]
	s_cbranch_vccnz .LBB70_84
; %bb.83:
	v_div_scale_f32 v4, s[4:5], v2, v2, 1.0
	v_rcp_f32_e32 v5, v4
	v_div_scale_f32 v10, vcc, 1.0, v2, 1.0
	v_fma_f32 v11, -v4, v5, 1.0
	v_fmac_f32_e32 v5, v11, v5
	v_mul_f32_e32 v11, v10, v5
	v_fma_f32 v12, -v4, v11, v10
	v_fmac_f32_e32 v11, v12, v5
	v_fma_f32 v4, -v4, v11, v10
	v_div_fmas_f32 v4, v4, v5, v11
	v_div_fixup_f32 v4, v4, v2, 1.0
.LBB70_84:
	s_mul_i32 s12, s33, s38
	s_add_i32 s12, s12, s22
	v_add_u32_e32 v5, s12, v32
	v_mul_lo_u32 v5, v5, s39
	v_add_u32_e32 v5, s34, v5
	v_mul_lo_u32 v5, s10, v5
	v_add_u32_e32 v10, s11, v5
	v_cvt_f32_f16_sdwa v15, v50 dst_sel:DWORD dst_unused:UNUSED_PAD src0_sel:WORD_1
	v_cvt_f32_f16_e32 v14, v50
	v_cvt_f32_f16_sdwa v19, v53 dst_sel:DWORD dst_unused:UNUSED_PAD src0_sel:WORD_1
	v_cvt_f32_f16_e32 v18, v53
	v_lshl_add_u32 v16, v10, 8, v25
	v_mov_b32_e32 v17, 0
	v_lshlrev_b64 v[12:13], 2, v[16:17]
	v_mov_b32_e32 v5, s29
	v_add_co_u32_e64 v20, s[4:5], s28, v12
	v_addc_co_u32_e64 v21, s[4:5], v5, v13, s[4:5]
	v_pk_mul_f32 v[12:13], v[4:5], v[14:15] op_sel_hi:[0,1]
	v_pk_mul_f32 v[14:15], v[4:5], v[18:19] op_sel_hi:[0,1]
	v_add_u32_e32 v16, 0x80, v16
	global_store_dwordx4 v[20:21], v[12:15], off
	v_cmp_eq_u32_e32 vcc, 0, v31
	v_lshlrev_b64 v[12:13], 2, v[16:17]
	v_cvt_f32_f16_sdwa v15, v51 dst_sel:DWORD dst_unused:UNUSED_PAD src0_sel:WORD_1
	v_cvt_f32_f16_e32 v14, v51
	v_cvt_f32_f16_sdwa v17, v52 dst_sel:DWORD dst_unused:UNUSED_PAD src0_sel:WORD_1
	v_cvt_f32_f16_e32 v16, v52
	v_add_co_u32_e64 v18, s[4:5], s28, v12
	v_addc_co_u32_e64 v19, s[4:5], v5, v13, s[4:5]
	v_pk_mul_f32 v[12:13], v[4:5], v[14:15] op_sel_hi:[0,1]
	v_pk_mul_f32 v[14:15], v[4:5], v[16:17] op_sel_hi:[0,1]
	s_and_b64 s[6:7], vcc, s[6:7]
	global_store_dwordx4 v[18:19], v[12:15], off
	s_and_saveexec_b64 s[4:5], s[6:7]
	s_cbranch_execz .LBB70_86
; %bb.85:
	v_ashrrev_i32_e32 v11, 31, v10
	v_lshlrev_b64 v[4:5], 3, v[10:11]
	v_mov_b32_e32 v10, s31
	v_add_co_u32_e32 v4, vcc, s30, v4
	v_addc_co_u32_e32 v5, vcc, v10, v5, vcc
	v_mov_b32_e32 v10, v6
	v_mov_b32_e32 v11, v2
	global_store_dwordx2 v[4:5], v[10:11], off
.LBB70_86:
	s_or_b64 exec, exec, s[4:5]
	v_cmp_gt_i32_e32 vcc, s38, v30
	s_and_b64 exec, exec, vcc
	s_cbranch_execz .LBB70_101
; %bb.87:
	v_cndmask_b32_e64 v2, 0, 1, s[8:9]
	v_cmp_ne_u32_e64 s[4:5], 1, v2
	s_andn2_b64 vcc, exec, s[8:9]
	v_mov_b32_e32 v2, 1.0
	s_cbranch_vccnz .LBB70_89
; %bb.88:
	v_div_scale_f32 v2, s[8:9], v3, v3, 1.0
	v_rcp_f32_e32 v4, v2
	v_div_scale_f32 v5, vcc, 1.0, v3, 1.0
	v_fma_f32 v6, -v2, v4, 1.0
	v_fmac_f32_e32 v4, v6, v4
	v_mul_f32_e32 v6, v5, v4
	v_fma_f32 v10, -v2, v6, v5
	v_fmac_f32_e32 v6, v10, v4
	v_fma_f32 v2, -v2, v6, v5
	v_div_fmas_f32 v2, v2, v4, v6
	v_div_fixup_f32 v2, v2, v3, 1.0
.LBB70_89:
	v_add_u32_e32 v4, s12, v29
	v_mul_lo_u32 v4, v4, s39
	v_add_u32_e32 v4, s34, v4
	v_mul_lo_u32 v4, s10, v4
	v_add_u32_e32 v4, s11, v4
	v_cvt_f32_f16_sdwa v13, v46 dst_sel:DWORD dst_unused:UNUSED_PAD src0_sel:WORD_1
	v_cvt_f32_f16_e32 v12, v46
	v_cvt_f32_f16_sdwa v17, v49 dst_sel:DWORD dst_unused:UNUSED_PAD src0_sel:WORD_1
	v_cvt_f32_f16_e32 v16, v49
	v_lshl_add_u32 v14, v4, 8, v25
	v_mov_b32_e32 v15, 0
	v_lshlrev_b64 v[10:11], 2, v[14:15]
	v_mov_b32_e32 v5, s29
	v_add_co_u32_e32 v18, vcc, s28, v10
	v_addc_co_u32_e32 v19, vcc, v5, v11, vcc
	v_pk_mul_f32 v[10:11], v[2:3], v[12:13] op_sel_hi:[0,1]
	v_pk_mul_f32 v[12:13], v[2:3], v[16:17] op_sel_hi:[0,1]
	v_add_u32_e32 v14, 0x80, v14
	global_store_dwordx4 v[18:19], v[10:13], off
	s_nop 0
	v_lshlrev_b64 v[10:11], 2, v[14:15]
	v_cvt_f32_f16_sdwa v13, v48 dst_sel:DWORD dst_unused:UNUSED_PAD src0_sel:WORD_1
	v_cvt_f32_f16_e32 v12, v48
	v_cvt_f32_f16_sdwa v15, v47 dst_sel:DWORD dst_unused:UNUSED_PAD src0_sel:WORD_1
	v_cvt_f32_f16_e32 v14, v47
	v_add_co_u32_e32 v16, vcc, s28, v10
	v_addc_co_u32_e32 v17, vcc, v5, v11, vcc
	v_pk_mul_f32 v[10:11], v[2:3], v[12:13] op_sel_hi:[0,1]
	v_pk_mul_f32 v[12:13], v[2:3], v[14:15] op_sel_hi:[0,1]
	global_store_dwordx4 v[16:17], v[10:13], off
	s_and_saveexec_b64 s[8:9], s[6:7]
	s_cbranch_execz .LBB70_91
; %bb.90:
	v_ashrrev_i32_e32 v5, 31, v4
	v_lshlrev_b64 v[4:5], 3, v[4:5]
	v_mov_b32_e32 v2, s31
	v_add_co_u32_e32 v4, vcc, s30, v4
	v_addc_co_u32_e32 v5, vcc, v2, v5, vcc
	v_mov_b32_e32 v2, v7
	global_store_dwordx2 v[4:5], v[2:3], off
.LBB70_91:
	s_or_b64 exec, exec, s[8:9]
	v_cmp_gt_i32_e32 vcc, s38, v28
	s_and_b64 exec, exec, vcc
	s_cbranch_execz .LBB70_101
; %bb.92:
	s_and_b64 vcc, exec, s[4:5]
	v_mov_b32_e32 v4, 1.0
	s_cbranch_vccnz .LBB70_94
; %bb.93:
	v_div_scale_f32 v2, s[8:9], v0, v0, 1.0
	v_rcp_f32_e32 v3, v2
	v_div_scale_f32 v4, vcc, 1.0, v0, 1.0
	v_fma_f32 v5, -v2, v3, 1.0
	v_fmac_f32_e32 v3, v5, v3
	v_mul_f32_e32 v5, v4, v3
	v_fma_f32 v6, -v2, v5, v4
	v_fmac_f32_e32 v5, v6, v3
	v_fma_f32 v2, -v2, v5, v4
	v_div_fmas_f32 v2, v2, v3, v5
	v_div_fixup_f32 v4, v2, v0, 1.0
.LBB70_94:
	v_add_u32_e32 v2, s12, v27
	v_mul_lo_u32 v2, v2, s39
	v_add_u32_e32 v2, s34, v2
	v_mul_lo_u32 v2, s10, v2
	v_add_u32_e32 v2, s11, v2
	v_cvt_f32_f16_sdwa v13, v42 dst_sel:DWORD dst_unused:UNUSED_PAD src0_sel:WORD_1
	v_cvt_f32_f16_e32 v12, v42
	v_cvt_f32_f16_sdwa v15, v45 dst_sel:DWORD dst_unused:UNUSED_PAD src0_sel:WORD_1
	v_cvt_f32_f16_e32 v14, v45
	v_lshl_add_u32 v6, v2, 8, v25
	v_mov_b32_e32 v7, 0
	v_lshlrev_b64 v[10:11], 2, v[6:7]
	v_mov_b32_e32 v3, s29
	v_add_co_u32_e32 v16, vcc, s28, v10
	v_addc_co_u32_e32 v17, vcc, v3, v11, vcc
	v_pk_mul_f32 v[10:11], v[4:5], v[12:13] op_sel_hi:[0,1]
	v_pk_mul_f32 v[12:13], v[4:5], v[14:15] op_sel_hi:[0,1]
	global_store_dwordx4 v[16:17], v[10:13], off
	v_add_u32_e32 v6, 0x80, v6
	v_cvt_f32_f16_sdwa v11, v43 dst_sel:DWORD dst_unused:UNUSED_PAD src0_sel:WORD_1
	v_cvt_f32_f16_e32 v10, v43
	v_cvt_f32_f16_sdwa v13, v44 dst_sel:DWORD dst_unused:UNUSED_PAD src0_sel:WORD_1
	v_cvt_f32_f16_e32 v12, v44
	v_lshlrev_b64 v[6:7], 2, v[6:7]
	v_add_co_u32_e32 v6, vcc, s28, v6
	v_addc_co_u32_e32 v7, vcc, v3, v7, vcc
	v_pk_mul_f32 v[10:11], v[4:5], v[10:11] op_sel_hi:[0,1]
	v_pk_mul_f32 v[12:13], v[4:5], v[12:13] op_sel_hi:[0,1]
	global_store_dwordx4 v[6:7], v[10:13], off
	s_and_saveexec_b64 s[8:9], s[6:7]
	s_cbranch_execz .LBB70_96
; %bb.95:
	v_ashrrev_i32_e32 v3, 31, v2
	v_lshlrev_b64 v[2:3], 3, v[2:3]
	v_mov_b32_e32 v4, s31
	v_add_co_u32_e32 v2, vcc, s30, v2
	v_addc_co_u32_e32 v3, vcc, v4, v3, vcc
	v_mov_b32_e32 v4, v8
	v_mov_b32_e32 v5, v0
	global_store_dwordx2 v[2:3], v[4:5], off
.LBB70_96:
	s_or_b64 exec, exec, s[8:9]
	v_cmp_gt_i32_e32 vcc, s38, v26
	s_and_b64 exec, exec, vcc
	s_cbranch_execz .LBB70_101
; %bb.97:
	s_and_b64 vcc, exec, s[4:5]
	v_mov_b32_e32 v0, 1.0
	s_cbranch_vccnz .LBB70_99
; %bb.98:
	v_div_scale_f32 v0, s[4:5], v1, v1, 1.0
	v_rcp_f32_e32 v2, v0
	v_div_scale_f32 v3, vcc, 1.0, v1, 1.0
	v_fma_f32 v4, -v0, v2, 1.0
	v_fmac_f32_e32 v2, v4, v2
	v_mul_f32_e32 v4, v3, v2
	v_fma_f32 v5, -v0, v4, v3
	v_fmac_f32_e32 v4, v5, v2
	v_fma_f32 v0, -v0, v4, v3
	v_div_fmas_f32 v0, v0, v2, v4
	v_div_fixup_f32 v0, v0, v1, 1.0
.LBB70_99:
	v_add_u32_e32 v2, s12, v24
	v_mul_lo_u32 v2, v2, s39
	v_add_u32_e32 v2, s34, v2
	v_mul_lo_u32 v2, s10, v2
	v_add_u32_e32 v2, s11, v2
	v_cvt_f32_f16_sdwa v7, v41 dst_sel:DWORD dst_unused:UNUSED_PAD src0_sel:WORD_1
	v_cvt_f32_f16_e32 v6, v41
	v_cvt_f32_f16_sdwa v13, v40 dst_sel:DWORD dst_unused:UNUSED_PAD src0_sel:WORD_1
	v_cvt_f32_f16_e32 v12, v40
	v_lshl_add_u32 v10, v2, 8, v25
	v_mov_b32_e32 v11, 0
	v_lshlrev_b64 v[4:5], 2, v[10:11]
	v_mov_b32_e32 v3, s29
	v_add_co_u32_e32 v14, vcc, s28, v4
	v_addc_co_u32_e32 v15, vcc, v3, v5, vcc
	v_pk_mul_f32 v[4:5], v[0:1], v[6:7] op_sel_hi:[0,1]
	v_pk_mul_f32 v[6:7], v[0:1], v[12:13] op_sel_hi:[0,1]
	v_add_u32_e32 v10, 0x80, v10
	global_store_dwordx4 v[14:15], v[4:7], off
	s_nop 0
	v_lshlrev_b64 v[4:5], 2, v[10:11]
	v_cvt_f32_f16_sdwa v7, v39 dst_sel:DWORD dst_unused:UNUSED_PAD src0_sel:WORD_1
	v_cvt_f32_f16_e32 v6, v39
	v_cvt_f32_f16_sdwa v11, v37 dst_sel:DWORD dst_unused:UNUSED_PAD src0_sel:WORD_1
	v_cvt_f32_f16_e32 v10, v37
	v_add_co_u32_e32 v12, vcc, s28, v4
	v_addc_co_u32_e32 v13, vcc, v3, v5, vcc
	v_pk_mul_f32 v[4:5], v[0:1], v[6:7] op_sel_hi:[0,1]
	v_pk_mul_f32 v[6:7], v[0:1], v[10:11] op_sel_hi:[0,1]
	global_store_dwordx4 v[12:13], v[4:7], off
	s_and_b64 exec, exec, s[6:7]
	s_cbranch_execz .LBB70_101
; %bb.100:
	v_ashrrev_i32_e32 v3, 31, v2
	v_lshlrev_b64 v[2:3], 3, v[2:3]
	v_mov_b32_e32 v0, s31
	v_add_co_u32_e32 v2, vcc, s30, v2
	v_addc_co_u32_e32 v3, vcc, v0, v3, vcc
	v_mov_b32_e32 v0, v9
	global_store_dwordx2 v[2:3], v[0:1], off
.LBB70_101:
	s_endpgm
	.section	.rodata,"a",@progbits
	.p2align	6, 0x0
	.amdhsa_kernel _ZL15flash_attn_tileILi256ELi256ELi32ELi1ELb1EEvPKcS1_S1_S1_S1_PKiPfP15HIP_vector_typeIfLj2EEffffjfiS5_IjLj3EEiiiiiiiiiiiliiliiiiil
		.amdhsa_group_segment_fixed_size 31232
		.amdhsa_private_segment_fixed_size 32
		.amdhsa_kernarg_size 464
		.amdhsa_user_sgpr_count 10
		.amdhsa_user_sgpr_private_segment_buffer 1
		.amdhsa_user_sgpr_dispatch_ptr 1
		.amdhsa_user_sgpr_queue_ptr 0
		.amdhsa_user_sgpr_kernarg_segment_ptr 1
		.amdhsa_user_sgpr_dispatch_id 0
		.amdhsa_user_sgpr_flat_scratch_init 1
		.amdhsa_user_sgpr_kernarg_preload_length 0
		.amdhsa_user_sgpr_kernarg_preload_offset 0
		.amdhsa_user_sgpr_private_segment_size 0
		.amdhsa_uses_dynamic_stack 0
		.amdhsa_system_sgpr_private_segment_wavefront_offset 1
		.amdhsa_system_sgpr_workgroup_id_x 1
		.amdhsa_system_sgpr_workgroup_id_y 1
		.amdhsa_system_sgpr_workgroup_id_z 1
		.amdhsa_system_sgpr_workgroup_info 0
		.amdhsa_system_vgpr_workitem_id 2
		.amdhsa_next_free_vgpr 125
		.amdhsa_next_free_sgpr 52
		.amdhsa_accum_offset 128
		.amdhsa_reserve_vcc 1
		.amdhsa_reserve_flat_scratch 1
		.amdhsa_float_round_mode_32 0
		.amdhsa_float_round_mode_16_64 0
		.amdhsa_float_denorm_mode_32 3
		.amdhsa_float_denorm_mode_16_64 3
		.amdhsa_dx10_clamp 1
		.amdhsa_ieee_mode 1
		.amdhsa_fp16_overflow 0
		.amdhsa_tg_split 0
		.amdhsa_exception_fp_ieee_invalid_op 0
		.amdhsa_exception_fp_denorm_src 0
		.amdhsa_exception_fp_ieee_div_zero 0
		.amdhsa_exception_fp_ieee_overflow 0
		.amdhsa_exception_fp_ieee_underflow 0
		.amdhsa_exception_fp_ieee_inexact 0
		.amdhsa_exception_int_div_zero 0
	.end_amdhsa_kernel
	.section	.text._ZL15flash_attn_tileILi256ELi256ELi32ELi1ELb1EEvPKcS1_S1_S1_S1_PKiPfP15HIP_vector_typeIfLj2EEffffjfiS5_IjLj3EEiiiiiiiiiiiliiliiiiil,"axG",@progbits,_ZL15flash_attn_tileILi256ELi256ELi32ELi1ELb1EEvPKcS1_S1_S1_S1_PKiPfP15HIP_vector_typeIfLj2EEffffjfiS5_IjLj3EEiiiiiiiiiiiliiliiiiil,comdat
.Lfunc_end70:
	.size	_ZL15flash_attn_tileILi256ELi256ELi32ELi1ELb1EEvPKcS1_S1_S1_S1_PKiPfP15HIP_vector_typeIfLj2EEffffjfiS5_IjLj3EEiiiiiiiiiiiliiliiiiil, .Lfunc_end70-_ZL15flash_attn_tileILi256ELi256ELi32ELi1ELb1EEvPKcS1_S1_S1_S1_PKiPfP15HIP_vector_typeIfLj2EEffffjfiS5_IjLj3EEiiiiiiiiiiiliiliiiiil
                                        ; -- End function
	.section	.AMDGPU.csdata,"",@progbits
; Kernel info:
; codeLenInByte = 34084
; NumSgprs: 58
; NumVgprs: 125
; NumAgprs: 0
; TotalNumVgprs: 125
; ScratchSize: 32
; MemoryBound: 0
; FloatMode: 240
; IeeeMode: 1
; LDSByteSize: 31232 bytes/workgroup (compile time only)
; SGPRBlocks: 7
; VGPRBlocks: 15
; NumSGPRsForWavesPerEU: 58
; NumVGPRsForWavesPerEU: 125
; AccumOffset: 128
; Occupancy: 2
; WaveLimiterHint : 1
; COMPUTE_PGM_RSRC2:SCRATCH_EN: 1
; COMPUTE_PGM_RSRC2:USER_SGPR: 10
; COMPUTE_PGM_RSRC2:TRAP_HANDLER: 0
; COMPUTE_PGM_RSRC2:TGID_X_EN: 1
; COMPUTE_PGM_RSRC2:TGID_Y_EN: 1
; COMPUTE_PGM_RSRC2:TGID_Z_EN: 1
; COMPUTE_PGM_RSRC2:TIDIG_COMP_CNT: 2
; COMPUTE_PGM_RSRC3_GFX90A:ACCUM_OFFSET: 31
; COMPUTE_PGM_RSRC3_GFX90A:TG_SPLIT: 0
	.section	.text._ZL15flash_attn_tileILi256ELi256ELi16ELi1ELb1EEvPKcS1_S1_S1_S1_PKiPfP15HIP_vector_typeIfLj2EEffffjfiS5_IjLj3EEiiiiiiiiiiiliiliiiiil,"axG",@progbits,_ZL15flash_attn_tileILi256ELi256ELi16ELi1ELb1EEvPKcS1_S1_S1_S1_PKiPfP15HIP_vector_typeIfLj2EEffffjfiS5_IjLj3EEiiiiiiiiiiiliiliiiiil,comdat
	.globl	_ZL15flash_attn_tileILi256ELi256ELi16ELi1ELb1EEvPKcS1_S1_S1_S1_PKiPfP15HIP_vector_typeIfLj2EEffffjfiS5_IjLj3EEiiiiiiiiiiiliiliiiiil ; -- Begin function _ZL15flash_attn_tileILi256ELi256ELi16ELi1ELb1EEvPKcS1_S1_S1_S1_PKiPfP15HIP_vector_typeIfLj2EEffffjfiS5_IjLj3EEiiiiiiiiiiiliiliiiiil
	.p2align	8
	.type	_ZL15flash_attn_tileILi256ELi256ELi16ELi1ELb1EEvPKcS1_S1_S1_S1_PKiPfP15HIP_vector_typeIfLj2EEffffjfiS5_IjLj3EEiiiiiiiiiiiliiliiiiil,@function
_ZL15flash_attn_tileILi256ELi256ELi16ELi1ELb1EEvPKcS1_S1_S1_S1_PKiPfP15HIP_vector_typeIfLj2EEffffjfiS5_IjLj3EEiiiiiiiiiiiliiliiiiil: ; @_ZL15flash_attn_tileILi256ELi256ELi16ELi1ELb1EEvPKcS1_S1_S1_S1_PKiPfP15HIP_vector_typeIfLj2EEffffjfiS5_IjLj3EEiiiiiiiiiiiliiliiiiil
; %bb.0:
	s_load_dwordx4 s[36:39], s[4:5], 0x5c
	s_load_dwordx2 s[44:45], s[4:5], 0x80
	s_add_u32 flat_scratch_lo, s6, s11
	s_addc_u32 flat_scratch_hi, s7, 0
	s_add_u32 s0, s0, s11
	s_waitcnt lgkmcnt(0)
	v_cvt_f32_u32_e32 v1, s39
	s_addc_u32 s1, s1, 0
	s_sub_i32 s6, 0, s39
	s_load_dwordx16 s[16:31], s[4:5], 0x0
	v_rcp_iflag_f32_e32 v1, v1
	s_load_dwordx2 s[46:47], s[4:5], 0xb8
	s_mov_b64 s[34:35], 0
	v_mul_f32_e32 v1, 0x4f7ffffe, v1
	v_cvt_u32_f32_e32 v1, v1
	v_readfirstlane_b32 s7, v1
	s_mul_i32 s6, s6, s7
	s_mul_hi_u32 s6, s7, s6
	s_add_i32 s7, s7, s6
	s_mul_hi_u32 s6, s10, s7
	s_mul_i32 s7, s6, s39
	s_sub_i32 s7, s10, s7
	s_add_i32 s11, s6, 1
	s_sub_i32 s12, s7, s39
	s_cmp_ge_u32 s7, s39
	s_cselect_b32 s6, s11, s6
	s_cselect_b32 s7, s12, s7
	s_add_i32 s11, s6, 1
	s_cmp_ge_u32 s7, s39
	s_cselect_b32 s33, s11, s6
	s_abs_i32 s6, s45
	v_cvt_f32_u32_e32 v1, s6
	s_mul_i32 s12, s33, s39
	s_sub_i32 s13, 0, s6
	s_sub_i32 s14, s10, s12
	v_rcp_iflag_f32_e32 v1, v1
	s_abs_i32 s11, s39
	s_xor_b32 s7, s39, s45
	s_ashr_i32 s7, s7, 31
	v_mul_f32_e32 v1, 0x4f7ffffe, v1
	v_cvt_u32_f32_e32 v1, v1
	v_readfirstlane_b32 s10, v1
	s_mul_i32 s13, s13, s10
	s_mul_hi_u32 s12, s10, s13
	s_add_i32 s10, s10, s12
	s_mul_hi_u32 s10, s11, s10
	s_mul_i32 s12, s10, s6
	s_sub_i32 s11, s11, s12
	s_add_i32 s13, s10, 1
	s_sub_i32 s12, s11, s6
	s_cmp_ge_u32 s11, s6
	s_cselect_b32 s10, s13, s10
	s_cselect_b32 s11, s12, s11
	s_add_i32 s12, s10, 1
	s_cmp_ge_u32 s11, s6
	s_cselect_b32 s6, s12, s10
	s_xor_b32 s6, s6, s7
	s_sub_i32 s49, s6, s7
	s_abs_i32 s45, s49
	v_cvt_f32_u32_e32 v1, s45
	s_sub_i32 s6, 0, s45
	s_abs_i32 s48, s14
	v_rcp_iflag_f32_e32 v1, v1
	v_mul_f32_e32 v1, 0x4f7ffffe, v1
	v_cvt_u32_f32_e32 v1, v1
	v_readfirstlane_b32 s7, v1
	s_mul_i32 s6, s6, s7
	s_mul_hi_u32 s6, s7, s6
	s_add_i32 s6, s7, s6
	s_waitcnt lgkmcnt(0)
	s_cmp_eq_u64 s[22:23], 0
	s_cbranch_scc1 .LBB71_2
; %bb.1:
	s_abs_i32 s7, s46
	v_cvt_f32_u32_e32 v1, s7
	s_sub_i32 s15, 0, s7
	s_abs_i32 s13, s33
	s_ashr_i32 s12, s33, 31
	v_rcp_iflag_f32_e32 v1, v1
	s_load_dwordx2 s[10:11], s[4:5], 0xc8
	v_mul_f32_e32 v1, 0x4f7ffffe, v1
	v_cvt_u32_f32_e32 v1, v1
	v_readfirstlane_b32 s34, v1
	s_mul_i32 s15, s15, s34
	s_mul_hi_u32 s15, s34, s15
	s_add_i32 s34, s34, s15
	s_mul_hi_u32 s15, s13, s34
	s_mul_i32 s15, s15, s7
	s_sub_i32 s13, s13, s15
	s_sub_i32 s15, s13, s7
	s_cmp_ge_u32 s13, s7
	s_cselect_b32 s13, s15, s13
	s_sub_i32 s15, s13, s7
	s_cmp_ge_u32 s13, s7
	s_cselect_b32 s7, s15, s13
	s_xor_b32 s7, s7, s12
	s_sub_i32 s7, s7, s12
	s_ashr_i32 s12, s7, 31
	s_waitcnt lgkmcnt(0)
	s_mul_i32 s11, s7, s11
	s_mul_hi_u32 s13, s7, s10
	s_add_i32 s11, s13, s11
	s_mul_i32 s12, s12, s10
	s_add_i32 s11, s11, s12
	s_mul_i32 s7, s7, s10
	s_add_u32 s34, s22, s7
	s_addc_u32 s35, s23, s11
.LBB71_2:
	s_load_dwordx4 s[40:43], s[4:5], 0x40
	s_load_dwordx2 s[22:23], s[4:5], 0x50
	s_mul_hi_u32 s46, s48, s6
	v_mov_b32_e32 v41, 1.0
	s_waitcnt lgkmcnt(0)
	v_cmp_le_f32_e64 s[6:7], s41, 0
	s_and_b64 vcc, exec, s[6:7]
	s_cbranch_vccnz .LBB71_4
; %bb.3:
	s_sub_i32 s6, s14, s22
	s_lshl_b32 s6, s6, 1
	s_add_i32 s10, s14, 1
	s_or_b32 s11, s6, 1
	s_cmp_lt_u32 s14, s22
	s_cselect_b64 vcc, -1, 0
	s_and_b64 s[6:7], vcc, exec
	v_mov_b32_e32 v1, s43
	v_mov_b32_e32 v2, s42
	s_cselect_b32 s6, s10, s11
	v_cndmask_b32_e32 v18, v1, v2, vcc
	v_cvt_f32_i32_e32 v1, s6
	v_cmp_neq_f32_e32 vcc, 1.0, v18
	s_mov_b32 s6, 0x3f2aaaab
	s_movk_i32 s10, 0x204
	v_cndmask_b32_e32 v19, 1.0, v1, vcc
	v_cmp_eq_f32_e32 vcc, 0, v19
	v_cndmask_b32_e64 v20, |v18|, 1.0, vcc
	v_frexp_mant_f32_e32 v1, v20
	v_cmp_gt_f32_e64 s[6:7], s6, v1
	v_cndmask_b32_e64 v2, 1.0, 2.0, s[6:7]
	v_mul_f32_e32 v1, v1, v2
	v_add_f32_e32 v2, 1.0, v1
	v_rcp_f32_e32 v10, v2
	v_add_f32_e32 v3, -1.0, v2
	v_sub_f32_e32 v5, v1, v3
	v_add_f32_e32 v3, -1.0, v1
	v_mul_f32_e32 v1, v3, v10
	v_mul_f32_e32 v4, v2, v1
	v_fma_f32 v6, v1, v2, -v4
	v_fmac_f32_e32 v6, v1, v5
	v_add_f32_e32 v2, v4, v6
	v_sub_f32_e32 v5, v3, v2
	v_pk_add_f32 v[8:9], v[2:3], v[4:5] neg_lo:[0,1] neg_hi:[0,1]
	v_mov_b32_e32 v7, v2
	v_pk_add_f32 v[2:3], v[8:9], v[6:7] neg_lo:[0,1] neg_hi:[0,1]
	v_add_f32_e32 v2, v2, v3
	v_add_f32_e32 v2, v5, v2
	v_mul_f32_e32 v3, v10, v2
	v_add_f32_e32 v2, v1, v3
	v_sub_f32_e32 v1, v2, v1
	v_sub_f32_e32 v1, v3, v1
	v_mul_f32_e32 v3, v2, v2
	v_fma_f32 v5, v2, v2, -v3
	v_add_f32_e32 v4, v1, v1
	v_fmac_f32_e32 v5, v2, v4
	v_add_f32_e32 v4, v3, v5
	v_mov_b32_e32 v6, 0x3e91f4c4
	v_fmac_f32_e32 v6, 0x3e76c4e1, v4
	v_mov_b32_e32 v7, 0x3ecccdef
	v_fmac_f32_e32 v7, v4, v6
	v_sub_f32_e32 v3, v4, v3
	v_sub_f32_e32 v12, v5, v3
	v_mul_f32_e32 v3, v4, v7
	v_fma_f32 v5, v4, v7, -v3
	v_fmac_f32_e32 v5, v12, v7
	v_add_f32_e32 v6, v3, v5
	v_add_f32_e32 v7, 0x3f2aaaaa, v6
	v_sub_f32_e32 v3, v6, v3
	v_sub_f32_e32 v3, v5, v3
	v_add_f32_e32 v5, 0xbf2aaaaa, v7
	v_add_f32_e32 v3, 0x31739010, v3
	v_sub_f32_e32 v5, v6, v5
	v_pk_mul_f32 v[8:9], v[2:3], v[4:5]
	v_fma_f32 v6, v4, v2, -v8
	v_pk_add_f32 v[10:11], v[2:3], v[4:5]
	v_fmac_f32_e32 v6, v4, v1
	v_mov_b32_e32 v9, v11
	v_fmac_f32_e32 v6, v12, v2
	v_pk_add_f32 v[4:5], v[8:9], v[6:7]
	v_sub_f32_e32 v3, v4, v8
	v_sub_f32_e32 v3, v6, v3
	;; [unrolled: 1-line block ×3, first 2 shown]
	v_add_f32_e32 v9, v11, v6
	v_mov_b32_e32 v6, v5
	v_pk_mul_f32 v[6:7], v[4:5], v[6:7]
	v_cvt_f64_f32_e32 v[10:11], v20
	v_frexp_exp_i32_f64_e32 v7, v[10:11]
	v_subbrev_co_u32_e64 v7, s[6:7], 0, v7, s[6:7]
	v_cvt_f32_i32_e32 v7, v7
	v_fma_f32 v8, v4, v5, -v6
	v_fmac_f32_e32 v8, v4, v9
	s_mov_b32 s6, 0x3f317218
	v_mul_f32_e32 v4, 0x3f317218, v7
	v_fmac_f32_e32 v8, v3, v5
	v_fma_f32 v10, v7, s6, -v4
	v_fmac_f32_e32 v10, 0xb102e308, v7
	v_ldexp_f32 v11, v2, 1
	v_add_f32_e32 v5, v6, v8
	v_pk_add_f32 v[2:3], v[4:5], v[10:11]
	v_mov_b32_e32 v12, v5
	v_mov_b32_e32 v13, v3
	;; [unrolled: 1-line block ×3, first 2 shown]
	v_pk_add_f32 v[6:7], v[12:13], v[6:7] neg_lo:[0,1] neg_hi:[0,1]
	v_mov_b32_e32 v9, v5
	v_ldexp_f32 v1, v1, 1
	v_pk_add_f32 v[6:7], v[8:9], v[6:7] neg_lo:[0,1] neg_hi:[0,1]
	v_add_f32_e32 v1, v1, v6
	v_add_f32_e32 v5, v1, v7
	v_pk_add_f32 v[6:7], v[2:3], v[4:5] neg_lo:[0,1] neg_hi:[0,1]
	v_pk_add_f32 v[8:9], v[2:3], v[4:5]
	v_mov_b32_e32 v12, v6
	v_mov_b32_e32 v13, v9
	;; [unrolled: 1-line block ×3, first 2 shown]
	v_pk_add_f32 v[12:13], v[10:11], v[12:13]
	v_mov_b32_e32 v4, v13
	v_pk_add_f32 v[14:15], v[4:5], v[2:3] neg_lo:[0,1] neg_hi:[0,1]
	v_mov_b32_e32 v1, v14
	v_mov_b32_e32 v12, v9
	;; [unrolled: 1-line block ×4, first 2 shown]
	v_pk_add_f32 v[6:7], v[10:11], v[6:7] neg_lo:[0,1] neg_hi:[0,1]
	v_pk_add_f32 v[16:17], v[8:9], v[0:1] neg_lo:[0,1] neg_hi:[0,1]
	v_pk_add_f32 v[2:3], v[12:13], v[2:3] neg_lo:[0,1] neg_hi:[0,1]
	v_mov_b32_e32 v10, v5
	v_pk_add_f32 v[2:3], v[10:11], v[2:3] neg_lo:[0,1] neg_hi:[0,1]
	v_mov_b32_e32 v16, v6
	v_pk_add_f32 v[8:9], v[16:17], v[2:3]
	v_mov_b32_e32 v10, v9
	v_pk_add_f32 v[10:11], v[8:9], v[10:11]
	v_pk_add_f32 v[4:5], v[4:5], v[10:11]
	v_mov_b32_e32 v7, v13
	v_mov_b32_e32 v9, v4
	v_pk_add_f32 v[12:13], v[8:9], v[6:7] neg_lo:[0,1] neg_hi:[0,1]
	v_mov_b32_e32 v3, v10
	v_sub_f32_e32 v1, v8, v12
	v_pk_add_f32 v[2:3], v[2:3], v[12:13] neg_lo:[0,1] neg_hi:[0,1]
	v_sub_f32_e32 v1, v6, v1
	v_add_f32_e32 v1, v2, v1
	v_add_f32_e32 v1, v1, v3
	;; [unrolled: 1-line block ×3, first 2 shown]
	v_sub_f32_e32 v3, v2, v4
	v_sub_f32_e32 v1, v1, v3
	v_mul_f32_e32 v3, v19, v2
	v_fma_f32 v2, v19, v2, -v3
	v_fmac_f32_e32 v2, v19, v1
	v_add_f32_e32 v1, v3, v2
	v_cmp_class_f32_e64 s[6:7], v3, s10
	v_sub_f32_e32 v4, v1, v3
	v_cndmask_b32_e64 v1, v1, v3, s[6:7]
	s_mov_b32 s12, 0x42b17218
	v_mov_b32_e32 v3, 0x37000000
	v_cmp_eq_f32_e64 s[6:7], s12, v1
	v_cndmask_b32_e64 v3, 0, v3, s[6:7]
	v_sub_f32_e32 v2, v2, v4
	v_sub_f32_e32 v4, v1, v3
	s_mov_b32 s6, 0x3fb8aa3b
	v_mul_f32_e32 v5, 0x3fb8aa3b, v4
	v_fma_f32 v6, v4, s6, -v5
	v_rndne_f32_e32 v7, v5
	v_fmac_f32_e32 v6, 0x32a5705f, v4
	v_sub_f32_e32 v5, v5, v7
	v_add_f32_e32 v5, v5, v6
	v_exp_f32_e32 v5, v5
	v_cvt_i32_f32_e32 v6, v7
	s_mov_b32 s11, 0x7f800000
	v_cmp_neq_f32_e64 s[6:7], |v1|, s11
	v_cndmask_b32_e64 v1, 0, v2, s[6:7]
	s_mov_b32 s6, 0xc2ce8ed0
	v_ldexp_f32 v2, v5, v6
	v_cmp_ngt_f32_e64 s[6:7], s6, v4
	v_add_f32_e32 v1, v3, v1
	v_cndmask_b32_e64 v2, 0, v2, s[6:7]
	v_mov_b32_e32 v3, 0x7f800000
	v_cmp_nlt_f32_e64 s[6:7], s12, v4
	v_cndmask_b32_e64 v2, v3, v2, s[6:7]
	v_fma_f32 v1, v2, v1, v2
	v_cmp_class_f32_e64 s[6:7], v2, s10
	v_trunc_f32_e32 v4, v19
	v_cndmask_b32_e64 v1, v1, v2, s[6:7]
	v_cndmask_b32_e64 v2, v18, 1.0, vcc
	v_cmp_eq_f32_e32 vcc, v4, v19
	v_mul_f32_e32 v4, 0.5, v19
	v_trunc_f32_e32 v6, v4
	v_cmp_neq_f32_e64 s[6:7], v6, v4
	s_and_b64 s[6:7], vcc, s[6:7]
	v_cndmask_b32_e64 v4, 1.0, v2, s[6:7]
	s_brev_b32 s15, -2
	v_mov_b32_e32 v5, 0x7fc00000
	v_bfi_b32 v1, s15, v1, v4
	v_cndmask_b32_e32 v4, v5, v1, vcc
	v_cmp_gt_f32_e32 vcc, 0, v2
	v_cndmask_b32_e32 v1, v1, v4, vcc
	v_cmp_eq_f32_e32 vcc, s11, v20
	v_cmp_eq_f32_e64 s[10:11], 0, v2
	v_cmp_gt_f32_e64 s[12:13], 0, v19
	s_xor_b64 s[12:13], s[12:13], s[10:11]
	v_cndmask_b32_e64 v3, v3, 0, s[12:13]
	v_cndmask_b32_e64 v4, 0, v2, s[6:7]
	v_bfi_b32 v3, s15, v3, v4
	s_or_b64 vcc, vcc, s[10:11]
	v_cndmask_b32_e32 v1, v1, v3, vcc
	v_cmp_o_f32_e32 vcc, v2, v2
	v_cndmask_b32_e32 v41, v5, v1, vcc
.LBB71_4:
	s_load_dwordx4 s[52:55], s[4:5], 0x70
	s_ashr_i32 s15, s14, 31
	s_ashr_i32 s6, s49, 31
	s_lshl_b32 s22, s8, 4
	v_bfe_u32 v31, v0, 10, 10
	s_waitcnt lgkmcnt(0)
	s_mul_i32 s7, s33, s54
	s_ashr_i32 s11, s7, 31
	s_mul_i32 s10, s14, s53
	s_add_u32 s7, s16, s7
	s_addc_u32 s11, s17, s11
	s_ashr_i32 s12, s10, 31
	v_lshlrev_b32_e32 v28, 1, v31
	v_and_b32_e32 v29, 0x3ff, v0
	s_add_u32 s7, s7, s10
	v_lshlrev_b32_e32 v0, 4, v29
	v_add_u32_e32 v30, s22, v28
	v_add_co_u32_e32 v12, vcc, s7, v0
	v_mul_hi_u32 v0, v30, s36
	v_add_u32_e32 v0, v30, v0
	v_lshrrev_b32_e32 v0, s37, v0
	v_mul_lo_u32 v0, v0, s38
	s_addc_u32 s10, s11, s12
	s_ashr_i32 s12, s52, 31
	v_sub_u32_e32 v44, v30, v0
	v_mov_b32_e32 v0, s52
	v_mov_b32_e32 v1, s10
	v_alignbit_b32 v10, s12, v0, 2
	v_addc_co_u32_e32 v13, vcc, 0, v1, vcc
	v_mad_u64_u32 v[0:1], s[10:11], v10, v44, 0
	v_mov_b32_e32 v2, v1
	s_lshr_b32 s7, s12, 2
	v_mad_u64_u32 v[2:3], s[10:11], s7, v44, v[2:3]
	v_mov_b32_e32 v1, v2
	v_lshlrev_b64 v[0:1], 2, v[0:1]
	v_add_co_u32_e32 v8, vcc, v12, v0
	v_or_b32_e32 v17, 1, v28
	v_addc_co_u32_e32 v9, vcc, v13, v1, vcc
	v_add_u32_e32 v27, s22, v17
	global_load_dwordx4 v[0:3], v[8:9], off
	global_load_dwordx4 v[4:7], v[8:9], off offset:512
	v_mul_hi_u32 v8, v27, s36
	v_add_u32_e32 v8, v27, v8
	v_lshrrev_b32_e32 v8, s37, v8
	v_mul_lo_u32 v8, v8, s38
	v_sub_u32_e32 v11, v27, v8
	v_mad_u64_u32 v[8:9], s[10:11], v10, v11, 0
	v_mov_b32_e32 v10, v9
	v_mad_u64_u32 v[10:11], s[10:11], s7, v11, v[10:11]
	v_mov_b32_e32 v9, v10
	v_lshlrev_b64 v[8:9], 2, v[8:9]
	v_add_co_u32_e32 v18, vcc, v12, v8
	v_addc_co_u32_e32 v19, vcc, v13, v9, vcc
	global_load_dwordx4 v[8:11], v[18:19], off
	global_load_dwordx4 v[12:15], v[18:19], off offset:512
	v_lshlrev_b32_e32 v38, 1, v29
	v_lshlrev_b32_e32 v16, 8, v31
	v_add_lshl_u32 v16, v16, v38, 2
	v_lshlrev_b32_e32 v18, 7, v17
	v_lshlrev_b32_e32 v26, 2, v29
	v_add_u32_e32 v16, 0x2000, v16
	v_add_lshl_u32 v18, v18, v38, 2
	s_cmp_eq_u64 s[26:27], 0
	v_add_u32_e32 v18, 0x2000, v18
	s_waitcnt vmcnt(3)
	v_pk_mul_f32 v[0:1], v[0:1], s[40:41] op_sel_hi:[1,0]
	v_pk_mul_f32 v[2:3], v[2:3], s[40:41] op_sel_hi:[1,0]
	s_waitcnt vmcnt(2)
	v_pk_mul_f32 v[4:5], v[4:5], s[40:41] op_sel_hi:[1,0]
	v_pk_mul_f32 v[6:7], v[6:7], s[40:41] op_sel_hi:[1,0]
	v_cvt_f16_f32_e32 v19, v1
	v_cvt_f16_f32_e32 v0, v0
	v_cvt_f16_f32_e32 v1, v3
	v_cvt_f16_f32_e32 v2, v2
	v_cvt_f16_f32_e32 v5, v5
	v_cvt_f16_f32_e32 v4, v4
	v_cvt_f16_f32_e32 v3, v7
	v_cvt_f16_f32_e32 v6, v6
	v_pack_b32_f16 v1, v2, v1
	v_pack_b32_f16 v0, v0, v19
	;; [unrolled: 1-line block ×4, first 2 shown]
	s_waitcnt vmcnt(1)
	v_pk_mul_f32 v[8:9], v[8:9], s[40:41] op_sel_hi:[1,0]
	v_pk_mul_f32 v[10:11], v[10:11], s[40:41] op_sel_hi:[1,0]
	s_waitcnt vmcnt(0)
	v_pk_mul_f32 v[12:13], v[12:13], s[40:41] op_sel_hi:[1,0]
	v_pk_mul_f32 v[14:15], v[14:15], s[40:41] op_sel_hi:[1,0]
	v_cvt_f16_f32_e32 v7, v9
	v_cvt_f16_f32_e32 v8, v8
	;; [unrolled: 1-line block ×8, first 2 shown]
	v_pack_b32_f16 v5, v10, v9
	v_pack_b32_f16 v4, v8, v7
	;; [unrolled: 1-line block ×4, first 2 shown]
	ds_write2_b64 v16, v[0:1], v[2:3] offset0:64 offset1:96
	ds_write2_b64 v18, v[4:5], v[6:7] offset0:64 offset1:96
	s_waitcnt lgkmcnt(0)
	s_barrier
	s_cbranch_scc1 .LBB71_6
; %bb.5:
	s_load_dword s7, s[4:5], 0xd0
	s_mov_b32 s11, 0
	s_waitcnt lgkmcnt(0)
	s_mul_i32 s7, s7, s33
	s_add_i32 s10, s7, s8
	s_lshl_b64 s[10:11], s[10:11], 2
	s_add_u32 s10, s26, s10
	s_addc_u32 s11, s27, s11
	s_load_dword s44, s[10:11], 0x0
.LBB71_6:
	s_nop 0
	s_load_dwordx2 s[10:11], s[4:5], 0x8c
	s_load_dwordx4 s[40:43], s[4:5], 0x98
	s_load_dwordx2 s[12:13], s[4:5], 0xa8
	s_ashr_i32 s7, s33, 31
	s_ashr_i32 s26, s47, 1
	s_waitcnt lgkmcnt(0)
	s_ashr_i32 s27, s10, 2
	s_mul_i32 s10, s33, s41
	s_mul_hi_u32 s16, s33, s40
	s_add_i32 s10, s16, s10
	s_mul_i32 s16, s7, s40
	s_ashr_i32 s8, s42, 2
	s_add_i32 s10, s10, s16
	s_mul_i32 s16, s33, s40
	s_add_u32 s16, s18, s16
	s_mul_i32 s17, s46, s45
	s_addc_u32 s10, s19, s10
	s_sub_i32 s17, s48, s17
	s_xor_b32 s6, s15, s6
	s_add_i32 s18, s46, 1
	s_sub_i32 s19, s17, s45
	s_cmp_ge_u32 s17, s45
	s_cselect_b32 s18, s18, s46
	s_cselect_b32 s17, s19, s17
	s_add_i32 s19, s18, 1
	s_cmp_ge_u32 s17, s45
	s_cselect_b32 s17, s19, s18
	s_xor_b32 s17, s17, s6
	s_sub_i32 s6, s17, s6
	s_mul_i32 s11, s6, s11
	s_ashr_i32 s17, s11, 31
	s_add_u32 s40, s16, s11
	s_addc_u32 s41, s10, s17
	s_mul_i32 s10, s33, s13
	s_mul_hi_u32 s11, s33, s12
	s_add_i32 s10, s11, s10
	s_mul_i32 s7, s7, s12
	s_add_i32 s10, s10, s7
	s_mul_i32 s7, s33, s12
	s_add_u32 s7, s20, s7
	s_mul_i32 s6, s6, s43
	s_addc_u32 s10, s21, s10
	s_ashr_i32 s11, s6, 31
	s_add_u32 s18, s7, s6
	s_addc_u32 s19, s10, s11
	s_lshl_b32 s20, s9, 5
	s_sub_i32 s21, s44, 32
	v_mul_lo_u32 v14, s8, v31
	s_mov_b32 s6, 0xfeffffff
	s_cmp_ge_i32 s20, s21
	v_mov_b32_e32 v11, 0
	v_mov_b32_e32 v39, 0
	v_lshrrev_b32_e32 v46, 4, v29
	v_and_b32_e32 v16, 60, v26
	v_lshlrev_b32_e32 v33, 2, v26
	v_ashrrev_i32_e32 v15, 31, v14
	v_lshl_add_u32 v12, s8, 3, v14
	v_lshlrev_b32_e32 v32, 2, v38
	v_mbcnt_lo_u32_b32 v45, -1, 0
	s_cbranch_scc1 .LBB71_23
; %bb.7:
	v_mov_b32_e32 v4, 0x2200
	v_lshl_add_u32 v50, v31, 10, v4
	v_or_b32_e32 v4, 1, v30
	v_mul_hi_u32 v5, s36, v4
	v_add_u32_e32 v5, v4, v5
	v_lshrrev_b32_e32 v5, s37, v5
	v_add_u32_e32 v0, v46, v28
	v_lshlrev_b32_e32 v1, 2, v16
	s_movk_i32 s6, 0x110
	v_mul_lo_u32 v5, v5, s38
	v_mad_u32_u24 v47, v0, s6, v1
	v_mul_lo_u32 v0, s27, v0
	v_sub_u32_e32 v4, v4, v5
	v_lshl_add_u32 v2, s27, 4, v0
	s_cmp_lg_u64 s[34:35], 0
	v_mul_lo_u32 v52, v4, s26
	v_mov_b32_e32 v4, 0x4200
	v_mov_b32_e32 v34, 0
	v_ashrrev_i32_e32 v1, 31, v0
	v_ashrrev_i32_e32 v3, 31, v2
	s_cselect_b64 s[10:11], -1, 0
	v_lshl_add_u32 v53, v31, 7, v4
	v_lshl_add_u32 v55, v31, 9, v33
	v_ashrrev_i32_e32 v13, 31, v12
	s_add_u32 s12, s4, 0xd0
	v_mov_b32_e32 v8, 0xfeffffff
	v_add_u32_e32 v48, 0x1100, v47
	v_mul_u32_u24_e32 v49, 0x110, v29
	v_mul_lo_u32 v51, v44, s26
	v_lshl_add_u32 v54, v38, 1, v53
	v_add_u32_e32 v56, 0x1000, v55
	s_addc_u32 s13, s5, 0
	v_lshlrev_b64 v[18:19], 2, v[0:1]
	v_lshlrev_b32_e32 v57, 2, v16
	v_lshlrev_b64 v[20:21], 2, v[2:3]
	s_mov_b32 s42, 0x3f200000
	s_mov_b32 s43, 0x3fb8aa3b
	;; [unrolled: 1-line block ×4, first 2 shown]
	v_mov_b32_e32 v58, 0xbd5c1c4e
	v_mov_b32_e32 v59, 0x3e088382
	;; [unrolled: 1-line block ×3, first 2 shown]
	s_brev_b32 s47, -2
	v_mbcnt_hi_u32_b32 v61, -1, v45
	v_lshlrev_b64 v[22:23], 2, v[14:15]
	v_lshlrev_b64 v[24:25], 2, v[12:13]
	v_mov_b32_e32 v13, 0x7f800000
	v_mov_b32_e32 v36, 0
	;; [unrolled: 1-line block ×11, first 2 shown]
	s_branch .LBB71_11
.LBB71_8:                               ;   in Loop: Header=BB71_11 Depth=1
	s_or_b64 exec, exec, s[16:17]
	s_and_b64 vcc, exec, s[6:7]
	s_cbranch_vccnz .LBB71_17
; %bb.9:                                ;   in Loop: Header=BB71_11 Depth=1
	v_add_u32_e32 v66, v1, v52
	v_ashrrev_i32_e32 v67, 31, v66
	v_lshlrev_b64 v[66:67], 1, v[66:67]
	v_mov_b32_e32 v1, s35
	v_add_co_u32_e32 v66, vcc, s34, v66
	v_addc_co_u32_e32 v67, vcc, v1, v67, vcc
	flat_load_ushort v1, v[66:67]
	s_waitcnt vmcnt(0) lgkmcnt(0)
	v_cvt_f32_f16_e32 v1, v1
	v_mul_f32_e32 v1, v41, v1
.LBB71_10:                              ;   in Loop: Header=BB71_11 Depth=1
	v_bfi_b32 v4, s47, v64, v4
	v_fmac_f32_e32 v1, s23, v4
	v_add_f32_e32 v4, 0x40051340, v1
	v_max_f32_e32 v64, v9, v9
	v_max_f32_e32 v4, v64, v4
	ds_bpermute_b32 v62, v62, v4
	s_mul_hi_i32 s7, s20, s8
	s_mul_i32 s6, s20, s8
	s_lshl_b64 s[6:7], s[6:7], 2
	s_add_u32 s6, s18, s6
	s_waitcnt lgkmcnt(0)
	v_max_f32_e32 v62, v62, v62
	v_max_f32_e32 v4, v4, v62
	ds_bpermute_b32 v62, v63, v4
	s_addc_u32 s7, s19, s7
	s_waitcnt lgkmcnt(0)
	s_barrier
	v_max_f32_e32 v62, v62, v62
	v_max_f32_e32 v4, v4, v62
	ds_bpermute_b32 v7, v7, v4
	v_mov_b32_e32 v62, s7
	v_max_f32_e32 v3, v3, v3
	v_max_f32_e32 v2, v2, v2
	v_add_u32_e32 v110, 0x800, v32
	s_waitcnt lgkmcnt(0)
	v_max_f32_e32 v7, v7, v7
	v_max_f32_e32 v4, v4, v7
	ds_bpermute_b32 v5, v5, v4
	v_add_co_u32_e32 v7, vcc, s6, v22
	v_addc_co_u32_e32 v62, vcc, v62, v23, vcc
	v_add_co_u32_e32 v66, vcc, v7, v33
	s_waitcnt lgkmcnt(0)
	v_max_f32_e32 v5, v5, v5
	v_addc_co_u32_e32 v67, vcc, 0, v62, vcc
	v_max_f32_e32 v70, v4, v5
	v_mov_b32_e32 v4, s7
	v_add_co_u32_e32 v5, vcc, s6, v24
	v_addc_co_u32_e32 v4, vcc, v4, v25, vcc
	v_add_co_u32_e32 v68, vcc, v5, v33
	ds_bpermute_b32 v71, v6, v70
	v_addc_co_u32_e32 v69, vcc, 0, v4, vcc
	global_load_dwordx4 v[4:7], v[66:67], off
	global_load_dwordx4 v[62:65], v[68:69], off
	v_mov_b32_e32 v66, v8
	s_waitcnt lgkmcnt(0)
	v_max_f32_e32 v8, v71, v71
	v_mov_b32_e32 v67, v9
	v_max_f32_e32 v9, v70, v8
	v_max_f32_e32 v8, v2, v3
	v_pk_add_f32 v[0:1], v[0:1], v[8:9] neg_lo:[0,1] neg_hi:[0,1]
	v_mul_f32_e32 v2, 0x3fb8aa3b, v1
	v_fma_f32 v3, v1, s43, -v2
	v_rndne_f32_e32 v68, v2
	v_fmac_f32_e32 v3, 0x32a5705f, v1
	v_sub_f32_e32 v2, v2, v68
	v_add_f32_e32 v2, v2, v3
	v_exp_f32_e32 v2, v2
	v_cvt_i32_f32_e32 v3, v68
	v_cmp_ngt_f32_e32 vcc, s45, v1
	s_or_b32 s6, s20, 16
	s_mul_hi_i32 s7, s6, s8
	v_ldexp_f32 v2, v2, v3
	v_mul_f32_e32 v3, 0x3fb8aa3b, v0
	v_fma_f32 v68, v0, s43, -v3
	v_rndne_f32_e32 v69, v3
	v_fmac_f32_e32 v68, 0x32a5705f, v0
	v_sub_f32_e32 v3, v3, v69
	v_add_f32_e32 v3, v3, v68
	v_exp_f32_e32 v3, v3
	v_cvt_i32_f32_e32 v68, v69
	v_cndmask_b32_e32 v2, 0, v2, vcc
	v_cmp_nlt_f32_e32 vcc, s46, v1
	v_cndmask_b32_e32 v1, v13, v2, vcc
	v_ldexp_f32 v2, v3, v68
	v_cmp_ngt_f32_e32 vcc, s45, v0
	v_cndmask_b32_e32 v2, 0, v2, vcc
	v_cmp_nlt_f32_e32 vcc, s46, v0
	v_cndmask_b32_e32 v0, v13, v2, vcc
	v_cvt_f16_f32_e32 v2, v1
	v_cvt_f16_f32_e32 v3, v0
	s_mul_i32 s6, s6, s8
	s_lshl_b64 s[6:7], s[6:7], 2
	s_add_u32 s6, s18, s6
	v_pack_b32_f16 v68, v3, v2
	v_pk_add_f32 v[2:3], v[66:67], v[8:9] neg_lo:[0,1] neg_hi:[0,1]
	v_mul_f32_e32 v66, 0x3fb8aa3b, v3
	v_fma_f32 v67, v3, s43, -v66
	v_rndne_f32_e32 v69, v66
	v_fmac_f32_e32 v67, 0x32a5705f, v3
	v_sub_f32_e32 v66, v66, v69
	v_add_f32_e32 v66, v66, v67
	v_cvt_i32_f32_e32 v67, v69
	v_mul_f32_e32 v69, 0x3fb8aa3b, v2
	v_fma_f32 v70, v2, s43, -v69
	v_rndne_f32_e32 v71, v69
	v_fmac_f32_e32 v70, 0x32a5705f, v2
	v_sub_f32_e32 v69, v69, v71
	v_exp_f32_e32 v66, v66
	v_add_f32_e32 v69, v69, v70
	v_exp_f32_e32 v69, v69
	v_cvt_i32_f32_e32 v70, v71
	v_ldexp_f32 v66, v66, v67
	v_cmp_ngt_f32_e32 vcc, s45, v3
	v_cndmask_b32_e32 v66, 0, v66, vcc
	v_ldexp_f32 v67, v69, v70
	v_cmp_ngt_f32_e32 vcc, s45, v2
	v_cndmask_b32_e32 v67, 0, v67, vcc
	v_cmp_nlt_f32_e32 vcc, s46, v2
	v_cndmask_b32_e32 v2, v13, v67, vcc
	v_cmp_nlt_f32_e32 vcc, s46, v3
	v_cndmask_b32_e32 v3, v13, v66, vcc
	ds_write_b32 v54, v68
	s_waitcnt vmcnt(1)
	ds_write_b128 v55, v[4:7]
	s_waitcnt vmcnt(0)
	ds_write_b128 v56, v[62:65]
	s_waitcnt lgkmcnt(0)
	s_barrier
	ds_read2_b64 v[62:65], v32 offset1:32
	ds_read_b128 v[66:69], v53
	v_cvt_f16_f32_e32 v75, v3
	v_cvt_f16_f32_e32 v74, v2
	v_pk_fma_f32 v[10:11], v[10:11], v[2:3], v[0:1]
	ds_read_b128 v[70:73], v53 offset:16
	ds_read_b128 v[4:7], v53 offset:32
	ds_read_b128 v[0:3], v53 offset:48
	v_pk_mul_f16 v77, v75, v34 op_sel_hi:[0,1]
	s_waitcnt lgkmcnt(3)
	v_pk_mul_f16 v34, v62, v66 op_sel_hi:[1,0]
	v_pk_fma_f16 v39, v74, v39, v34 op_sel_hi:[0,1,1]
	v_pk_mul_f16 v34, v62, v66 op_sel:[0,1]
	v_pk_mul_f16 v37, v75, v37 op_sel_hi:[0,1]
	v_pk_fma_f16 v62, v75, v35, v34 op_sel_hi:[0,1,1]
	v_pk_mul_f16 v34, v63, v66 op_sel_hi:[1,0]
	v_pk_mul_f16 v76, v75, v36 op_sel_hi:[0,1]
	v_pk_fma_f16 v40, v74, v40, v34 op_sel_hi:[0,1,1]
	v_pk_fma_f16 v63, v63, v66, v37 op_sel:[0,1,0]
	ds_read2_b64 v[34:37], v32 offset0:64 offset1:96
	v_pk_mul_f16 v43, v74, v43 op_sel_hi:[0,1]
	v_pk_mul_f16 v42, v74, v42 op_sel_hi:[0,1]
	v_pk_fma_f16 v43, v64, v66, v43 op_sel_hi:[1,0,1]
	v_pk_fma_f16 v74, v64, v66, v76 op_sel:[0,1,0]
	v_pk_fma_f16 v42, v65, v66, v42 op_sel_hi:[1,0,1]
	v_pk_fma_f16 v66, v65, v66, v77 op_sel:[0,1,0]
	s_waitcnt lgkmcnt(0)
	v_pk_fma_f16 v39, v34, v67, v39 op_sel_hi:[1,0,1]
	v_pk_fma_f16 v34, v34, v67, v62 op_sel:[0,1,0]
	v_pk_fma_f16 v40, v35, v67, v40 op_sel_hi:[1,0,1]
	v_pk_fma_f16 v35, v35, v67, v63 op_sel:[0,1,0]
	ds_read2_b64 v[62:65], v32 offset0:128 offset1:160
	v_pk_fma_f16 v43, v36, v67, v43 op_sel_hi:[1,0,1]
	v_pk_fma_f16 v74, v36, v67, v74 op_sel:[0,1,0]
	v_pk_fma_f16 v42, v37, v67, v42 op_sel_hi:[1,0,1]
	v_pk_fma_f16 v66, v37, v67, v66 op_sel:[0,1,0]
	s_waitcnt lgkmcnt(0)
	v_pk_fma_f16 v39, v62, v68, v39 op_sel_hi:[1,0,1]
	v_pk_fma_f16 v62, v62, v68, v34 op_sel:[0,1,0]
	v_pk_fma_f16 v40, v63, v68, v40 op_sel_hi:[1,0,1]
	v_pk_fma_f16 v63, v63, v68, v35 op_sel:[0,1,0]
	ds_read2_b64 v[34:37], v32 offset0:192 offset1:224
	v_pk_fma_f16 v43, v64, v68, v43 op_sel_hi:[1,0,1]
	v_pk_fma_f16 v67, v64, v68, v74 op_sel:[0,1,0]
	v_pk_fma_f16 v42, v65, v68, v42 op_sel_hi:[1,0,1]
	v_pk_fma_f16 v66, v65, v68, v66 op_sel:[0,1,0]
	s_waitcnt lgkmcnt(0)
	v_pk_fma_f16 v39, v34, v69, v39 op_sel_hi:[1,0,1]
	v_pk_fma_f16 v34, v34, v69, v62 op_sel:[0,1,0]
	v_pk_fma_f16 v40, v35, v69, v40 op_sel_hi:[1,0,1]
	v_pk_fma_f16 v35, v35, v69, v63 op_sel:[0,1,0]
	ds_read2_b64 v[62:65], v110 offset1:32
	v_pk_fma_f16 v43, v36, v69, v43 op_sel_hi:[1,0,1]
	v_pk_fma_f16 v67, v36, v69, v67 op_sel:[0,1,0]
	v_pk_fma_f16 v42, v37, v69, v42 op_sel_hi:[1,0,1]
	v_pk_fma_f16 v66, v37, v69, v66 op_sel:[0,1,0]
	s_waitcnt lgkmcnt(0)
	v_pk_fma_f16 v39, v62, v70, v39 op_sel_hi:[1,0,1]
	v_pk_fma_f16 v62, v62, v70, v34 op_sel:[0,1,0]
	v_pk_fma_f16 v40, v63, v70, v40 op_sel_hi:[1,0,1]
	v_pk_fma_f16 v63, v63, v70, v35 op_sel:[0,1,0]
	ds_read2_b64 v[34:37], v110 offset0:64 offset1:96
	v_pk_fma_f16 v43, v64, v70, v43 op_sel_hi:[1,0,1]
	v_pk_fma_f16 v42, v65, v70, v42 op_sel_hi:[1,0,1]
	s_addc_u32 s7, s19, s7
	v_pk_fma_f16 v67, v64, v70, v67 op_sel:[0,1,0]
	s_waitcnt lgkmcnt(0)
	v_pk_fma_f16 v113, v36, v71, v43 op_sel_hi:[1,0,1]
	v_pk_fma_f16 v115, v37, v71, v42 op_sel_hi:[1,0,1]
	v_mov_b32_e32 v42, s7
	v_add_co_u32_e32 v43, vcc, s6, v22
	v_pk_fma_f16 v66, v65, v70, v66 op_sel:[0,1,0]
	v_addc_co_u32_e32 v70, vcc, v42, v23, vcc
	v_add_co_u32_e32 v42, vcc, v43, v33
	v_addc_co_u32_e32 v43, vcc, 0, v70, vcc
	v_pk_fma_f16 v39, v34, v71, v39 op_sel_hi:[1,0,1]
	v_pk_fma_f16 v111, v34, v71, v62 op_sel:[0,1,0]
	v_pk_fma_f16 v40, v35, v71, v40 op_sel_hi:[1,0,1]
	v_pk_fma_f16 v112, v35, v71, v63 op_sel:[0,1,0]
	v_pk_fma_f16 v114, v36, v71, v67 op_sel:[0,1,0]
	v_pk_fma_f16 v116, v37, v71, v66 op_sel:[0,1,0]
	v_mov_b32_e32 v70, s7
	v_add_co_u32_e32 v71, vcc, s6, v24
	v_addc_co_u32_e32 v102, vcc, v70, v25, vcc
	v_add_u32_e32 v117, 0x1000, v32
	v_add_u32_e32 v118, 0x1800, v32
	v_add_co_u32_e32 v70, vcc, v71, v33
	ds_read2_b64 v[62:65], v110 offset0:128 offset1:160
	ds_read2_b64 v[34:37], v110 offset0:192 offset1:224
	ds_read2_b64 v[66:69], v117 offset1:32
	ds_read2_b64 v[74:77], v117 offset0:64 offset1:96
	ds_read2_b64 v[78:81], v117 offset0:128 offset1:160
	;; [unrolled: 1-line block ×3, first 2 shown]
	ds_read2_b64 v[86:89], v118 offset1:32
	ds_read2_b64 v[90:93], v118 offset0:64 offset1:96
	ds_read2_b64 v[94:97], v118 offset0:128 offset1:160
	;; [unrolled: 1-line block ×3, first 2 shown]
	s_waitcnt lgkmcnt(0)
	s_barrier
	v_addc_co_u32_e32 v71, vcc, 0, v102, vcc
	global_load_dwordx4 v[102:105], v[42:43], off
	global_load_dwordx4 v[106:109], v[70:71], off
	v_pk_fma_f16 v39, v62, v72, v39 op_sel_hi:[1,0,1]
	v_pk_fma_f16 v42, v62, v72, v111 op_sel:[0,1,0]
	v_pk_fma_f16 v40, v63, v72, v40 op_sel_hi:[1,0,1]
	v_pk_fma_f16 v43, v63, v72, v112 op_sel:[0,1,0]
	;; [unrolled: 2-line block ×36, first 2 shown]
	v_pk_fma_f16 v40, v98, v3, v4 op_sel:[0,1,0]
	v_pk_fma_f16 v42, v99, v3, v5 op_sel_hi:[1,0,1]
	v_pk_fma_f16 v43, v99, v3, v6 op_sel:[0,1,0]
	v_pk_fma_f16 v74, v100, v3, v7 op_sel_hi:[1,0,1]
	;; [unrolled: 2-line block ×3, first 2 shown]
	s_waitcnt vmcnt(1)
	ds_write_b128 v55, v[102:105]
	s_waitcnt vmcnt(0)
	ds_write_b128 v56, v[106:109]
	s_waitcnt lgkmcnt(0)
	s_barrier
	ds_read2_b64 v[4:7], v32 offset1:32
	ds_read_b128 v[34:37], v53 offset:64
	v_pk_fma_f16 v39, v98, v3, v1 op_sel_hi:[1,0,1]
	v_pk_fma_f16 v77, v101, v3, v0 op_sel:[0,1,0]
	ds_read_b128 v[0:3], v53 offset:80
	ds_read_b128 v[62:65], v53 offset:96
	;; [unrolled: 1-line block ×3, first 2 shown]
	ds_read2_b64 v[70:73], v32 offset0:64 offset1:96
	s_waitcnt lgkmcnt(4)
	v_pk_fma_f16 v39, v4, v34, v39 op_sel_hi:[1,0,1]
	v_pk_fma_f16 v4, v4, v34, v40 op_sel:[0,1,0]
	v_pk_fma_f16 v40, v5, v34, v42 op_sel_hi:[1,0,1]
	v_pk_fma_f16 v5, v5, v34, v43 op_sel:[0,1,0]
	;; [unrolled: 2-line block ×4, first 2 shown]
	s_waitcnt lgkmcnt(0)
	v_pk_fma_f16 v39, v70, v35, v39 op_sel_hi:[1,0,1]
	v_pk_fma_f16 v70, v70, v35, v4 op_sel:[0,1,0]
	v_pk_fma_f16 v40, v71, v35, v40 op_sel_hi:[1,0,1]
	v_pk_fma_f16 v71, v71, v35, v5 op_sel:[0,1,0]
	ds_read2_b64 v[4:7], v32 offset0:128 offset1:160
	v_pk_fma_f16 v42, v72, v35, v42 op_sel_hi:[1,0,1]
	v_pk_fma_f16 v43, v72, v35, v43 op_sel:[0,1,0]
	v_pk_fma_f16 v74, v73, v35, v74 op_sel_hi:[1,0,1]
	v_pk_fma_f16 v34, v73, v35, v34 op_sel:[0,1,0]
	s_waitcnt lgkmcnt(0)
	v_pk_fma_f16 v35, v4, v36, v39 op_sel_hi:[1,0,1]
	v_pk_fma_f16 v4, v4, v36, v70 op_sel:[0,1,0]
	v_pk_fma_f16 v39, v5, v36, v40 op_sel_hi:[1,0,1]
	v_pk_fma_f16 v5, v5, v36, v71 op_sel:[0,1,0]
	ds_read2_b64 v[70:73], v32 offset0:192 offset1:224
	v_pk_fma_f16 v40, v6, v36, v42 op_sel_hi:[1,0,1]
	v_pk_fma_f16 v42, v6, v36, v43 op_sel:[0,1,0]
	v_pk_fma_f16 v43, v7, v36, v74 op_sel_hi:[1,0,1]
	v_pk_fma_f16 v34, v7, v36, v34 op_sel:[0,1,0]
	s_waitcnt lgkmcnt(0)
	v_pk_fma_f16 v35, v70, v37, v35 op_sel_hi:[1,0,1]
	v_pk_fma_f16 v36, v70, v37, v4 op_sel:[0,1,0]
	v_pk_fma_f16 v70, v71, v37, v5 op_sel:[0,1,0]
	ds_read2_b64 v[4:7], v110 offset1:32
	v_pk_fma_f16 v39, v71, v37, v39 op_sel_hi:[1,0,1]
	v_pk_fma_f16 v40, v72, v37, v40 op_sel_hi:[1,0,1]
	v_pk_fma_f16 v42, v72, v37, v42 op_sel:[0,1,0]
	v_pk_fma_f16 v43, v73, v37, v43 op_sel_hi:[1,0,1]
	v_pk_fma_f16 v71, v73, v37, v34 op_sel:[0,1,0]
	s_waitcnt lgkmcnt(0)
	v_pk_fma_f16 v72, v4, v0, v35 op_sel_hi:[1,0,1]
	v_pk_fma_f16 v4, v4, v0, v36 op_sel:[0,1,0]
	ds_read2_b64 v[34:37], v110 offset0:64 offset1:96
	v_pk_fma_f16 v39, v5, v0, v39 op_sel_hi:[1,0,1]
	v_pk_fma_f16 v5, v5, v0, v70 op_sel:[0,1,0]
	v_pk_fma_f16 v40, v6, v0, v40 op_sel_hi:[1,0,1]
	v_pk_fma_f16 v42, v6, v0, v42 op_sel:[0,1,0]
	;; [unrolled: 2-line block ×3, first 2 shown]
	s_waitcnt lgkmcnt(0)
	v_pk_fma_f16 v70, v34, v1, v72 op_sel_hi:[1,0,1]
	v_pk_fma_f16 v34, v34, v1, v4 op_sel:[0,1,0]
	v_pk_fma_f16 v39, v35, v1, v39 op_sel_hi:[1,0,1]
	v_pk_fma_f16 v35, v35, v1, v5 op_sel:[0,1,0]
	ds_read2_b64 v[4:7], v110 offset0:128 offset1:160
	v_pk_fma_f16 v40, v36, v1, v40 op_sel_hi:[1,0,1]
	v_pk_fma_f16 v42, v36, v1, v42 op_sel:[0,1,0]
	v_pk_fma_f16 v43, v37, v1, v43 op_sel_hi:[1,0,1]
	v_pk_fma_f16 v0, v37, v1, v0 op_sel:[0,1,0]
	s_waitcnt lgkmcnt(0)
	v_pk_fma_f16 v1, v4, v2, v70 op_sel_hi:[1,0,1]
	v_pk_fma_f16 v4, v4, v2, v34 op_sel:[0,1,0]
	v_pk_fma_f16 v39, v5, v2, v39 op_sel_hi:[1,0,1]
	v_pk_fma_f16 v5, v5, v2, v35 op_sel:[0,1,0]
	ds_read2_b64 v[34:37], v110 offset0:192 offset1:224
	v_pk_fma_f16 v40, v6, v2, v40 op_sel_hi:[1,0,1]
	v_pk_fma_f16 v42, v6, v2, v42 op_sel:[0,1,0]
	v_pk_fma_f16 v43, v7, v2, v43 op_sel_hi:[1,0,1]
	v_pk_fma_f16 v0, v7, v2, v0 op_sel:[0,1,0]
	s_waitcnt lgkmcnt(0)
	v_pk_fma_f16 v1, v34, v3, v1 op_sel_hi:[1,0,1]
	v_pk_fma_f16 v2, v34, v3, v4 op_sel:[0,1,0]
	v_pk_fma_f16 v34, v35, v3, v39 op_sel_hi:[1,0,1]
	v_pk_fma_f16 v35, v35, v3, v5 op_sel:[0,1,0]
	ds_read2_b64 v[4:7], v117 offset1:32
	v_pk_fma_f16 v39, v36, v3, v40 op_sel_hi:[1,0,1]
	v_pk_fma_f16 v36, v36, v3, v42 op_sel:[0,1,0]
	v_pk_fma_f16 v40, v37, v3, v43 op_sel_hi:[1,0,1]
	v_pk_fma_f16 v37, v37, v3, v0 op_sel:[0,1,0]
	s_waitcnt lgkmcnt(0)
	v_pk_fma_f16 v42, v4, v62, v1 op_sel_hi:[1,0,1]
	v_pk_fma_f16 v4, v4, v62, v2 op_sel:[0,1,0]
	ds_read2_b64 v[0:3], v117 offset0:64 offset1:96
	v_pk_fma_f16 v34, v5, v62, v34 op_sel_hi:[1,0,1]
	v_pk_fma_f16 v5, v5, v62, v35 op_sel:[0,1,0]
	v_pk_fma_f16 v35, v6, v62, v39 op_sel_hi:[1,0,1]
	v_pk_fma_f16 v36, v6, v62, v36 op_sel:[0,1,0]
	;; [unrolled: 2-line block ×3, first 2 shown]
	s_waitcnt lgkmcnt(0)
	v_pk_fma_f16 v40, v0, v63, v42 op_sel_hi:[1,0,1]
	v_pk_fma_f16 v0, v0, v63, v4 op_sel:[0,1,0]
	v_pk_fma_f16 v34, v1, v63, v34 op_sel_hi:[1,0,1]
	v_pk_fma_f16 v1, v1, v63, v5 op_sel:[0,1,0]
	ds_read2_b64 v[4:7], v117 offset0:128 offset1:160
	v_pk_fma_f16 v35, v2, v63, v35 op_sel_hi:[1,0,1]
	v_pk_fma_f16 v36, v2, v63, v36 op_sel:[0,1,0]
	v_pk_fma_f16 v39, v3, v63, v39 op_sel_hi:[1,0,1]
	v_pk_fma_f16 v37, v3, v63, v37 op_sel:[0,1,0]
	s_waitcnt lgkmcnt(0)
	v_pk_fma_f16 v40, v4, v64, v40 op_sel_hi:[1,0,1]
	v_pk_fma_f16 v4, v4, v64, v0 op_sel:[0,1,0]
	v_pk_fma_f16 v34, v5, v64, v34 op_sel_hi:[1,0,1]
	v_pk_fma_f16 v5, v5, v64, v1 op_sel:[0,1,0]
	ds_read2_b64 v[0:3], v117 offset0:192 offset1:224
	v_pk_fma_f16 v35, v6, v64, v35 op_sel_hi:[1,0,1]
	v_pk_fma_f16 v36, v6, v64, v36 op_sel:[0,1,0]
	v_pk_fma_f16 v39, v7, v64, v39 op_sel_hi:[1,0,1]
	v_pk_fma_f16 v37, v7, v64, v37 op_sel:[0,1,0]
	s_waitcnt lgkmcnt(0)
	v_pk_fma_f16 v40, v0, v65, v40 op_sel_hi:[1,0,1]
	v_pk_fma_f16 v0, v0, v65, v4 op_sel:[0,1,0]
	v_pk_fma_f16 v34, v1, v65, v34 op_sel_hi:[1,0,1]
	v_pk_fma_f16 v1, v1, v65, v5 op_sel:[0,1,0]
	ds_read2_b64 v[4:7], v118 offset1:32
	v_pk_fma_f16 v35, v2, v65, v35 op_sel_hi:[1,0,1]
	v_pk_fma_f16 v36, v2, v65, v36 op_sel:[0,1,0]
	v_pk_fma_f16 v39, v3, v65, v39 op_sel_hi:[1,0,1]
	v_pk_fma_f16 v37, v3, v65, v37 op_sel:[0,1,0]
	s_waitcnt lgkmcnt(0)
	v_pk_fma_f16 v40, v4, v66, v40 op_sel_hi:[1,0,1]
	v_pk_fma_f16 v4, v4, v66, v0 op_sel:[0,1,0]
	v_pk_fma_f16 v34, v5, v66, v34 op_sel_hi:[1,0,1]
	v_pk_fma_f16 v5, v5, v66, v1 op_sel:[0,1,0]
	ds_read2_b64 v[0:3], v118 offset0:64 offset1:96
	v_pk_fma_f16 v35, v6, v66, v35 op_sel_hi:[1,0,1]
	v_pk_fma_f16 v36, v6, v66, v36 op_sel:[0,1,0]
	v_pk_fma_f16 v39, v7, v66, v39 op_sel_hi:[1,0,1]
	v_pk_fma_f16 v37, v7, v66, v37 op_sel:[0,1,0]
	s_waitcnt lgkmcnt(0)
	v_pk_fma_f16 v40, v0, v67, v40 op_sel_hi:[1,0,1]
	v_pk_fma_f16 v0, v0, v67, v4 op_sel:[0,1,0]
	v_pk_fma_f16 v34, v1, v67, v34 op_sel_hi:[1,0,1]
	v_pk_fma_f16 v1, v1, v67, v5 op_sel:[0,1,0]
	ds_read2_b64 v[4:7], v118 offset0:128 offset1:160
	;; [unrolled: 10-line block ×3, first 2 shown]
	s_waitcnt lgkmcnt(0)
	s_barrier
	s_load_dword s6, s[12:13], 0x4
	v_pk_fma_f16 v42, v6, v68, v35 op_sel_hi:[1,0,1]
	v_pk_fma_f16 v6, v6, v68, v36 op_sel:[0,1,0]
	v_pk_fma_f16 v62, v7, v68, v39 op_sel_hi:[1,0,1]
	v_pk_fma_f16 v7, v7, v68, v37 op_sel:[0,1,0]
	s_waitcnt lgkmcnt(0)
	s_lshl_b32 s6, s6, 5
	s_add_i32 s20, s6, s20
	v_pk_fma_f16 v39, v0, v69, v40 op_sel_hi:[1,0,1]
	v_pk_fma_f16 v35, v0, v69, v4 op_sel:[0,1,0]
	v_pk_fma_f16 v40, v1, v69, v34 op_sel_hi:[1,0,1]
	v_pk_fma_f16 v37, v1, v69, v5 op_sel:[0,1,0]
	;; [unrolled: 2-line block ×3, first 2 shown]
	v_pk_fma_f16 v42, v3, v69, v62 op_sel_hi:[1,0,1]
	s_cmp_lt_i32 s20, s21
	v_pk_fma_f16 v34, v3, v69, v7 op_sel:[0,1,0]
	s_cbranch_scc0 .LBB71_24
.LBB71_11:                              ; =>This Inner Loop Header: Depth=1
	s_mul_hi_i32 s7, s20, s27
	s_mul_i32 s6, s20, s27
	s_lshl_b64 s[6:7], s[6:7], 2
	s_add_u32 s6, s40, s6
	s_addc_u32 s7, s41, s7
	v_mov_b32_e32 v0, s7
	v_add_co_u32_e32 v1, vcc, s6, v18
	v_addc_co_u32_e32 v2, vcc, v0, v19, vcc
	v_add_co_u32_e32 v0, vcc, v1, v57
	v_addc_co_u32_e32 v1, vcc, 0, v2, vcc
	v_mov_b32_e32 v2, s7
	v_add_co_u32_e32 v3, vcc, s6, v20
	v_addc_co_u32_e32 v4, vcc, v2, v21, vcc
	v_add_co_u32_e32 v2, vcc, v3, v57
	v_addc_co_u32_e32 v3, vcc, 0, v4, vcc
	global_load_dwordx4 v[4:7], v[0:1], off
	global_load_dwordx4 v[62:65], v[2:3], off
	s_waitcnt vmcnt(1)
	ds_write_b128 v47, v[4:7]
	s_waitcnt vmcnt(0)
	ds_write_b128 v48, v[62:65]
	s_waitcnt lgkmcnt(0)
	s_barrier
	ds_read_b128 v[62:65], v49
	ds_read_b128 v[66:69], v50
	v_mov_b32_e32 v5, 0
	ds_read_b128 v[70:73], v50 offset:512
	s_waitcnt lgkmcnt(1)
	;;#ASMSTART
	v_dot2_f32_f16 v5, v62, v66, v5
	;;#ASMEND
	;;#ASMSTART
	v_dot2_f32_f16 v5, v63, v67, v5
	;;#ASMEND
	v_mov_b32_e32 v4, 0
	;;#ASMSTART
	v_dot2_f32_f16 v5, v64, v68, v5
	;;#ASMEND
	;;#ASMSTART
	v_dot2_f32_f16 v5, v65, v69, v5
	;;#ASMEND
	s_waitcnt lgkmcnt(0)
	;;#ASMSTART
	v_dot2_f32_f16 v4, v62, v70, v4
	;;#ASMEND
	;;#ASMSTART
	v_dot2_f32_f16 v4, v63, v71, v4
	;;#ASMEND
	;;#ASMSTART
	v_dot2_f32_f16 v4, v64, v72, v4
	;;#ASMEND
	;;#ASMSTART
	v_dot2_f32_f16 v4, v65, v73, v4
	;;#ASMEND
	ds_read_b128 v[62:65], v49 offset:16
	ds_read_b128 v[66:69], v50 offset:16
	ds_read_b128 v[70:73], v50 offset:528
	s_waitcnt lgkmcnt(1)
	;;#ASMSTART
	v_dot2_f32_f16 v5, v62, v66, v5
	;;#ASMEND
	;;#ASMSTART
	v_dot2_f32_f16 v5, v63, v67, v5
	;;#ASMEND
	;;#ASMSTART
	v_dot2_f32_f16 v5, v64, v68, v5
	;;#ASMEND
	;;#ASMSTART
	v_dot2_f32_f16 v5, v65, v69, v5
	;;#ASMEND
	s_waitcnt lgkmcnt(0)
	;;#ASMSTART
	v_dot2_f32_f16 v4, v62, v70, v4
	;;#ASMEND
	;;#ASMSTART
	v_dot2_f32_f16 v4, v63, v71, v4
	;;#ASMEND
	;;#ASMSTART
	v_dot2_f32_f16 v4, v64, v72, v4
	;;#ASMEND
	;;#ASMSTART
	v_dot2_f32_f16 v4, v65, v73, v4
	;;#ASMEND
	ds_read_b128 v[62:65], v49 offset:32
	ds_read_b128 v[66:69], v50 offset:32
	ds_read_b128 v[70:73], v50 offset:544
	s_waitcnt lgkmcnt(1)
	;;#ASMSTART
	v_dot2_f32_f16 v5, v62, v66, v5
	;;#ASMEND
	;;#ASMSTART
	v_dot2_f32_f16 v5, v63, v67, v5
	;;#ASMEND
	;; [unrolled: 29-line block ×15, first 2 shown]
	;;#ASMSTART
	v_dot2_f32_f16 v5, v64, v68, v5
	;;#ASMEND
	;;#ASMSTART
	v_dot2_f32_f16 v5, v65, v69, v5
	;;#ASMEND
	s_waitcnt lgkmcnt(0)
	;;#ASMSTART
	v_dot2_f32_f16 v4, v62, v70, v4
	;;#ASMEND
	;;#ASMSTART
	v_dot2_f32_f16 v4, v63, v71, v4
	;;#ASMEND
	;; [unrolled: 3-line block ×4, first 2 shown]
	s_barrier
	global_load_dwordx4 v[62:65], v[0:1], off offset:256
	global_load_dwordx4 v[66:69], v[2:3], off offset:256
	s_waitcnt vmcnt(1)
	ds_write_b128 v47, v[62:65]
	s_waitcnt vmcnt(0)
	ds_write_b128 v48, v[66:69]
	s_waitcnt lgkmcnt(0)
	s_barrier
	ds_read_b128 v[0:3], v49
	ds_read_b128 v[62:65], v50 offset:256
	ds_read_b128 v[66:69], v50 offset:768
	s_waitcnt lgkmcnt(1)
	;;#ASMSTART
	v_dot2_f32_f16 v5, v0, v62, v5
	;;#ASMEND
	;;#ASMSTART
	v_dot2_f32_f16 v5, v1, v63, v5
	;;#ASMEND
	;;#ASMSTART
	v_dot2_f32_f16 v5, v2, v64, v5
	;;#ASMEND
	;;#ASMSTART
	v_dot2_f32_f16 v5, v3, v65, v5
	;;#ASMEND
	s_waitcnt lgkmcnt(0)
	;;#ASMSTART
	v_dot2_f32_f16 v4, v0, v66, v4
	;;#ASMEND
	;;#ASMSTART
	v_dot2_f32_f16 v4, v1, v67, v4
	;;#ASMEND
	;;#ASMSTART
	v_dot2_f32_f16 v4, v2, v68, v4
	;;#ASMEND
	;;#ASMSTART
	v_dot2_f32_f16 v4, v3, v69, v4
	;;#ASMEND
	ds_read_b128 v[0:3], v49 offset:16
	ds_read_b128 v[62:65], v50 offset:272
	ds_read_b128 v[66:69], v50 offset:784
	s_waitcnt lgkmcnt(1)
	;;#ASMSTART
	v_dot2_f32_f16 v5, v0, v62, v5
	;;#ASMEND
	;;#ASMSTART
	v_dot2_f32_f16 v5, v1, v63, v5
	;;#ASMEND
	;;#ASMSTART
	v_dot2_f32_f16 v5, v2, v64, v5
	;;#ASMEND
	;;#ASMSTART
	v_dot2_f32_f16 v5, v3, v65, v5
	;;#ASMEND
	s_waitcnt lgkmcnt(0)
	;;#ASMSTART
	v_dot2_f32_f16 v4, v0, v66, v4
	;;#ASMEND
	;;#ASMSTART
	v_dot2_f32_f16 v4, v1, v67, v4
	;;#ASMEND
	;;#ASMSTART
	v_dot2_f32_f16 v4, v2, v68, v4
	;;#ASMEND
	;;#ASMSTART
	v_dot2_f32_f16 v4, v3, v69, v4
	;;#ASMEND
	ds_read_b128 v[0:3], v49 offset:32
	;; [unrolled: 29-line block ×15, first 2 shown]
	ds_read_b128 v[62:65], v50 offset:496
	ds_read_b128 v[66:69], v50 offset:1008
	s_waitcnt lgkmcnt(1)
	;;#ASMSTART
	v_dot2_f32_f16 v5, v0, v62, v5
	;;#ASMEND
	;;#ASMSTART
	v_dot2_f32_f16 v5, v1, v63, v5
	;;#ASMEND
	;; [unrolled: 3-line block ×4, first 2 shown]
	s_waitcnt lgkmcnt(0)
	;;#ASMSTART
	v_dot2_f32_f16 v4, v0, v66, v4
	;;#ASMEND
	;;#ASMSTART
	v_dot2_f32_f16 v4, v1, v67, v4
	;;#ASMEND
	;; [unrolled: 3-line block ×3, first 2 shown]
	v_cmp_nlt_f32_e64 s[6:7], |v5|, s42
	;;#ASMSTART
	v_dot2_f32_f16 v4, v3, v69, v4
	;;#ASMEND
                                        ; implicit-def: $vgpr2
	s_and_saveexec_b64 s[16:17], s[6:7]
	s_xor_b64 s[6:7], exec, s[16:17]
	s_cbranch_execz .LBB71_13
; %bb.12:                               ;   in Loop: Header=BB71_11 Depth=1
	v_add_f32_e64 v0, |v5|, |v5|
	v_mul_f32_e32 v1, 0x3fb8aa3b, v0
	v_rndne_f32_e32 v2, v1
	v_sub_f32_e32 v3, v1, v2
	v_fma_f32 v1, v0, s43, -v1
	v_fmac_f32_e32 v1, 0x32a5705f, v0
	v_add_f32_e32 v1, v3, v1
	v_cvt_i32_f32_e32 v2, v2
	v_exp_f32_e32 v1, v1
	v_cmp_ngt_f32_e32 vcc, s45, v0
	v_ldexp_f32 v1, v1, v2
	v_cndmask_b32_e32 v1, 0, v1, vcc
	v_cmp_nlt_f32_e32 vcc, s46, v0
	v_cndmask_b32_e32 v0, v13, v1, vcc
	v_add_f32_e32 v0, 1.0, v0
	v_rcp_f32_e32 v0, v0
	v_fma_f32 v2, v0, -2.0, 1.0
.LBB71_13:                              ;   in Loop: Header=BB71_11 Depth=1
	s_andn2_saveexec_b64 s[6:7], s[6:7]
; %bb.14:                               ;   in Loop: Header=BB71_11 Depth=1
	v_mul_f32_e32 v0, v5, v5
	v_mov_b32_e32 v1, 0x3ca908c9
	v_fmac_f32_e32 v1, 0xbbbac73d, v0
	v_fma_f32 v1, v0, v1, v58
	v_fma_f32 v1, v0, v1, v59
	;; [unrolled: 1-line block ×3, first 2 shown]
	v_mul_f32_e64 v1, |v5|, v1
	v_fma_f32 v2, v0, v1, |v5|
; %bb.15:                               ;   in Loop: Header=BB71_11 Depth=1
	s_or_b64 exec, exec, s[6:7]
	v_cndmask_b32_e64 v0, 0, 1, s[10:11]
	v_cmp_ne_u32_e64 s[6:7], 1, v0
	s_andn2_b64 vcc, exec, s[10:11]
	v_add_u32_e32 v1, s20, v29
	s_cbranch_vccnz .LBB71_18
; %bb.16:                               ;   in Loop: Header=BB71_11 Depth=1
	v_add_u32_e32 v6, v1, v51
	v_ashrrev_i32_e32 v7, 31, v6
	v_lshlrev_b64 v[6:7], 1, v[6:7]
	v_mov_b32_e32 v0, s35
	v_add_co_u32_e32 v6, vcc, s34, v6
	v_addc_co_u32_e32 v7, vcc, v0, v7, vcc
	flat_load_ushort v0, v[6:7]
	s_waitcnt vmcnt(0) lgkmcnt(0)
	v_cvt_f32_f16_e32 v0, v0
	v_mul_f32_e32 v0, v41, v0
	s_branch .LBB71_19
.LBB71_17:                              ;   in Loop: Header=BB71_11 Depth=1
	v_mov_b32_e32 v1, 0
	s_branch .LBB71_10
.LBB71_18:                              ;   in Loop: Header=BB71_11 Depth=1
	v_mov_b32_e32 v0, 0
.LBB71_19:                              ;   in Loop: Header=BB71_11 Depth=1
	v_and_b32_e32 v3, 0x60, v61
	v_bfi_b32 v2, s47, v2, v5
	v_add_u32_e32 v3, 32, v3
	v_xor_b32_e32 v5, 16, v61
	v_cmp_lt_i32_e32 vcc, v5, v3
	v_cndmask_b32_e32 v5, v61, v5, vcc
	v_fmac_f32_e32 v0, s23, v2
	v_lshlrev_b32_e32 v62, 2, v5
	v_add_f32_e32 v2, 0x40051340, v0
	v_max_f32_e32 v5, v8, v8
	v_max_f32_e32 v2, v5, v2
	ds_bpermute_b32 v5, v62, v2
	v_xor_b32_e32 v6, 8, v61
	v_cmp_lt_i32_e32 vcc, v6, v3
	v_cndmask_b32_e32 v6, v61, v6, vcc
	v_lshlrev_b32_e32 v63, 2, v6
	s_waitcnt lgkmcnt(0)
	v_max_f32_e32 v5, v5, v5
	v_max_f32_e32 v2, v2, v5
	ds_bpermute_b32 v5, v63, v2
	v_xor_b32_e32 v6, 4, v61
	v_cmp_lt_i32_e32 vcc, v6, v3
	v_cndmask_b32_e32 v6, v61, v6, vcc
	v_lshlrev_b32_e32 v7, 2, v6
	s_waitcnt lgkmcnt(0)
	;; [unrolled: 8-line block ×4, first 2 shown]
	v_max_f32_e32 v3, v64, v64
	v_max_f32_e32 v2, v2, v3
	ds_bpermute_b32 v3, v6, v2
	v_cmp_nlt_f32_e64 s[16:17], |v4|, s42
                                        ; implicit-def: $vgpr64
	s_and_saveexec_b64 s[48:49], s[16:17]
	s_xor_b64 s[16:17], exec, s[48:49]
	s_cbranch_execnz .LBB71_21
; %bb.20:                               ;   in Loop: Header=BB71_11 Depth=1
	s_andn2_saveexec_b64 s[16:17], s[16:17]
	s_cbranch_execz .LBB71_8
	s_branch .LBB71_22
.LBB71_21:                              ;   in Loop: Header=BB71_11 Depth=1
	v_add_f32_e64 v64, |v4|, |v4|
	v_mul_f32_e32 v65, 0x3fb8aa3b, v64
	v_rndne_f32_e32 v66, v65
	v_sub_f32_e32 v67, v65, v66
	v_fma_f32 v65, v64, s43, -v65
	v_fmac_f32_e32 v65, 0x32a5705f, v64
	v_add_f32_e32 v65, v67, v65
	v_cvt_i32_f32_e32 v66, v66
	v_exp_f32_e32 v65, v65
	v_cmp_ngt_f32_e32 vcc, s45, v64
	v_ldexp_f32 v65, v65, v66
	v_cndmask_b32_e32 v65, 0, v65, vcc
	v_cmp_nlt_f32_e32 vcc, s46, v64
	v_cndmask_b32_e32 v64, v13, v65, vcc
	v_add_f32_e32 v64, 1.0, v64
	v_rcp_f32_e32 v64, v64
	v_fma_f32 v64, v64, -2.0, 1.0
	s_andn2_saveexec_b64 s[16:17], s[16:17]
	s_cbranch_execz .LBB71_8
.LBB71_22:                              ;   in Loop: Header=BB71_11 Depth=1
	v_mul_f32_e32 v64, v4, v4
	v_mov_b32_e32 v65, 0x3ca908c9
	v_fmac_f32_e32 v65, 0xbbbac73d, v64
	v_fma_f32 v65, v64, v65, v58
	v_fma_f32 v65, v64, v65, v59
	;; [unrolled: 1-line block ×3, first 2 shown]
	v_mul_f32_e64 v65, |v4|, v65
	v_fma_f32 v64, v64, v65, |v4|
	s_branch .LBB71_8
.LBB71_23:
	s_mov_b32 s7, s6
	v_pk_mov_b32 v[8:9], s[6:7], s[6:7] op_sel:[0,1]
	v_mov_b32_e32 v10, v11
	v_mov_b32_e32 v40, 0
	;; [unrolled: 1-line block ×8, first 2 shown]
.LBB71_24:
	s_cmp_gt_i32 s44, s20
	s_cbranch_scc1 .LBB71_26
; %bb.25:
	v_mbcnt_hi_u32_b32 v18, -1, v45
	v_and_b32_e32 v0, 0x60, v18
	v_add_u32_e32 v19, 32, v0
	v_xor_b32_e32 v20, 16, v18
	v_xor_b32_e32 v21, 8, v18
	;; [unrolled: 1-line block ×5, first 2 shown]
	s_cbranch_execz .LBB71_27
	s_branch .LBB71_46
.LBB71_26:
                                        ; implicit-def: $vgpr18
                                        ; implicit-def: $vgpr19
                                        ; implicit-def: $vgpr20
                                        ; implicit-def: $vgpr21
                                        ; implicit-def: $vgpr22
                                        ; implicit-def: $vgpr23
                                        ; implicit-def: $vgpr24
.LBB71_27:
	s_mul_hi_i32 s7, s20, s27
	s_mul_i32 s6, s20, s27
	v_add_u32_e32 v13, v46, v28
	s_sub_i32 s16, s44, s20
	s_lshl_b64 s[6:7], s[6:7], 2
	v_mul_lo_u32 v20, s27, v13
	s_add_u32 s10, s40, s6
	v_ashrrev_i32_e32 v21, 31, v20
	s_addc_u32 s11, s41, s7
	v_lshlrev_b64 v[0:1], 2, v[20:21]
	v_mov_b32_e32 v2, s11
	v_add_co_u32_e32 v0, vcc, s10, v0
	v_lshlrev_b32_e32 v16, 2, v16
	v_addc_co_u32_e32 v1, vcc, v2, v1, vcc
	s_mov_b64 s[6:7], src_private_base
	v_add_co_u32_e32 v18, vcc, v0, v16
	v_mov_b32_e32 v4, 0
	v_addc_co_u32_e32 v19, vcc, 0, v1, vcc
	v_mov_b32_e32 v6, s7
	v_cmp_gt_i32_e64 s[6:7], s16, v13
	v_mov_b32_e32 v7, 0
	buffer_store_dword v4, off, s[0:3], 0
	buffer_store_dword v4, off, s[0:3], 0 offset:8
	buffer_store_dword v4, off, s[0:3], 0 offset:4
	;; [unrolled: 1-line block ×3, first 2 shown]
	v_cndmask_b32_e64 v1, v6, v19, s[6:7]
	v_cndmask_b32_e64 v0, v7, v18, s[6:7]
	flat_load_dwordx4 v[0:3], v[0:1]
	v_lshl_add_u32 v20, s27, 4, v20
	v_ashrrev_i32_e32 v21, 31, v20
	s_movk_i32 s12, 0x110
	v_lshlrev_b64 v[20:21], 2, v[20:21]
	v_mad_u32_u24 v5, v13, s12, v16
	v_add_u32_e32 v22, 16, v13
	v_mov_b32_e32 v13, s11
	v_add_co_u32_e32 v20, vcc, s10, v20
	v_addc_co_u32_e32 v21, vcc, v13, v21, vcc
	v_add_co_u32_e32 v13, vcc, v20, v16
	v_addc_co_u32_e32 v16, vcc, 0, v21, vcc
	v_cmp_gt_i32_e32 vcc, s16, v22
	v_cndmask_b32_e32 v21, v6, v16, vcc
	v_cndmask_b32_e32 v20, v7, v13, vcc
	buffer_store_dword v4, off, s[0:3], 0
	buffer_store_dword v4, off, s[0:3], 0 offset:8
	buffer_store_dword v4, off, s[0:3], 0 offset:4
	;; [unrolled: 1-line block ×3, first 2 shown]
	s_movk_i32 s12, 0x100
	v_add_co_u32_e64 v18, s[10:11], s12, v18
	v_addc_co_u32_e64 v19, s[10:11], 0, v19, s[10:11]
	v_cndmask_b32_e64 v18, v7, v18, s[6:7]
	v_cndmask_b32_e64 v19, v6, v19, s[6:7]
	v_add_co_u32_e64 v13, s[6:7], s12, v13
	v_addc_co_u32_e64 v16, s[6:7], 0, v16, s[6:7]
	s_mov_b32 s6, 0x3f200000
	s_waitcnt vmcnt(0) lgkmcnt(0)
	ds_write_b128 v5, v[0:3]
	flat_load_dwordx4 v[20:23], v[20:21]
	v_mul_u32_u24_e32 v3, 0x110, v29
	v_lshlrev_b32_e32 v2, 10, v31
	v_mov_b32_e32 v0, 0
	v_mov_b32_e32 v1, 0
	s_waitcnt vmcnt(0) lgkmcnt(0)
	ds_write_b128 v5, v[20:23] offset:4352
	s_waitcnt lgkmcnt(0)
	s_barrier
	ds_read_b128 v[20:23], v3
	ds_read_b128 v[46:49], v2 offset:8704
	ds_read_b128 v[50:53], v2 offset:9216
	s_waitcnt lgkmcnt(1)
	;;#ASMSTART
	v_dot2_f32_f16 v0, v20, v46, v0
	;;#ASMEND
	;;#ASMSTART
	v_dot2_f32_f16 v0, v21, v47, v0
	;;#ASMEND
	;;#ASMSTART
	v_dot2_f32_f16 v0, v22, v48, v0
	;;#ASMEND
	;;#ASMSTART
	v_dot2_f32_f16 v0, v23, v49, v0
	;;#ASMEND
	s_waitcnt lgkmcnt(0)
	;;#ASMSTART
	v_dot2_f32_f16 v1, v20, v50, v1
	;;#ASMEND
	;;#ASMSTART
	v_dot2_f32_f16 v1, v21, v51, v1
	;;#ASMEND
	;;#ASMSTART
	v_dot2_f32_f16 v1, v22, v52, v1
	;;#ASMEND
	;;#ASMSTART
	v_dot2_f32_f16 v1, v23, v53, v1
	;;#ASMEND
	ds_read_b128 v[20:23], v3 offset:16
	ds_read_b128 v[46:49], v2 offset:8720
	ds_read_b128 v[50:53], v2 offset:9232
	s_waitcnt lgkmcnt(1)
	;;#ASMSTART
	v_dot2_f32_f16 v0, v20, v46, v0
	;;#ASMEND
	;;#ASMSTART
	v_dot2_f32_f16 v0, v21, v47, v0
	;;#ASMEND
	;;#ASMSTART
	v_dot2_f32_f16 v0, v22, v48, v0
	;;#ASMEND
	;;#ASMSTART
	v_dot2_f32_f16 v0, v23, v49, v0
	;;#ASMEND
	s_waitcnt lgkmcnt(0)
	;;#ASMSTART
	v_dot2_f32_f16 v1, v20, v50, v1
	;;#ASMEND
	;;#ASMSTART
	v_dot2_f32_f16 v1, v21, v51, v1
	;;#ASMEND
	;;#ASMSTART
	v_dot2_f32_f16 v1, v22, v52, v1
	;;#ASMEND
	;;#ASMSTART
	v_dot2_f32_f16 v1, v23, v53, v1
	;;#ASMEND
	ds_read_b128 v[20:23], v3 offset:32
	ds_read_b128 v[46:49], v2 offset:8736
	ds_read_b128 v[50:53], v2 offset:9248
	s_waitcnt lgkmcnt(1)
	;;#ASMSTART
	v_dot2_f32_f16 v0, v20, v46, v0
	;;#ASMEND
	;;#ASMSTART
	v_dot2_f32_f16 v0, v21, v47, v0
	;;#ASMEND
	;;#ASMSTART
	v_dot2_f32_f16 v0, v22, v48, v0
	;;#ASMEND
	;;#ASMSTART
	v_dot2_f32_f16 v0, v23, v49, v0
	;;#ASMEND
	s_waitcnt lgkmcnt(0)
	;;#ASMSTART
	v_dot2_f32_f16 v1, v20, v50, v1
	;;#ASMEND
	;;#ASMSTART
	v_dot2_f32_f16 v1, v21, v51, v1
	;;#ASMEND
	;;#ASMSTART
	v_dot2_f32_f16 v1, v22, v52, v1
	;;#ASMEND
	;;#ASMSTART
	v_dot2_f32_f16 v1, v23, v53, v1
	;;#ASMEND
	ds_read_b128 v[20:23], v3 offset:48
	ds_read_b128 v[46:49], v2 offset:8752
	ds_read_b128 v[50:53], v2 offset:9264
	s_waitcnt lgkmcnt(1)
	;;#ASMSTART
	v_dot2_f32_f16 v0, v20, v46, v0
	;;#ASMEND
	;;#ASMSTART
	v_dot2_f32_f16 v0, v21, v47, v0
	;;#ASMEND
	;;#ASMSTART
	v_dot2_f32_f16 v0, v22, v48, v0
	;;#ASMEND
	;;#ASMSTART
	v_dot2_f32_f16 v0, v23, v49, v0
	;;#ASMEND
	s_waitcnt lgkmcnt(0)
	;;#ASMSTART
	v_dot2_f32_f16 v1, v20, v50, v1
	;;#ASMEND
	;;#ASMSTART
	v_dot2_f32_f16 v1, v21, v51, v1
	;;#ASMEND
	;;#ASMSTART
	v_dot2_f32_f16 v1, v22, v52, v1
	;;#ASMEND
	;;#ASMSTART
	v_dot2_f32_f16 v1, v23, v53, v1
	;;#ASMEND
	ds_read_b128 v[20:23], v3 offset:64
	ds_read_b128 v[46:49], v2 offset:8768
	ds_read_b128 v[50:53], v2 offset:9280
	s_waitcnt lgkmcnt(1)
	;;#ASMSTART
	v_dot2_f32_f16 v0, v20, v46, v0
	;;#ASMEND
	;;#ASMSTART
	v_dot2_f32_f16 v0, v21, v47, v0
	;;#ASMEND
	;;#ASMSTART
	v_dot2_f32_f16 v0, v22, v48, v0
	;;#ASMEND
	;;#ASMSTART
	v_dot2_f32_f16 v0, v23, v49, v0
	;;#ASMEND
	s_waitcnt lgkmcnt(0)
	;;#ASMSTART
	v_dot2_f32_f16 v1, v20, v50, v1
	;;#ASMEND
	;;#ASMSTART
	v_dot2_f32_f16 v1, v21, v51, v1
	;;#ASMEND
	;;#ASMSTART
	v_dot2_f32_f16 v1, v22, v52, v1
	;;#ASMEND
	;;#ASMSTART
	v_dot2_f32_f16 v1, v23, v53, v1
	;;#ASMEND
	ds_read_b128 v[20:23], v3 offset:80
	ds_read_b128 v[46:49], v2 offset:8784
	ds_read_b128 v[50:53], v2 offset:9296
	s_waitcnt lgkmcnt(1)
	;;#ASMSTART
	v_dot2_f32_f16 v0, v20, v46, v0
	;;#ASMEND
	;;#ASMSTART
	v_dot2_f32_f16 v0, v21, v47, v0
	;;#ASMEND
	;;#ASMSTART
	v_dot2_f32_f16 v0, v22, v48, v0
	;;#ASMEND
	;;#ASMSTART
	v_dot2_f32_f16 v0, v23, v49, v0
	;;#ASMEND
	s_waitcnt lgkmcnt(0)
	;;#ASMSTART
	v_dot2_f32_f16 v1, v20, v50, v1
	;;#ASMEND
	;;#ASMSTART
	v_dot2_f32_f16 v1, v21, v51, v1
	;;#ASMEND
	;;#ASMSTART
	v_dot2_f32_f16 v1, v22, v52, v1
	;;#ASMEND
	;;#ASMSTART
	v_dot2_f32_f16 v1, v23, v53, v1
	;;#ASMEND
	ds_read_b128 v[20:23], v3 offset:96
	ds_read_b128 v[46:49], v2 offset:8800
	ds_read_b128 v[50:53], v2 offset:9312
	s_waitcnt lgkmcnt(1)
	;;#ASMSTART
	v_dot2_f32_f16 v0, v20, v46, v0
	;;#ASMEND
	;;#ASMSTART
	v_dot2_f32_f16 v0, v21, v47, v0
	;;#ASMEND
	;;#ASMSTART
	v_dot2_f32_f16 v0, v22, v48, v0
	;;#ASMEND
	;;#ASMSTART
	v_dot2_f32_f16 v0, v23, v49, v0
	;;#ASMEND
	s_waitcnt lgkmcnt(0)
	;;#ASMSTART
	v_dot2_f32_f16 v1, v20, v50, v1
	;;#ASMEND
	;;#ASMSTART
	v_dot2_f32_f16 v1, v21, v51, v1
	;;#ASMEND
	;;#ASMSTART
	v_dot2_f32_f16 v1, v22, v52, v1
	;;#ASMEND
	;;#ASMSTART
	v_dot2_f32_f16 v1, v23, v53, v1
	;;#ASMEND
	ds_read_b128 v[20:23], v3 offset:112
	ds_read_b128 v[46:49], v2 offset:8816
	ds_read_b128 v[50:53], v2 offset:9328
	s_waitcnt lgkmcnt(1)
	;;#ASMSTART
	v_dot2_f32_f16 v0, v20, v46, v0
	;;#ASMEND
	;;#ASMSTART
	v_dot2_f32_f16 v0, v21, v47, v0
	;;#ASMEND
	;;#ASMSTART
	v_dot2_f32_f16 v0, v22, v48, v0
	;;#ASMEND
	;;#ASMSTART
	v_dot2_f32_f16 v0, v23, v49, v0
	;;#ASMEND
	s_waitcnt lgkmcnt(0)
	;;#ASMSTART
	v_dot2_f32_f16 v1, v20, v50, v1
	;;#ASMEND
	;;#ASMSTART
	v_dot2_f32_f16 v1, v21, v51, v1
	;;#ASMEND
	;;#ASMSTART
	v_dot2_f32_f16 v1, v22, v52, v1
	;;#ASMEND
	;;#ASMSTART
	v_dot2_f32_f16 v1, v23, v53, v1
	;;#ASMEND
	ds_read_b128 v[20:23], v3 offset:128
	ds_read_b128 v[46:49], v2 offset:8832
	ds_read_b128 v[50:53], v2 offset:9344
	s_waitcnt lgkmcnt(1)
	;;#ASMSTART
	v_dot2_f32_f16 v0, v20, v46, v0
	;;#ASMEND
	;;#ASMSTART
	v_dot2_f32_f16 v0, v21, v47, v0
	;;#ASMEND
	;;#ASMSTART
	v_dot2_f32_f16 v0, v22, v48, v0
	;;#ASMEND
	;;#ASMSTART
	v_dot2_f32_f16 v0, v23, v49, v0
	;;#ASMEND
	s_waitcnt lgkmcnt(0)
	;;#ASMSTART
	v_dot2_f32_f16 v1, v20, v50, v1
	;;#ASMEND
	;;#ASMSTART
	v_dot2_f32_f16 v1, v21, v51, v1
	;;#ASMEND
	;;#ASMSTART
	v_dot2_f32_f16 v1, v22, v52, v1
	;;#ASMEND
	;;#ASMSTART
	v_dot2_f32_f16 v1, v23, v53, v1
	;;#ASMEND
	ds_read_b128 v[20:23], v3 offset:144
	ds_read_b128 v[46:49], v2 offset:8848
	ds_read_b128 v[50:53], v2 offset:9360
	s_waitcnt lgkmcnt(1)
	;;#ASMSTART
	v_dot2_f32_f16 v0, v20, v46, v0
	;;#ASMEND
	;;#ASMSTART
	v_dot2_f32_f16 v0, v21, v47, v0
	;;#ASMEND
	;;#ASMSTART
	v_dot2_f32_f16 v0, v22, v48, v0
	;;#ASMEND
	;;#ASMSTART
	v_dot2_f32_f16 v0, v23, v49, v0
	;;#ASMEND
	s_waitcnt lgkmcnt(0)
	;;#ASMSTART
	v_dot2_f32_f16 v1, v20, v50, v1
	;;#ASMEND
	;;#ASMSTART
	v_dot2_f32_f16 v1, v21, v51, v1
	;;#ASMEND
	;;#ASMSTART
	v_dot2_f32_f16 v1, v22, v52, v1
	;;#ASMEND
	;;#ASMSTART
	v_dot2_f32_f16 v1, v23, v53, v1
	;;#ASMEND
	ds_read_b128 v[20:23], v3 offset:160
	ds_read_b128 v[46:49], v2 offset:8864
	ds_read_b128 v[50:53], v2 offset:9376
	s_waitcnt lgkmcnt(1)
	;;#ASMSTART
	v_dot2_f32_f16 v0, v20, v46, v0
	;;#ASMEND
	;;#ASMSTART
	v_dot2_f32_f16 v0, v21, v47, v0
	;;#ASMEND
	;;#ASMSTART
	v_dot2_f32_f16 v0, v22, v48, v0
	;;#ASMEND
	;;#ASMSTART
	v_dot2_f32_f16 v0, v23, v49, v0
	;;#ASMEND
	s_waitcnt lgkmcnt(0)
	;;#ASMSTART
	v_dot2_f32_f16 v1, v20, v50, v1
	;;#ASMEND
	;;#ASMSTART
	v_dot2_f32_f16 v1, v21, v51, v1
	;;#ASMEND
	;;#ASMSTART
	v_dot2_f32_f16 v1, v22, v52, v1
	;;#ASMEND
	;;#ASMSTART
	v_dot2_f32_f16 v1, v23, v53, v1
	;;#ASMEND
	ds_read_b128 v[20:23], v3 offset:176
	ds_read_b128 v[46:49], v2 offset:8880
	ds_read_b128 v[50:53], v2 offset:9392
	s_waitcnt lgkmcnt(1)
	;;#ASMSTART
	v_dot2_f32_f16 v0, v20, v46, v0
	;;#ASMEND
	;;#ASMSTART
	v_dot2_f32_f16 v0, v21, v47, v0
	;;#ASMEND
	;;#ASMSTART
	v_dot2_f32_f16 v0, v22, v48, v0
	;;#ASMEND
	;;#ASMSTART
	v_dot2_f32_f16 v0, v23, v49, v0
	;;#ASMEND
	s_waitcnt lgkmcnt(0)
	;;#ASMSTART
	v_dot2_f32_f16 v1, v20, v50, v1
	;;#ASMEND
	;;#ASMSTART
	v_dot2_f32_f16 v1, v21, v51, v1
	;;#ASMEND
	;;#ASMSTART
	v_dot2_f32_f16 v1, v22, v52, v1
	;;#ASMEND
	;;#ASMSTART
	v_dot2_f32_f16 v1, v23, v53, v1
	;;#ASMEND
	ds_read_b128 v[20:23], v3 offset:192
	ds_read_b128 v[46:49], v2 offset:8896
	ds_read_b128 v[50:53], v2 offset:9408
	s_waitcnt lgkmcnt(1)
	;;#ASMSTART
	v_dot2_f32_f16 v0, v20, v46, v0
	;;#ASMEND
	;;#ASMSTART
	v_dot2_f32_f16 v0, v21, v47, v0
	;;#ASMEND
	;;#ASMSTART
	v_dot2_f32_f16 v0, v22, v48, v0
	;;#ASMEND
	;;#ASMSTART
	v_dot2_f32_f16 v0, v23, v49, v0
	;;#ASMEND
	s_waitcnt lgkmcnt(0)
	;;#ASMSTART
	v_dot2_f32_f16 v1, v20, v50, v1
	;;#ASMEND
	;;#ASMSTART
	v_dot2_f32_f16 v1, v21, v51, v1
	;;#ASMEND
	;;#ASMSTART
	v_dot2_f32_f16 v1, v22, v52, v1
	;;#ASMEND
	;;#ASMSTART
	v_dot2_f32_f16 v1, v23, v53, v1
	;;#ASMEND
	ds_read_b128 v[20:23], v3 offset:208
	ds_read_b128 v[46:49], v2 offset:8912
	ds_read_b128 v[50:53], v2 offset:9424
	s_waitcnt lgkmcnt(1)
	;;#ASMSTART
	v_dot2_f32_f16 v0, v20, v46, v0
	;;#ASMEND
	;;#ASMSTART
	v_dot2_f32_f16 v0, v21, v47, v0
	;;#ASMEND
	;;#ASMSTART
	v_dot2_f32_f16 v0, v22, v48, v0
	;;#ASMEND
	;;#ASMSTART
	v_dot2_f32_f16 v0, v23, v49, v0
	;;#ASMEND
	s_waitcnt lgkmcnt(0)
	;;#ASMSTART
	v_dot2_f32_f16 v1, v20, v50, v1
	;;#ASMEND
	;;#ASMSTART
	v_dot2_f32_f16 v1, v21, v51, v1
	;;#ASMEND
	;;#ASMSTART
	v_dot2_f32_f16 v1, v22, v52, v1
	;;#ASMEND
	;;#ASMSTART
	v_dot2_f32_f16 v1, v23, v53, v1
	;;#ASMEND
	ds_read_b128 v[20:23], v3 offset:224
	ds_read_b128 v[46:49], v2 offset:8928
	ds_read_b128 v[50:53], v2 offset:9440
	s_waitcnt lgkmcnt(1)
	;;#ASMSTART
	v_dot2_f32_f16 v0, v20, v46, v0
	;;#ASMEND
	;;#ASMSTART
	v_dot2_f32_f16 v0, v21, v47, v0
	;;#ASMEND
	;;#ASMSTART
	v_dot2_f32_f16 v0, v22, v48, v0
	;;#ASMEND
	;;#ASMSTART
	v_dot2_f32_f16 v0, v23, v49, v0
	;;#ASMEND
	s_waitcnt lgkmcnt(0)
	;;#ASMSTART
	v_dot2_f32_f16 v1, v20, v50, v1
	;;#ASMEND
	;;#ASMSTART
	v_dot2_f32_f16 v1, v21, v51, v1
	;;#ASMEND
	;;#ASMSTART
	v_dot2_f32_f16 v1, v22, v52, v1
	;;#ASMEND
	;;#ASMSTART
	v_dot2_f32_f16 v1, v23, v53, v1
	;;#ASMEND
	ds_read_b128 v[20:23], v3 offset:240
	ds_read_b128 v[46:49], v2 offset:8944
	ds_read_b128 v[50:53], v2 offset:9456
	s_waitcnt lgkmcnt(1)
	;;#ASMSTART
	v_dot2_f32_f16 v0, v20, v46, v0
	;;#ASMEND
	;;#ASMSTART
	v_dot2_f32_f16 v0, v21, v47, v0
	;;#ASMEND
	;; [unrolled: 3-line block ×4, first 2 shown]
	s_waitcnt lgkmcnt(0)
	;;#ASMSTART
	v_dot2_f32_f16 v1, v20, v50, v1
	;;#ASMEND
	;;#ASMSTART
	v_dot2_f32_f16 v1, v21, v51, v1
	;;#ASMEND
	;; [unrolled: 3-line block ×4, first 2 shown]
	s_barrier
	buffer_store_dword v4, off, s[0:3], 0
	buffer_store_dword v4, off, s[0:3], 0 offset:8
	buffer_store_dword v4, off, s[0:3], 0 offset:4
	;; [unrolled: 1-line block ×3, first 2 shown]
	flat_load_dwordx4 v[18:21], v[18:19]
	v_cndmask_b32_e32 v23, v6, v16, vcc
	v_cndmask_b32_e32 v22, v7, v13, vcc
	buffer_store_dword v4, off, s[0:3], 0
	buffer_store_dword v4, off, s[0:3], 0 offset:8
	buffer_store_dword v4, off, s[0:3], 0 offset:4
	;; [unrolled: 1-line block ×3, first 2 shown]
	s_waitcnt vmcnt(0) lgkmcnt(0)
	ds_write_b128 v5, v[18:21]
	flat_load_dwordx4 v[18:21], v[22:23]
	s_waitcnt vmcnt(0) lgkmcnt(0)
	ds_write_b128 v5, v[18:21] offset:4352
	s_waitcnt lgkmcnt(0)
	s_barrier
	ds_read_b128 v[4:7], v3
	ds_read_b128 v[18:21], v2 offset:8960
	ds_read_b128 v[22:25], v2 offset:9472
	s_waitcnt lgkmcnt(1)
	;;#ASMSTART
	v_dot2_f32_f16 v0, v4, v18, v0
	;;#ASMEND
	;;#ASMSTART
	v_dot2_f32_f16 v0, v5, v19, v0
	;;#ASMEND
	;;#ASMSTART
	v_dot2_f32_f16 v0, v6, v20, v0
	;;#ASMEND
	;;#ASMSTART
	v_dot2_f32_f16 v0, v7, v21, v0
	;;#ASMEND
	s_waitcnt lgkmcnt(0)
	;;#ASMSTART
	v_dot2_f32_f16 v1, v4, v22, v1
	;;#ASMEND
	;;#ASMSTART
	v_dot2_f32_f16 v1, v5, v23, v1
	;;#ASMEND
	;;#ASMSTART
	v_dot2_f32_f16 v1, v6, v24, v1
	;;#ASMEND
	;;#ASMSTART
	v_dot2_f32_f16 v1, v7, v25, v1
	;;#ASMEND
	ds_read_b128 v[4:7], v3 offset:16
	ds_read_b128 v[18:21], v2 offset:8976
	ds_read_b128 v[22:25], v2 offset:9488
	s_waitcnt lgkmcnt(1)
	;;#ASMSTART
	v_dot2_f32_f16 v0, v4, v18, v0
	;;#ASMEND
	;;#ASMSTART
	v_dot2_f32_f16 v0, v5, v19, v0
	;;#ASMEND
	;;#ASMSTART
	v_dot2_f32_f16 v0, v6, v20, v0
	;;#ASMEND
	;;#ASMSTART
	v_dot2_f32_f16 v0, v7, v21, v0
	;;#ASMEND
	s_waitcnt lgkmcnt(0)
	;;#ASMSTART
	v_dot2_f32_f16 v1, v4, v22, v1
	;;#ASMEND
	;;#ASMSTART
	v_dot2_f32_f16 v1, v5, v23, v1
	;;#ASMEND
	;;#ASMSTART
	v_dot2_f32_f16 v1, v6, v24, v1
	;;#ASMEND
	;;#ASMSTART
	v_dot2_f32_f16 v1, v7, v25, v1
	;;#ASMEND
	ds_read_b128 v[4:7], v3 offset:32
	;; [unrolled: 29-line block ×15, first 2 shown]
	ds_read_b128 v[18:21], v2 offset:9200
	ds_read_b128 v[22:25], v2 offset:9712
	s_waitcnt lgkmcnt(1)
	;;#ASMSTART
	v_dot2_f32_f16 v0, v4, v18, v0
	;;#ASMEND
	;;#ASMSTART
	v_dot2_f32_f16 v0, v5, v19, v0
	;;#ASMEND
	;; [unrolled: 3-line block ×4, first 2 shown]
	s_waitcnt lgkmcnt(0)
	;;#ASMSTART
	v_dot2_f32_f16 v1, v4, v22, v1
	;;#ASMEND
	;;#ASMSTART
	v_dot2_f32_f16 v1, v5, v23, v1
	;;#ASMEND
	;;#ASMSTART
	v_dot2_f32_f16 v1, v6, v24, v1
	;;#ASMEND
	v_cmp_nlt_f32_e64 s[6:7], |v0|, s6
	;;#ASMSTART
	v_dot2_f32_f16 v1, v7, v25, v1
	;;#ASMEND
                                        ; implicit-def: $vgpr3
	s_and_saveexec_b64 s[10:11], s[6:7]
	s_xor_b64 s[6:7], exec, s[10:11]
	s_cbranch_execz .LBB71_29
; %bb.28:
	v_add_f32_e64 v2, |v0|, |v0|
	v_mul_f32_e32 v3, 0x3fb8aa3b, v2
	s_mov_b32 s10, 0x3fb8aa3b
	v_rndne_f32_e32 v4, v3
	v_sub_f32_e32 v5, v3, v4
	v_fma_f32 v3, v2, s10, -v3
	v_fmac_f32_e32 v3, 0x32a5705f, v2
	v_add_f32_e32 v3, v5, v3
	v_exp_f32_e32 v3, v3
	v_cvt_i32_f32_e32 v4, v4
	s_mov_b32 s10, 0xc2ce8ed0
	v_cmp_ngt_f32_e32 vcc, s10, v2
	s_mov_b32 s10, 0x42b17218
	v_ldexp_f32 v3, v3, v4
	v_cndmask_b32_e32 v3, 0, v3, vcc
	v_mov_b32_e32 v4, 0x7f800000
	v_cmp_nlt_f32_e32 vcc, s10, v2
	v_cndmask_b32_e32 v2, v4, v3, vcc
	v_add_f32_e32 v2, 1.0, v2
	v_rcp_f32_e32 v2, v2
	v_fma_f32 v3, v2, -2.0, 1.0
.LBB71_29:
	s_andn2_saveexec_b64 s[6:7], s[6:7]
; %bb.30:
	v_mul_f32_e32 v2, v0, v0
	v_mov_b32_e32 v3, 0x3ca908c9
	v_fmac_f32_e32 v3, 0xbbbac73d, v2
	v_mov_b32_e32 v4, 0xbd5c1c4e
	v_fmac_f32_e32 v4, v2, v3
	;; [unrolled: 2-line block ×4, first 2 shown]
	v_mul_f32_e64 v3, |v0|, v4
	v_fma_f32 v3, v2, v3, |v0|
; %bb.31:
	s_or_b64 exec, exec, s[6:7]
	s_cmp_lg_u64 s[34:35], 0
	s_brev_b32 s10, -2
	v_bfi_b32 v0, s10, v3, v0
	s_cselect_b64 s[10:11], -1, 0
	v_cndmask_b32_e64 v3, 0, 1, s[10:11]
	v_cmp_gt_i32_e64 s[6:7], s16, v29
	v_add_u32_e32 v2, s20, v29
	v_mul_f32_e32 v0, s23, v0
	v_cmp_ne_u32_e64 s[10:11], 1, v3
	v_pk_mov_b32 v[4:5], v[8:9], v[8:9] op_sel:[0,1]
	v_mov_b32_e32 v3, v8
	s_and_saveexec_b64 s[12:13], s[6:7]
	s_cbranch_execz .LBB71_36
; %bb.32:
	s_and_b64 vcc, exec, s[10:11]
	s_cbranch_vccnz .LBB71_34
; %bb.33:
	v_mad_u64_u32 v[4:5], s[40:41], v44, s26, v[2:3]
	v_ashrrev_i32_e32 v5, 31, v4
	v_lshlrev_b64 v[4:5], 1, v[4:5]
	v_mov_b32_e32 v3, s35
	v_add_co_u32_e32 v4, vcc, s34, v4
	v_addc_co_u32_e32 v5, vcc, v3, v5, vcc
	flat_load_ushort v3, v[4:5]
	s_waitcnt vmcnt(0) lgkmcnt(0)
	v_cvt_f32_f16_e32 v3, v3
	v_mul_f32_e32 v3, v41, v3
	s_branch .LBB71_35
.LBB71_34:
	v_mov_b32_e32 v3, 0
.LBB71_35:
	v_add_f32_e32 v0, v0, v3
	v_add_f32_e32 v3, 0x40051340, v0
	v_max_f32_e32 v4, v8, v8
	v_max_f32_e32 v3, v4, v3
	v_pk_mov_b32 v[4:5], v[8:9], v[8:9] op_sel:[0,1]
.LBB71_36:
	s_or_b64 exec, exec, s[12:13]
	v_mbcnt_hi_u32_b32 v18, -1, v45
	v_and_b32_e32 v4, 0x60, v18
	v_add_u32_e32 v19, 32, v4
	v_xor_b32_e32 v20, 16, v18
	v_cmp_lt_i32_e32 vcc, v20, v19
	v_cndmask_b32_e32 v4, v18, v20, vcc
	v_lshlrev_b32_e32 v13, 2, v4
	ds_bpermute_b32 v4, v13, v3
	v_xor_b32_e32 v21, 8, v18
	v_cmp_lt_i32_e32 vcc, v21, v19
	v_cndmask_b32_e32 v6, v18, v21, vcc
	v_max_f32_e32 v3, v3, v3
	s_waitcnt lgkmcnt(0)
	v_max_f32_e32 v4, v4, v4
	v_lshlrev_b32_e32 v16, 2, v6
	v_max_f32_e32 v3, v3, v4
	ds_bpermute_b32 v4, v16, v3
	v_xor_b32_e32 v22, 4, v18
	v_cmp_lt_i32_e32 vcc, v22, v19
	v_cndmask_b32_e32 v6, v18, v22, vcc
	v_lshlrev_b32_e32 v7, 2, v6
	s_waitcnt lgkmcnt(0)
	v_max_f32_e32 v4, v4, v4
	v_max_f32_e32 v3, v3, v4
	ds_bpermute_b32 v4, v7, v3
	v_xor_b32_e32 v23, 2, v18
	v_cmp_lt_i32_e32 vcc, v23, v19
	v_cndmask_b32_e32 v6, v18, v23, vcc
	v_lshlrev_b32_e32 v6, 2, v6
	s_waitcnt lgkmcnt(0)
	v_max_f32_e32 v4, v4, v4
	;; [unrolled: 8-line block ×3, first 2 shown]
	v_max_f32_e32 v4, v4, v25
	ds_bpermute_b32 v25, v3, v4
	s_mov_b32 s12, 0x3f200000
	v_cmp_nlt_f32_e64 s[12:13], |v1|, s12
                                        ; implicit-def: $vgpr44
	s_and_saveexec_b64 s[40:41], s[12:13]
	s_xor_b64 s[12:13], exec, s[40:41]
	s_cbranch_execz .LBB71_38
; %bb.37:
	v_add_f32_e64 v44, |v1|, |v1|
	v_mul_f32_e32 v45, 0x3fb8aa3b, v44
	s_mov_b32 s17, 0x3fb8aa3b
	v_rndne_f32_e32 v46, v45
	v_sub_f32_e32 v47, v45, v46
	v_fma_f32 v45, v44, s17, -v45
	v_fmac_f32_e32 v45, 0x32a5705f, v44
	v_add_f32_e32 v45, v47, v45
	v_exp_f32_e32 v45, v45
	v_cvt_i32_f32_e32 v46, v46
	s_mov_b32 s17, 0xc2ce8ed0
	v_cmp_ngt_f32_e32 vcc, s17, v44
	s_mov_b32 s17, 0x42b17218
	v_ldexp_f32 v45, v45, v46
	v_cndmask_b32_e32 v45, 0, v45, vcc
	v_mov_b32_e32 v46, 0x7f800000
	v_cmp_nlt_f32_e32 vcc, s17, v44
	v_cndmask_b32_e32 v44, v46, v45, vcc
	v_add_f32_e32 v44, 1.0, v44
	v_rcp_f32_e32 v44, v44
	v_fma_f32 v44, v44, -2.0, 1.0
.LBB71_38:
	s_andn2_saveexec_b64 s[12:13], s[12:13]
; %bb.39:
	v_mul_f32_e32 v44, v1, v1
	v_mov_b32_e32 v45, 0x3ca908c9
	v_fmac_f32_e32 v45, 0xbbbac73d, v44
	v_mov_b32_e32 v46, 0xbd5c1c4e
	v_fmac_f32_e32 v46, v44, v45
	;; [unrolled: 2-line block ×4, first 2 shown]
	v_mul_f32_e64 v45, |v1|, v46
	v_fma_f32 v44, v44, v45, |v1|
; %bb.40:
	s_or_b64 exec, exec, s[12:13]
	s_brev_b32 s12, -2
	s_waitcnt lgkmcnt(0)
	v_max_f32_e32 v25, v25, v25
	v_max_f32_e32 v4, v4, v4
	v_bfi_b32 v1, s12, v44, v1
	v_max_f32_e32 v4, v4, v25
	v_mul_f32_e32 v1, s23, v1
	s_and_saveexec_b64 s[12:13], s[6:7]
	s_cbranch_execz .LBB71_45
; %bb.41:
	s_and_b64 vcc, exec, s[10:11]
	s_cbranch_vccnz .LBB71_43
; %bb.42:
	v_or_b32_e32 v25, 1, v30
	v_mul_hi_u32 v44, s36, v25
	v_add_u32_e32 v44, v25, v44
	v_lshrrev_b32_e32 v44, s37, v44
	v_mul_lo_u32 v44, v44, s38
	v_sub_u32_e32 v25, v25, v44
	v_mad_u64_u32 v[44:45], s[6:7], v25, s26, v[2:3]
	v_ashrrev_i32_e32 v45, 31, v44
	v_lshlrev_b64 v[44:45], 1, v[44:45]
	v_mov_b32_e32 v2, s35
	v_add_co_u32_e32 v44, vcc, s34, v44
	v_addc_co_u32_e32 v45, vcc, v2, v45, vcc
	flat_load_ushort v2, v[44:45]
	s_waitcnt vmcnt(0) lgkmcnt(0)
	v_cvt_f32_f16_e32 v2, v2
	v_mul_f32_e32 v2, v41, v2
	s_branch .LBB71_44
.LBB71_43:
	v_mov_b32_e32 v2, 0
.LBB71_44:
	v_add_f32_e32 v1, v1, v2
	v_add_f32_e32 v2, 0x40051340, v1
	v_max_f32_e32 v5, v5, v5
	v_max_f32_e32 v5, v5, v2
.LBB71_45:
	s_or_b64 exec, exec, s[12:13]
	ds_bpermute_b32 v2, v13, v5
	v_max_f32_e32 v5, v5, v5
	v_sub_f32_e32 v0, v0, v4
	s_mov_b32 s10, 0x3fb8aa3b
	s_mov_b32 s11, 0xc2ce8ed0
	s_waitcnt lgkmcnt(0)
	v_max_f32_e32 v2, v2, v2
	v_max_f32_e32 v2, v5, v2
	ds_bpermute_b32 v5, v16, v2
	v_cmp_ngt_f32_e32 vcc, s11, v0
	s_mov_b32 s12, 0x42b17218
	v_mov_b32_e32 v41, 0x7f800000
	s_mul_hi_i32 s27, s20, s8
	s_waitcnt lgkmcnt(0)
	v_max_f32_e32 v5, v5, v5
	v_max_f32_e32 v2, v2, v5
	ds_bpermute_b32 v5, v7, v2
	v_mul_f32_e32 v7, 0x3fb8aa3b, v0
	v_fma_f32 v13, v0, s10, -v7
	v_rndne_f32_e32 v16, v7
	v_fmac_f32_e32 v13, 0x32a5705f, v0
	s_waitcnt lgkmcnt(0)
	v_max_f32_e32 v5, v5, v5
	v_max_f32_e32 v2, v2, v5
	ds_bpermute_b32 v5, v6, v2
	v_sub_f32_e32 v6, v7, v16
	v_add_f32_e32 v6, v6, v13
	v_cvt_i32_f32_e32 v7, v16
	v_exp_f32_e32 v6, v6
	s_waitcnt lgkmcnt(0)
	v_max_f32_e32 v5, v5, v5
	v_max_f32_e32 v2, v2, v5
	ds_bpermute_b32 v3, v3, v2
	v_ldexp_f32 v5, v6, v7
	v_cndmask_b32_e32 v6, 0, v5, vcc
	v_cmp_nlt_f32_e32 vcc, s12, v0
	v_cndmask_b32_e32 v0, v41, v6, vcc
	s_waitcnt lgkmcnt(0)
	v_max_f32_e32 v3, v3, v3
	v_max_f32_e32 v5, v2, v3
	v_sub_f32_e32 v1, v1, v5
	v_mul_f32_e32 v2, 0x3fb8aa3b, v1
	v_fma_f32 v3, v1, s10, -v2
	v_rndne_f32_e32 v6, v2
	v_fmac_f32_e32 v3, 0x32a5705f, v1
	v_sub_f32_e32 v2, v2, v6
	v_add_f32_e32 v2, v2, v3
	v_exp_f32_e32 v2, v2
	v_cvt_i32_f32_e32 v3, v6
	v_cmp_ngt_f32_e64 s[6:7], s11, v1
	v_cmp_gt_u32_e32 vcc, s16, v29
	v_cndmask_b32_e32 v6, 0, v0, vcc
	v_ldexp_f32 v2, v2, v3
	v_cndmask_b32_e64 v2, 0, v2, s[6:7]
	v_cmp_nlt_f32_e64 s[6:7], s12, v1
	v_cndmask_b32_e64 v1, v41, v2, s[6:7]
	v_cndmask_b32_e32 v7, 0, v1, vcc
	v_cvt_f16_f32_e32 v0, v6
	v_cvt_f16_f32_e32 v1, v7
	v_lshlrev_b32_e32 v16, 7, v31
	v_lshlrev_b32_e32 v2, 1, v38
	s_movk_i32 s6, 0x4200
	s_mul_i32 s26, s20, s8
	v_add3_u32 v2, v16, s6, v2
	s_mov_b64 s[6:7], src_private_base
	s_lshl_b64 s[26:27], s[26:27], 2
	s_add_u32 s6, s18, s26
	v_pack_b32_f16 v0, v0, v1
	s_addc_u32 s13, s19, s27
	v_lshlrev_b64 v[14:15], 2, v[14:15]
	s_barrier
	ds_write_b32 v2, v0
	v_mov_b32_e32 v0, s13
	v_add_co_u32_e32 v1, vcc, s6, v14
	v_addc_co_u32_e32 v0, vcc, v0, v15, vcc
	v_add_co_u32_e32 v2, vcc, v1, v33
	v_addc_co_u32_e32 v0, vcc, 0, v0, vcc
	v_mov_b32_e32 v122, 0
	v_mov_b32_e32 v46, s7
	v_cmp_gt_i32_e32 vcc, s16, v31
	v_mov_b32_e32 v120, 0
	buffer_store_dword v122, off, s[0:3], 0
	buffer_store_dword v122, off, s[0:3], 0 offset:8
	buffer_store_dword v122, off, s[0:3], 0 offset:4
	;; [unrolled: 1-line block ×3, first 2 shown]
	v_cndmask_b32_e32 v1, v46, v0, vcc
	v_cndmask_b32_e32 v0, v120, v2, vcc
	flat_load_dwordx4 v[0:3], v[0:1]
	v_ashrrev_i32_e32 v13, 31, v12
	v_lshlrev_b64 v[12:13], 2, v[12:13]
	v_mov_b32_e32 v25, s13
	v_add_co_u32_e32 v38, vcc, s6, v12
	v_addc_co_u32_e32 v25, vcc, v25, v13, vcc
	v_add_co_u32_e32 v38, vcc, v38, v33
	v_add_u32_e32 v47, 8, v31
	v_addc_co_u32_e32 v25, vcc, 0, v25, vcc
	v_lshl_add_u32 v123, v31, 9, v33
	v_cmp_gt_i32_e32 vcc, s16, v47
	v_cndmask_b32_e32 v45, v46, v25, vcc
	v_cndmask_b32_e32 v44, v120, v38, vcc
	buffer_store_dword v122, off, s[0:3], 0
	buffer_store_dword v122, off, s[0:3], 0 offset:8
	buffer_store_dword v122, off, s[0:3], 0 offset:4
	;; [unrolled: 1-line block ×3, first 2 shown]
	s_or_b32 s6, s20, 16
	s_mul_hi_i32 s7, s6, s8
	s_mul_i32 s6, s6, s8
	s_lshl_b64 s[6:7], s[6:7], 2
	s_add_u32 s6, s18, s6
	s_addc_u32 s7, s19, s7
	v_add_co_u32_e32 v14, vcc, s6, v14
	v_mov_b32_e32 v50, s7
	v_lshl_add_u32 v124, v47, 9, v33
	s_add_i32 s16, s16, -16
	v_add_u32_e32 v38, 0x800, v32
	v_add_u32_e32 v25, 0x1000, v32
	v_sub_f32_e32 v9, v9, v5
	s_waitcnt vmcnt(0) lgkmcnt(0)
	ds_write_b128 v123, v[0:3]
	flat_load_dwordx4 v[0:3], v[44:45]
	v_sub_f32_e32 v44, v8, v4
	v_mul_f32_e32 v45, 0x3fb8aa3b, v44
	v_fma_f32 v48, v44, s10, -v45
	v_rndne_f32_e32 v49, v45
	v_fmac_f32_e32 v48, 0x32a5705f, v44
	v_sub_f32_e32 v45, v45, v49
	v_add_f32_e32 v45, v45, v48
	v_cvt_i32_f32_e32 v49, v49
	v_exp_f32_e32 v45, v45
	v_mov_b32_e32 v48, s7
	v_addc_co_u32_e32 v15, vcc, v48, v15, vcc
	v_add_co_u32_e32 v12, vcc, s6, v12
	v_addc_co_u32_e32 v13, vcc, v50, v13, vcc
	v_ldexp_f32 v45, v45, v49
	v_cmp_ngt_f32_e32 vcc, s11, v44
	v_cndmask_b32_e32 v45, 0, v45, vcc
	v_add_co_u32_e32 v14, vcc, v14, v33
	v_addc_co_u32_e32 v15, vcc, 0, v15, vcc
	v_add_co_u32_e32 v33, vcc, v12, v33
	v_addc_co_u32_e32 v12, vcc, 0, v13, vcc
	v_cmp_nlt_f32_e32 vcc, s12, v44
	v_cndmask_b32_e32 v125, v41, v45, vcc
	v_cmp_gt_i32_e32 vcc, s16, v31
	v_cndmask_b32_e32 v117, v46, v15, vcc
	v_cndmask_b32_e32 v116, v120, v14, vcc
	v_cmp_gt_i32_e32 vcc, s16, v47
	v_add_u32_e32 v8, 0x1800, v32
	v_cndmask_b32_e32 v121, v46, v12, vcc
	v_mul_f32_e32 v31, 0x3fb8aa3b, v9
	v_fma_f32 v126, v9, s10, -v31
	v_rndne_f32_e32 v127, v31
	v_fmac_f32_e32 v126, 0x32a5705f, v9
	v_sub_f32_e32 v31, v31, v127
	v_add_f32_e32 v31, v31, v126
	v_cvt_i32_f32_e32 v127, v127
	v_exp_f32_e32 v31, v31
	v_cndmask_b32_e32 v120, v120, v33, vcc
	v_fmac_f32_e32 v6, v10, v125
	v_cmp_ngt_f32_e32 vcc, s11, v9
	v_ldexp_f32 v10, v31, v127
	v_cndmask_b32_e32 v10, 0, v10, vcc
	v_cmp_nlt_f32_e32 vcc, s12, v9
	v_cndmask_b32_e32 v9, v41, v10, vcc
	v_cvt_f16_f32_e32 v10, v9
	v_cvt_f16_f32_e32 v33, v125
	v_fmac_f32_e32 v7, v11, v9
	v_pk_mul_f16 v9, v10, v37 op_sel_hi:[0,1]
	v_pk_mul_f16 v31, v33, v43 op_sel_hi:[0,1]
	;; [unrolled: 1-line block ×5, first 2 shown]
	s_waitcnt vmcnt(0) lgkmcnt(0)
	ds_write_b128 v124, v[0:3]
	s_waitcnt lgkmcnt(0)
	s_barrier
	ds_read2_b64 v[0:3], v32 offset1:32
	ds_read_b128 v[12:15], v16 offset:16896
	ds_read_b128 v[44:47], v16 offset:16912
	;; [unrolled: 1-line block ×4, first 2 shown]
	ds_read2_b64 v[56:59], v32 offset0:64 offset1:96
	ds_read2_b64 v[60:63], v32 offset0:128 offset1:160
	ds_read2_b64 v[64:67], v32 offset0:192 offset1:224
	ds_read2_b64 v[68:71], v38 offset1:32
	ds_read2_b64 v[72:75], v38 offset0:64 offset1:96
	ds_read2_b64 v[76:79], v38 offset0:128 offset1:160
	ds_read2_b64 v[80:83], v38 offset0:192 offset1:224
	ds_read2_b64 v[84:87], v25 offset1:32
	;; [unrolled: 4-line block ×3, first 2 shown]
	ds_read2_b64 v[104:107], v8 offset0:64 offset1:96
	ds_read2_b64 v[108:111], v8 offset0:128 offset1:160
	;; [unrolled: 1-line block ×3, first 2 shown]
	s_waitcnt lgkmcnt(0)
	s_barrier
	buffer_store_dword v122, off, s[0:3], 0
	buffer_store_dword v122, off, s[0:3], 0 offset:8
	buffer_store_dword v122, off, s[0:3], 0 offset:4
	;; [unrolled: 1-line block ×3, first 2 shown]
	flat_load_dwordx4 v[116:119], v[116:117]
	v_pk_mul_f16 v36, v0, v12 op_sel_hi:[1,0]
	v_pk_mul_f16 v0, v0, v12 op_sel:[0,1]
	v_pk_mul_f16 v37, v1, v12 op_sel_hi:[1,0]
	v_pk_fma_f16 v1, v1, v12, v9 op_sel:[0,1,0]
	v_pk_fma_f16 v9, v2, v12, v31 op_sel_hi:[1,0,1]
	v_pk_fma_f16 v2, v2, v12, v11 op_sel:[0,1,0]
	v_pk_fma_f16 v11, v3, v12, v41 op_sel_hi:[1,0,1]
	;; [unrolled: 2-line block ×3, first 2 shown]
	v_pk_fma_f16 v1, v57, v13, v1 op_sel:[0,1,0]
	v_pk_fma_f16 v2, v58, v13, v2 op_sel:[0,1,0]
	;; [unrolled: 1-line block ×5, first 2 shown]
	v_pk_fma_f16 v12, v33, v39, v36 op_sel_hi:[0,1,1]
	v_pk_fma_f16 v10, v33, v40, v37 op_sel_hi:[0,1,1]
	v_pk_fma_f16 v2, v62, v14, v2 op_sel:[0,1,0]
	v_pk_fma_f16 v3, v63, v14, v3 op_sel:[0,1,0]
	;; [unrolled: 1-line block ×4, first 2 shown]
	v_pk_fma_f16 v9, v58, v13, v9 op_sel_hi:[1,0,1]
	v_pk_fma_f16 v11, v59, v13, v11 op_sel_hi:[1,0,1]
	;; [unrolled: 1-line block ×4, first 2 shown]
	v_pk_fma_f16 v2, v66, v15, v2 op_sel:[0,1,0]
	v_pk_fma_f16 v3, v67, v15, v3 op_sel:[0,1,0]
	;; [unrolled: 1-line block ×4, first 2 shown]
	buffer_store_dword v122, off, s[0:3], 0
	buffer_store_dword v122, off, s[0:3], 0 offset:8
	buffer_store_dword v122, off, s[0:3], 0 offset:4
	;; [unrolled: 1-line block ×3, first 2 shown]
	v_pk_fma_f16 v9, v62, v14, v9 op_sel_hi:[1,0,1]
	v_pk_fma_f16 v11, v63, v14, v11 op_sel_hi:[1,0,1]
	;; [unrolled: 1-line block ×4, first 2 shown]
	v_pk_fma_f16 v2, v70, v44, v2 op_sel:[0,1,0]
	v_pk_fma_f16 v3, v71, v44, v3 op_sel:[0,1,0]
	;; [unrolled: 1-line block ×4, first 2 shown]
	v_pk_fma_f16 v9, v66, v15, v9 op_sel_hi:[1,0,1]
	v_pk_fma_f16 v11, v67, v15, v11 op_sel_hi:[1,0,1]
	;; [unrolled: 1-line block ×4, first 2 shown]
	v_pk_fma_f16 v13, v74, v45, v2 op_sel:[0,1,0]
	v_pk_fma_f16 v14, v75, v45, v3 op_sel:[0,1,0]
	;; [unrolled: 1-line block ×4, first 2 shown]
	v_pk_fma_f16 v9, v70, v44, v9 op_sel_hi:[1,0,1]
	v_pk_fma_f16 v11, v71, v44, v11 op_sel_hi:[1,0,1]
	;; [unrolled: 1-line block ×9, first 2 shown]
	v_pk_fma_f16 v13, v78, v46, v13 op_sel:[0,1,0]
	v_pk_fma_f16 v11, v79, v46, v11 op_sel_hi:[1,0,1]
	v_pk_fma_f16 v14, v79, v46, v14 op_sel:[0,1,0]
	v_pk_fma_f16 v12, v76, v46, v12 op_sel_hi:[1,0,1]
	;; [unrolled: 2-line block ×12, first 2 shown]
	v_pk_fma_f16 v13, v90, v49, v13 op_sel:[0,1,0]
	s_waitcnt vmcnt(0) lgkmcnt(0)
	ds_write_b128 v123, v[116:119]
	flat_load_dwordx4 v[0:3], v[120:121]
	v_pk_fma_f16 v11, v91, v49, v11 op_sel_hi:[1,0,1]
	v_pk_fma_f16 v14, v91, v49, v14 op_sel:[0,1,0]
	v_pk_fma_f16 v12, v88, v49, v12 op_sel_hi:[1,0,1]
	v_pk_fma_f16 v15, v88, v49, v15 op_sel:[0,1,0]
	;; [unrolled: 2-line block ×26, first 2 shown]
	v_pk_fma_f16 v61, v113, v55, v10 op_sel_hi:[1,0,1]
	s_waitcnt vmcnt(0) lgkmcnt(0)
	ds_write_b128 v124, v[0:3]
	s_waitcnt lgkmcnt(0)
	s_barrier
	ds_read2_b64 v[0:3], v32 offset1:32
	ds_read_b128 v[10:13], v16 offset:16960
	ds_read_b128 v[34:37], v16 offset:16976
	;; [unrolled: 1-line block ×4, first 2 shown]
	ds_read2_b64 v[48:51], v32 offset0:64 offset1:96
	ds_read2_b64 v[52:55], v32 offset0:128 offset1:160
	ds_read2_b64 v[56:59], v32 offset0:192 offset1:224
	s_waitcnt lgkmcnt(6)
	v_pk_fma_f16 v16, v0, v10, v60 op_sel_hi:[1,0,1]
	v_pk_fma_f16 v0, v0, v10, v15 op_sel:[0,1,0]
	v_pk_fma_f16 v15, v1, v10, v61 op_sel_hi:[1,0,1]
	v_pk_fma_f16 v1, v1, v10, v31 op_sel:[0,1,0]
	;; [unrolled: 2-line block ×4, first 2 shown]
	s_waitcnt lgkmcnt(2)
	v_pk_fma_f16 v0, v48, v11, v0 op_sel:[0,1,0]
	v_pk_fma_f16 v1, v49, v11, v1 op_sel:[0,1,0]
	v_pk_fma_f16 v10, v48, v11, v16 op_sel_hi:[1,0,1]
	v_pk_fma_f16 v14, v49, v11, v15 op_sel_hi:[1,0,1]
	;; [unrolled: 1-line block ×3, first 2 shown]
	v_pk_fma_f16 v2, v50, v11, v2 op_sel:[0,1,0]
	v_pk_fma_f16 v15, v51, v11, v31 op_sel_hi:[1,0,1]
	v_pk_fma_f16 v3, v51, v11, v3 op_sel:[0,1,0]
	s_waitcnt lgkmcnt(1)
	v_pk_fma_f16 v0, v52, v12, v0 op_sel:[0,1,0]
	v_pk_fma_f16 v1, v53, v12, v1 op_sel:[0,1,0]
	v_pk_fma_f16 v10, v52, v12, v10 op_sel_hi:[1,0,1]
	v_pk_fma_f16 v11, v53, v12, v14 op_sel_hi:[1,0,1]
	;; [unrolled: 1-line block ×3, first 2 shown]
	v_pk_fma_f16 v14, v54, v12, v2 op_sel:[0,1,0]
	v_pk_fma_f16 v15, v55, v12, v15 op_sel_hi:[1,0,1]
	v_pk_fma_f16 v12, v55, v12, v3 op_sel:[0,1,0]
	s_waitcnt lgkmcnt(0)
	v_pk_fma_f16 v16, v56, v13, v0 op_sel:[0,1,0]
	v_pk_fma_f16 v31, v57, v13, v1 op_sel:[0,1,0]
	ds_read2_b64 v[0:3], v38 offset1:32
	v_pk_fma_f16 v10, v56, v13, v10 op_sel_hi:[1,0,1]
	v_pk_fma_f16 v11, v57, v13, v11 op_sel_hi:[1,0,1]
	;; [unrolled: 1-line block ×3, first 2 shown]
	v_pk_fma_f16 v14, v58, v13, v14 op_sel:[0,1,0]
	v_pk_fma_f16 v15, v59, v13, v15 op_sel_hi:[1,0,1]
	v_pk_fma_f16 v32, v59, v13, v12 op_sel:[0,1,0]
	s_waitcnt lgkmcnt(0)
	v_pk_fma_f16 v33, v0, v34, v10 op_sel_hi:[1,0,1]
	v_pk_fma_f16 v0, v0, v34, v16 op_sel:[0,1,0]
	v_pk_fma_f16 v16, v1, v34, v11 op_sel_hi:[1,0,1]
	ds_read2_b64 v[10:13], v38 offset0:64 offset1:96
	v_pk_fma_f16 v1, v1, v34, v31 op_sel:[0,1,0]
	v_pk_fma_f16 v9, v2, v34, v9 op_sel_hi:[1,0,1]
	v_pk_fma_f16 v14, v2, v34, v14 op_sel:[0,1,0]
	v_pk_fma_f16 v15, v3, v34, v15 op_sel_hi:[1,0,1]
	v_pk_fma_f16 v31, v3, v34, v32 op_sel:[0,1,0]
	s_waitcnt lgkmcnt(0)
	v_pk_fma_f16 v32, v10, v35, v33 op_sel_hi:[1,0,1]
	v_pk_fma_f16 v10, v10, v35, v0 op_sel:[0,1,0]
	v_pk_fma_f16 v16, v11, v35, v16 op_sel_hi:[1,0,1]
	v_pk_fma_f16 v11, v11, v35, v1 op_sel:[0,1,0]
	ds_read2_b64 v[0:3], v38 offset0:128 offset1:160
	v_pk_fma_f16 v9, v12, v35, v9 op_sel_hi:[1,0,1]
	v_pk_fma_f16 v14, v12, v35, v14 op_sel:[0,1,0]
	v_pk_fma_f16 v15, v13, v35, v15 op_sel_hi:[1,0,1]
	v_pk_fma_f16 v31, v13, v35, v31 op_sel:[0,1,0]
	s_waitcnt lgkmcnt(0)
	v_pk_fma_f16 v32, v0, v36, v32 op_sel_hi:[1,0,1]
	v_pk_fma_f16 v0, v0, v36, v10 op_sel:[0,1,0]
	v_pk_fma_f16 v16, v1, v36, v16 op_sel_hi:[1,0,1]
	v_pk_fma_f16 v1, v1, v36, v11 op_sel:[0,1,0]
	ds_read2_b64 v[10:13], v38 offset0:192 offset1:224
	v_pk_fma_f16 v9, v2, v36, v9 op_sel_hi:[1,0,1]
	v_pk_fma_f16 v14, v2, v36, v14 op_sel:[0,1,0]
	v_pk_fma_f16 v15, v3, v36, v15 op_sel_hi:[1,0,1]
	v_pk_fma_f16 v31, v3, v36, v31 op_sel:[0,1,0]
	s_waitcnt lgkmcnt(0)
	v_pk_fma_f16 v32, v10, v37, v32 op_sel_hi:[1,0,1]
	v_pk_fma_f16 v10, v10, v37, v0 op_sel:[0,1,0]
	v_pk_fma_f16 v16, v11, v37, v16 op_sel_hi:[1,0,1]
	v_pk_fma_f16 v11, v11, v37, v1 op_sel:[0,1,0]
	ds_read2_b64 v[0:3], v25 offset1:32
	v_pk_fma_f16 v9, v12, v37, v9 op_sel_hi:[1,0,1]
	v_pk_fma_f16 v14, v12, v37, v14 op_sel:[0,1,0]
	v_pk_fma_f16 v15, v13, v37, v15 op_sel_hi:[1,0,1]
	v_pk_fma_f16 v31, v13, v37, v31 op_sel:[0,1,0]
	s_waitcnt lgkmcnt(0)
	v_pk_fma_f16 v32, v0, v40, v32 op_sel_hi:[1,0,1]
	v_pk_fma_f16 v0, v0, v40, v10 op_sel:[0,1,0]
	v_pk_fma_f16 v16, v1, v40, v16 op_sel_hi:[1,0,1]
	v_pk_fma_f16 v1, v1, v40, v11 op_sel:[0,1,0]
	ds_read2_b64 v[10:13], v25 offset0:64 offset1:96
	v_pk_fma_f16 v9, v2, v40, v9 op_sel_hi:[1,0,1]
	v_pk_fma_f16 v14, v2, v40, v14 op_sel:[0,1,0]
	v_pk_fma_f16 v15, v3, v40, v15 op_sel_hi:[1,0,1]
	v_pk_fma_f16 v31, v3, v40, v31 op_sel:[0,1,0]
	s_waitcnt lgkmcnt(0)
	v_pk_fma_f16 v32, v10, v41, v32 op_sel_hi:[1,0,1]
	v_pk_fma_f16 v10, v10, v41, v0 op_sel:[0,1,0]
	v_pk_fma_f16 v16, v11, v41, v16 op_sel_hi:[1,0,1]
	v_pk_fma_f16 v11, v11, v41, v1 op_sel:[0,1,0]
	ds_read2_b64 v[0:3], v25 offset0:128 offset1:160
	v_pk_fma_f16 v9, v12, v41, v9 op_sel_hi:[1,0,1]
	v_pk_fma_f16 v14, v12, v41, v14 op_sel:[0,1,0]
	v_pk_fma_f16 v15, v13, v41, v15 op_sel_hi:[1,0,1]
	v_pk_fma_f16 v31, v13, v41, v31 op_sel:[0,1,0]
	s_waitcnt lgkmcnt(0)
	v_pk_fma_f16 v32, v0, v42, v32 op_sel_hi:[1,0,1]
	v_pk_fma_f16 v0, v0, v42, v10 op_sel:[0,1,0]
	v_pk_fma_f16 v16, v1, v42, v16 op_sel_hi:[1,0,1]
	v_pk_fma_f16 v1, v1, v42, v11 op_sel:[0,1,0]
	ds_read2_b64 v[10:13], v25 offset0:192 offset1:224
	v_pk_fma_f16 v9, v2, v42, v9 op_sel_hi:[1,0,1]
	v_pk_fma_f16 v14, v2, v42, v14 op_sel:[0,1,0]
	v_pk_fma_f16 v15, v3, v42, v15 op_sel_hi:[1,0,1]
	v_pk_fma_f16 v25, v3, v42, v31 op_sel:[0,1,0]
	s_waitcnt lgkmcnt(0)
	v_pk_fma_f16 v31, v10, v43, v32 op_sel_hi:[1,0,1]
	v_pk_fma_f16 v10, v10, v43, v0 op_sel:[0,1,0]
	v_pk_fma_f16 v16, v11, v43, v16 op_sel_hi:[1,0,1]
	v_pk_fma_f16 v11, v11, v43, v1 op_sel:[0,1,0]
	ds_read2_b64 v[0:3], v8 offset1:32
	v_pk_fma_f16 v9, v12, v43, v9 op_sel_hi:[1,0,1]
	v_pk_fma_f16 v14, v12, v43, v14 op_sel:[0,1,0]
	v_pk_fma_f16 v15, v13, v43, v15 op_sel_hi:[1,0,1]
	v_pk_fma_f16 v25, v13, v43, v25 op_sel:[0,1,0]
	s_waitcnt lgkmcnt(0)
	v_pk_fma_f16 v31, v0, v44, v31 op_sel_hi:[1,0,1]
	v_pk_fma_f16 v0, v0, v44, v10 op_sel:[0,1,0]
	v_pk_fma_f16 v16, v1, v44, v16 op_sel_hi:[1,0,1]
	v_pk_fma_f16 v1, v1, v44, v11 op_sel:[0,1,0]
	ds_read2_b64 v[10:13], v8 offset0:64 offset1:96
	v_pk_fma_f16 v9, v2, v44, v9 op_sel_hi:[1,0,1]
	v_pk_fma_f16 v14, v2, v44, v14 op_sel:[0,1,0]
	v_pk_fma_f16 v15, v3, v44, v15 op_sel_hi:[1,0,1]
	v_pk_fma_f16 v25, v3, v44, v25 op_sel:[0,1,0]
	s_waitcnt lgkmcnt(0)
	v_pk_fma_f16 v31, v10, v45, v31 op_sel_hi:[1,0,1]
	v_pk_fma_f16 v10, v10, v45, v0 op_sel:[0,1,0]
	v_pk_fma_f16 v16, v11, v45, v16 op_sel_hi:[1,0,1]
	v_pk_fma_f16 v11, v11, v45, v1 op_sel:[0,1,0]
	ds_read2_b64 v[0:3], v8 offset0:128 offset1:160
	;; [unrolled: 10-line block ×3, first 2 shown]
	v_pk_fma_f16 v25, v2, v46, v32 op_sel_hi:[1,0,1]
	v_pk_fma_f16 v2, v2, v46, v12 op_sel:[0,1,0]
	v_pk_fma_f16 v12, v3, v46, v14 op_sel_hi:[1,0,1]
	v_pk_fma_f16 v3, v3, v46, v13 op_sel:[0,1,0]
	s_waitcnt lgkmcnt(0)
	v_pk_fma_f16 v39, v8, v47, v15 op_sel_hi:[1,0,1]
	v_pk_fma_f16 v35, v8, v47, v0 op_sel:[0,1,0]
	v_pk_fma_f16 v40, v9, v47, v16 op_sel_hi:[1,0,1]
	v_pk_fma_f16 v37, v9, v47, v1 op_sel:[0,1,0]
	v_pk_fma_f16 v43, v10, v47, v25 op_sel_hi:[1,0,1]
	v_pk_fma_f16 v36, v10, v47, v2 op_sel:[0,1,0]
	v_pk_fma_f16 v42, v11, v47, v12 op_sel_hi:[1,0,1]
	v_pk_fma_f16 v34, v11, v47, v3 op_sel:[0,1,0]
	v_pk_mov_b32 v[8:9], v[4:5], v[4:5] op_sel:[0,1]
	v_pk_mov_b32 v[10:11], v[6:7], v[6:7] op_sel:[0,1]
	s_barrier
.LBB71_46:
	v_cmp_lt_i32_e32 vcc, v20, v19
	v_cndmask_b32_e32 v0, v18, v20, vcc
	v_lshlrev_b32_e32 v1, 2, v0
	ds_bpermute_b32 v0, v1, v10
	ds_bpermute_b32 v1, v1, v11
	v_cmp_lt_i32_e32 vcc, v21, v19
	v_cndmask_b32_e32 v2, v18, v21, vcc
	v_lshlrev_b32_e32 v3, 2, v2
	v_cmp_lt_i32_e32 vcc, v22, v19
	s_waitcnt lgkmcnt(0)
	v_pk_add_f32 v[0:1], v[10:11], v[0:1]
	ds_bpermute_b32 v2, v3, v0
	ds_bpermute_b32 v3, v3, v1
	v_cndmask_b32_e32 v4, v18, v22, vcc
	v_lshlrev_b32_e32 v4, 2, v4
	v_cmp_lt_i32_e32 vcc, v23, v19
	s_cmp_eq_u64 s[24:25], 0
	s_waitcnt lgkmcnt(0)
	v_pk_add_f32 v[0:1], v[0:1], v[2:3]
	ds_bpermute_b32 v2, v4, v0
	ds_bpermute_b32 v3, v4, v1
	v_cndmask_b32_e32 v4, v18, v23, vcc
	v_lshlrev_b32_e32 v4, 2, v4
	v_cmp_lt_i32_e32 vcc, v24, v19
	s_cselect_b64 s[6:7], -1, 0
	s_waitcnt lgkmcnt(0)
	v_pk_add_f32 v[0:1], v[0:1], v[2:3]
	ds_bpermute_b32 v2, v4, v0
	ds_bpermute_b32 v3, v4, v1
	v_cndmask_b32_e32 v4, v18, v24, vcc
	v_lshlrev_b32_e32 v4, 2, v4
	s_cmp_lg_u32 s9, 0
	s_cselect_b64 s[10:11], -1, 0
	s_waitcnt lgkmcnt(0)
	v_pk_add_f32 v[0:1], v[0:1], v[2:3]
	ds_bpermute_b32 v2, v4, v0
	ds_bpermute_b32 v3, v4, v1
	s_or_b64 s[6:7], s[10:11], s[6:7]
	s_and_b64 vcc, exec, s[6:7]
	s_waitcnt lgkmcnt(0)
	v_pk_add_f32 v[0:1], v[0:1], v[2:3]
	s_cbranch_vccnz .LBB71_48
; %bb.47:
	s_lshl_b64 s[6:7], s[14:15], 2
	s_add_u32 s6, s24, s6
	s_addc_u32 s7, s25, s7
	v_mov_b32_e32 v2, 0
	global_load_dword v2, v2, s[6:7]
	v_max_f32_e32 v3, v9, v9
	v_max_f32_e32 v4, v8, v8
	s_mov_b32 s6, 0x3fb8aa3b
	s_mov_b32 s7, 0xc2ce8ed0
	;; [unrolled: 1-line block ×3, first 2 shown]
	v_mov_b32_e32 v10, 0x7f800000
	s_waitcnt vmcnt(0)
	v_max_f32_e32 v6, v2, v2
	v_max_f32_e32 v5, v3, v6
	;; [unrolled: 1-line block ×3, first 2 shown]
	v_pk_add_f32 v[6:7], v[8:9], v[4:5] neg_lo:[0,1] neg_hi:[0,1]
	v_mul_f32_e32 v8, 0x3fb8aa3b, v7
	v_pk_add_f32 v[2:3], v[2:3], v[4:5] op_sel_hi:[0,1] neg_lo:[0,1] neg_hi:[0,1]
	v_mul_f32_e32 v9, 0x3fb8aa3b, v6
	v_fma_f32 v13, v7, s6, -v8
	v_rndne_f32_e32 v14, v8
	v_mul_f32_e32 v11, 0x3fb8aa3b, v3
	v_fma_f32 v15, v6, s6, -v9
	v_rndne_f32_e32 v16, v9
	v_fmac_f32_e32 v13, 0x32a5705f, v7
	v_sub_f32_e32 v8, v8, v14
	v_mul_f32_e32 v12, 0x3fb8aa3b, v2
	v_fma_f32 v18, v3, s6, -v11
	v_rndne_f32_e32 v19, v11
	v_fmac_f32_e32 v15, 0x32a5705f, v6
	v_sub_f32_e32 v9, v9, v16
	v_add_f32_e32 v8, v8, v13
	v_fma_f32 v20, v2, s6, -v12
	v_rndne_f32_e32 v21, v12
	v_cvt_i32_f32_e32 v14, v14
	v_fmac_f32_e32 v18, 0x32a5705f, v3
	v_sub_f32_e32 v11, v11, v19
	v_add_f32_e32 v9, v9, v15
	v_exp_f32_e32 v8, v8
	v_cvt_i32_f32_e32 v16, v16
	v_fmac_f32_e32 v20, 0x32a5705f, v2
	v_sub_f32_e32 v12, v12, v21
	v_add_f32_e32 v11, v11, v18
	v_exp_f32_e32 v9, v9
	v_cvt_i32_f32_e32 v19, v19
	v_add_f32_e32 v12, v12, v20
	v_exp_f32_e32 v11, v11
	v_cvt_i32_f32_e32 v21, v21
	v_exp_f32_e32 v12, v12
	v_ldexp_f32 v8, v8, v14
	v_cmp_ngt_f32_e32 vcc, s7, v7
	v_ldexp_f32 v9, v9, v16
	v_cndmask_b32_e32 v8, 0, v8, vcc
	v_cmp_ngt_f32_e32 vcc, s7, v6
	v_ldexp_f32 v11, v11, v19
	v_cndmask_b32_e32 v9, 0, v9, vcc
	;; [unrolled: 3-line block ×3, first 2 shown]
	v_cmp_ngt_f32_e32 vcc, s7, v2
	v_cndmask_b32_e32 v12, 0, v12, vcc
	v_cmp_nlt_f32_e32 vcc, s8, v7
	v_cndmask_b32_e32 v7, v10, v8, vcc
	v_cmp_nlt_f32_e32 vcc, s8, v6
	;; [unrolled: 2-line block ×4, first 2 shown]
	v_cndmask_b32_e32 v2, v10, v12, vcc
	v_cvt_f16_f32_e32 v8, v6
	v_pk_fma_f32 v[0:1], v[0:1], v[6:7], v[2:3]
	v_cvt_f16_f32_e32 v2, v7
	v_pk_mul_f16 v39, v8, v39 op_sel_hi:[0,1]
	v_pk_mul_f16 v40, v8, v40 op_sel_hi:[0,1]
	;; [unrolled: 1-line block ×8, first 2 shown]
	v_pk_mov_b32 v[8:9], v[4:5], v[4:5] op_sel:[0,1]
.LBB71_48:
	v_cmp_gt_i32_e32 vcc, s38, v30
	s_and_saveexec_b64 s[6:7], vcc
	s_cbranch_execz .LBB71_58
; %bb.49:
	s_load_dword s8, s[4:5], 0xd4
	v_mov_b32_e32 v2, 1.0
	s_waitcnt lgkmcnt(0)
	s_cmp_lg_u32 s8, 1
	s_cselect_b64 s[10:11], -1, 0
	s_cmp_eq_u32 s8, 1
	s_cselect_b64 s[6:7], -1, 0
	s_and_b64 vcc, exec, s[10:11]
	s_cbranch_vccnz .LBB71_51
; %bb.50:
	v_div_scale_f32 v2, s[4:5], v0, v0, 1.0
	v_rcp_f32_e32 v3, v2
	v_div_scale_f32 v4, vcc, 1.0, v0, 1.0
	v_fma_f32 v5, -v2, v3, 1.0
	v_fmac_f32_e32 v3, v5, v3
	v_mul_f32_e32 v5, v4, v3
	v_fma_f32 v6, -v2, v5, v4
	v_fmac_f32_e32 v5, v6, v3
	v_fma_f32 v2, -v2, v5, v4
	v_div_fmas_f32 v2, v2, v3, v5
	v_div_fixup_f32 v2, v2, v0, 1.0
.LBB71_51:
	s_mul_i32 s12, s33, s38
	s_add_i32 s12, s12, s22
	v_add_u32_e32 v3, s12, v28
	v_mul_lo_u32 v3, v3, s39
	v_add_u32_e32 v3, s14, v3
	v_mul_lo_u32 v3, s8, v3
	v_add_u32_e32 v4, s9, v3
	v_cvt_f32_f16_sdwa v13, v39 dst_sel:DWORD dst_unused:UNUSED_PAD src0_sel:WORD_1
	v_cvt_f32_f16_e32 v12, v39
	v_cvt_f32_f16_sdwa v15, v40 dst_sel:DWORD dst_unused:UNUSED_PAD src0_sel:WORD_1
	v_cvt_f32_f16_e32 v14, v40
	v_lshl_add_u32 v6, v4, 8, v26
	v_mov_b32_e32 v7, 0
	v_lshlrev_b64 v[10:11], 2, v[6:7]
	v_mov_b32_e32 v3, s29
	v_add_co_u32_e64 v18, s[4:5], s28, v10
	v_addc_co_u32_e64 v19, s[4:5], v3, v11, s[4:5]
	v_pk_mul_f32 v[10:11], v[2:3], v[12:13] op_sel_hi:[0,1]
	v_pk_mul_f32 v[12:13], v[2:3], v[14:15] op_sel_hi:[0,1]
	global_store_dwordx4 v[18:19], v[10:13], off
	v_add_u32_e32 v6, 0x80, v6
	v_cvt_f32_f16_sdwa v11, v43 dst_sel:DWORD dst_unused:UNUSED_PAD src0_sel:WORD_1
	v_cvt_f32_f16_e32 v10, v43
	v_cvt_f32_f16_sdwa v13, v42 dst_sel:DWORD dst_unused:UNUSED_PAD src0_sel:WORD_1
	v_cvt_f32_f16_e32 v12, v42
	v_lshlrev_b64 v[6:7], 2, v[6:7]
	v_add_co_u32_e64 v6, s[4:5], s28, v6
	v_cmp_eq_u32_e32 vcc, 0, v29
	v_addc_co_u32_e64 v7, s[4:5], v3, v7, s[4:5]
	v_pk_mul_f32 v[10:11], v[2:3], v[10:11] op_sel_hi:[0,1]
	v_pk_mul_f32 v[12:13], v[2:3], v[12:13] op_sel_hi:[0,1]
	s_and_b64 s[4:5], vcc, s[10:11]
	global_store_dwordx4 v[6:7], v[10:13], off
	s_and_saveexec_b64 s[10:11], s[4:5]
	s_cbranch_execz .LBB71_53
; %bb.52:
	v_ashrrev_i32_e32 v5, 31, v4
	v_lshlrev_b64 v[2:3], 3, v[4:5]
	v_mov_b32_e32 v4, s31
	v_add_co_u32_e32 v2, vcc, s30, v2
	v_addc_co_u32_e32 v3, vcc, v4, v3, vcc
	v_mov_b32_e32 v4, v8
	v_mov_b32_e32 v5, v0
	global_store_dwordx2 v[2:3], v[4:5], off
.LBB71_53:
	s_or_b64 exec, exec, s[10:11]
	v_cmp_gt_i32_e32 vcc, s38, v27
	s_and_b64 exec, exec, vcc
	s_cbranch_execz .LBB71_58
; %bb.54:
	s_andn2_b64 vcc, exec, s[6:7]
	v_mov_b32_e32 v0, 1.0
	s_cbranch_vccnz .LBB71_56
; %bb.55:
	v_div_scale_f32 v0, s[6:7], v1, v1, 1.0
	v_rcp_f32_e32 v2, v0
	v_div_scale_f32 v3, vcc, 1.0, v1, 1.0
	v_fma_f32 v4, -v0, v2, 1.0
	v_fmac_f32_e32 v2, v4, v2
	v_mul_f32_e32 v4, v3, v2
	v_fma_f32 v5, -v0, v4, v3
	v_fmac_f32_e32 v4, v5, v2
	v_fma_f32 v0, -v0, v4, v3
	v_div_fmas_f32 v0, v0, v2, v4
	v_div_fixup_f32 v0, v0, v1, 1.0
.LBB71_56:
	v_add_u32_e32 v2, s12, v17
	v_mul_lo_u32 v2, v2, s39
	v_add_u32_e32 v2, s14, v2
	v_mul_lo_u32 v2, s8, v2
	v_add_u32_e32 v2, s9, v2
	v_cvt_f32_f16_sdwa v7, v35 dst_sel:DWORD dst_unused:UNUSED_PAD src0_sel:WORD_1
	v_cvt_f32_f16_e32 v6, v35
	v_cvt_f32_f16_sdwa v13, v37 dst_sel:DWORD dst_unused:UNUSED_PAD src0_sel:WORD_1
	v_cvt_f32_f16_e32 v12, v37
	v_lshl_add_u32 v10, v2, 8, v26
	v_mov_b32_e32 v11, 0
	v_lshlrev_b64 v[4:5], 2, v[10:11]
	v_mov_b32_e32 v3, s29
	v_add_co_u32_e32 v14, vcc, s28, v4
	v_addc_co_u32_e32 v15, vcc, v3, v5, vcc
	v_pk_mul_f32 v[4:5], v[0:1], v[6:7] op_sel_hi:[0,1]
	v_pk_mul_f32 v[6:7], v[0:1], v[12:13] op_sel_hi:[0,1]
	v_add_u32_e32 v10, 0x80, v10
	global_store_dwordx4 v[14:15], v[4:7], off
	s_nop 0
	v_lshlrev_b64 v[4:5], 2, v[10:11]
	v_cvt_f32_f16_sdwa v7, v36 dst_sel:DWORD dst_unused:UNUSED_PAD src0_sel:WORD_1
	v_cvt_f32_f16_e32 v6, v36
	v_cvt_f32_f16_sdwa v11, v34 dst_sel:DWORD dst_unused:UNUSED_PAD src0_sel:WORD_1
	v_cvt_f32_f16_e32 v10, v34
	v_add_co_u32_e32 v12, vcc, s28, v4
	v_addc_co_u32_e32 v13, vcc, v3, v5, vcc
	v_pk_mul_f32 v[4:5], v[0:1], v[6:7] op_sel_hi:[0,1]
	v_pk_mul_f32 v[6:7], v[0:1], v[10:11] op_sel_hi:[0,1]
	global_store_dwordx4 v[12:13], v[4:7], off
	s_and_b64 exec, exec, s[4:5]
	s_cbranch_execz .LBB71_58
; %bb.57:
	v_ashrrev_i32_e32 v3, 31, v2
	v_lshlrev_b64 v[2:3], 3, v[2:3]
	v_mov_b32_e32 v0, s31
	v_add_co_u32_e32 v2, vcc, s30, v2
	v_addc_co_u32_e32 v3, vcc, v0, v3, vcc
	v_mov_b32_e32 v0, v9
	global_store_dwordx2 v[2:3], v[0:1], off
.LBB71_58:
	s_endpgm
	.section	.rodata,"a",@progbits
	.p2align	6, 0x0
	.amdhsa_kernel _ZL15flash_attn_tileILi256ELi256ELi16ELi1ELb1EEvPKcS1_S1_S1_S1_PKiPfP15HIP_vector_typeIfLj2EEffffjfiS5_IjLj3EEiiiiiiiiiiiliiliiiiil
		.amdhsa_group_segment_fixed_size 17920
		.amdhsa_private_segment_fixed_size 32
		.amdhsa_kernarg_size 464
		.amdhsa_user_sgpr_count 8
		.amdhsa_user_sgpr_private_segment_buffer 1
		.amdhsa_user_sgpr_dispatch_ptr 0
		.amdhsa_user_sgpr_queue_ptr 0
		.amdhsa_user_sgpr_kernarg_segment_ptr 1
		.amdhsa_user_sgpr_dispatch_id 0
		.amdhsa_user_sgpr_flat_scratch_init 1
		.amdhsa_user_sgpr_kernarg_preload_length 0
		.amdhsa_user_sgpr_kernarg_preload_offset 0
		.amdhsa_user_sgpr_private_segment_size 0
		.amdhsa_uses_dynamic_stack 0
		.amdhsa_system_sgpr_private_segment_wavefront_offset 1
		.amdhsa_system_sgpr_workgroup_id_x 1
		.amdhsa_system_sgpr_workgroup_id_y 1
		.amdhsa_system_sgpr_workgroup_id_z 1
		.amdhsa_system_sgpr_workgroup_info 0
		.amdhsa_system_vgpr_workitem_id 1
		.amdhsa_next_free_vgpr 128
		.amdhsa_next_free_sgpr 56
		.amdhsa_accum_offset 128
		.amdhsa_reserve_vcc 1
		.amdhsa_reserve_flat_scratch 1
		.amdhsa_float_round_mode_32 0
		.amdhsa_float_round_mode_16_64 0
		.amdhsa_float_denorm_mode_32 3
		.amdhsa_float_denorm_mode_16_64 3
		.amdhsa_dx10_clamp 1
		.amdhsa_ieee_mode 1
		.amdhsa_fp16_overflow 0
		.amdhsa_tg_split 0
		.amdhsa_exception_fp_ieee_invalid_op 0
		.amdhsa_exception_fp_denorm_src 0
		.amdhsa_exception_fp_ieee_div_zero 0
		.amdhsa_exception_fp_ieee_overflow 0
		.amdhsa_exception_fp_ieee_underflow 0
		.amdhsa_exception_fp_ieee_inexact 0
		.amdhsa_exception_int_div_zero 0
	.end_amdhsa_kernel
	.section	.text._ZL15flash_attn_tileILi256ELi256ELi16ELi1ELb1EEvPKcS1_S1_S1_S1_PKiPfP15HIP_vector_typeIfLj2EEffffjfiS5_IjLj3EEiiiiiiiiiiiliiliiiiil,"axG",@progbits,_ZL15flash_attn_tileILi256ELi256ELi16ELi1ELb1EEvPKcS1_S1_S1_S1_PKiPfP15HIP_vector_typeIfLj2EEffffjfiS5_IjLj3EEiiiiiiiiiiiliiliiiiil,comdat
.Lfunc_end71:
	.size	_ZL15flash_attn_tileILi256ELi256ELi16ELi1ELb1EEvPKcS1_S1_S1_S1_PKiPfP15HIP_vector_typeIfLj2EEffffjfiS5_IjLj3EEiiiiiiiiiiiliiliiiiil, .Lfunc_end71-_ZL15flash_attn_tileILi256ELi256ELi16ELi1ELb1EEvPKcS1_S1_S1_S1_PKiPfP15HIP_vector_typeIfLj2EEffffjfiS5_IjLj3EEiiiiiiiiiiiliiliiiiil
                                        ; -- End function
	.section	.AMDGPU.csdata,"",@progbits
; Kernel info:
; codeLenInByte = 19676
; NumSgprs: 62
; NumVgprs: 128
; NumAgprs: 0
; TotalNumVgprs: 128
; ScratchSize: 32
; MemoryBound: 0
; FloatMode: 240
; IeeeMode: 1
; LDSByteSize: 17920 bytes/workgroup (compile time only)
; SGPRBlocks: 7
; VGPRBlocks: 15
; NumSGPRsForWavesPerEU: 62
; NumVGPRsForWavesPerEU: 128
; AccumOffset: 128
; Occupancy: 3
; WaveLimiterHint : 1
; COMPUTE_PGM_RSRC2:SCRATCH_EN: 1
; COMPUTE_PGM_RSRC2:USER_SGPR: 8
; COMPUTE_PGM_RSRC2:TRAP_HANDLER: 0
; COMPUTE_PGM_RSRC2:TGID_X_EN: 1
; COMPUTE_PGM_RSRC2:TGID_Y_EN: 1
; COMPUTE_PGM_RSRC2:TGID_Z_EN: 1
; COMPUTE_PGM_RSRC2:TIDIG_COMP_CNT: 1
; COMPUTE_PGM_RSRC3_GFX90A:ACCUM_OFFSET: 31
; COMPUTE_PGM_RSRC3_GFX90A:TG_SPLIT: 0
	.section	.text._ZL15flash_attn_tileILi256ELi256ELi8ELi1ELb1EEvPKcS1_S1_S1_S1_PKiPfP15HIP_vector_typeIfLj2EEffffjfiS5_IjLj3EEiiiiiiiiiiiliiliiiiil,"axG",@progbits,_ZL15flash_attn_tileILi256ELi256ELi8ELi1ELb1EEvPKcS1_S1_S1_S1_PKiPfP15HIP_vector_typeIfLj2EEffffjfiS5_IjLj3EEiiiiiiiiiiiliiliiiiil,comdat
	.globl	_ZL15flash_attn_tileILi256ELi256ELi8ELi1ELb1EEvPKcS1_S1_S1_S1_PKiPfP15HIP_vector_typeIfLj2EEffffjfiS5_IjLj3EEiiiiiiiiiiiliiliiiiil ; -- Begin function _ZL15flash_attn_tileILi256ELi256ELi8ELi1ELb1EEvPKcS1_S1_S1_S1_PKiPfP15HIP_vector_typeIfLj2EEffffjfiS5_IjLj3EEiiiiiiiiiiiliiliiiiil
	.p2align	8
	.type	_ZL15flash_attn_tileILi256ELi256ELi8ELi1ELb1EEvPKcS1_S1_S1_S1_PKiPfP15HIP_vector_typeIfLj2EEffffjfiS5_IjLj3EEiiiiiiiiiiiliiliiiiil,@function
_ZL15flash_attn_tileILi256ELi256ELi8ELi1ELb1EEvPKcS1_S1_S1_S1_PKiPfP15HIP_vector_typeIfLj2EEffffjfiS5_IjLj3EEiiiiiiiiiiiliiliiiiil: ; @_ZL15flash_attn_tileILi256ELi256ELi8ELi1ELb1EEvPKcS1_S1_S1_S1_PKiPfP15HIP_vector_typeIfLj2EEffffjfiS5_IjLj3EEiiiiiiiiiiiliiliiiiil
; %bb.0:
	s_load_dwordx4 s[28:31], s[6:7], 0x5c
	s_load_dwordx2 s[42:43], s[6:7], 0x80
	s_load_dwordx16 s[12:27], s[6:7], 0x0
	s_load_dwordx2 s[44:45], s[6:7], 0xb8
	s_mov_b64 s[40:41], 0
	s_waitcnt lgkmcnt(0)
	v_cvt_f32_u32_e32 v1, s31
	s_sub_i32 s0, 0, s31
	v_rcp_iflag_f32_e32 v1, v1
	v_mul_f32_e32 v1, 0x4f7ffffe, v1
	v_cvt_u32_f32_e32 v1, v1
	v_readfirstlane_b32 s1, v1
	s_mul_i32 s0, s0, s1
	s_mul_hi_u32 s0, s1, s0
	s_add_i32 s1, s1, s0
	s_mul_hi_u32 s0, s10, s1
	s_mul_i32 s1, s0, s31
	s_sub_i32 s1, s10, s1
	s_add_i32 s2, s0, 1
	s_sub_i32 s3, s1, s31
	s_cmp_ge_u32 s1, s31
	s_cselect_b32 s0, s2, s0
	s_cselect_b32 s1, s3, s1
	s_add_i32 s2, s0, 1
	s_cmp_ge_u32 s1, s31
	s_cselect_b32 s33, s2, s0
	s_abs_i32 s0, s43
	v_cvt_f32_u32_e32 v1, s0
	s_mul_i32 s3, s33, s31
	s_sub_i32 s11, 0, s0
	s_sub_i32 s34, s10, s3
	v_rcp_iflag_f32_e32 v1, v1
	s_abs_i32 s2, s31
	s_xor_b32 s1, s31, s43
	s_ashr_i32 s1, s1, 31
	v_mul_f32_e32 v1, 0x4f7ffffe, v1
	v_cvt_u32_f32_e32 v1, v1
	v_readfirstlane_b32 s3, v1
	s_mul_i32 s11, s11, s3
	s_mul_hi_u32 s10, s3, s11
	s_add_i32 s3, s3, s10
	s_mul_hi_u32 s3, s2, s3
	s_mul_i32 s10, s3, s0
	s_sub_i32 s2, s2, s10
	s_add_i32 s11, s3, 1
	s_sub_i32 s10, s2, s0
	s_cmp_ge_u32 s2, s0
	s_cselect_b32 s3, s11, s3
	s_cselect_b32 s2, s10, s2
	s_add_i32 s10, s3, 1
	s_cmp_ge_u32 s2, s0
	s_cselect_b32 s0, s10, s3
	s_xor_b32 s0, s0, s1
	s_sub_i32 s47, s0, s1
	s_abs_i32 s43, s47
	v_cvt_f32_u32_e32 v1, s43
	s_sub_i32 s0, 0, s43
	s_abs_i32 s46, s34
	v_rcp_iflag_f32_e32 v1, v1
	v_mul_f32_e32 v1, 0x4f7ffffe, v1
	v_cvt_u32_f32_e32 v1, v1
	v_readfirstlane_b32 s1, v1
	s_mul_i32 s0, s0, s1
	s_mul_hi_u32 s0, s1, s0
	s_add_i32 s0, s1, s0
	s_cmp_eq_u64 s[18:19], 0
	s_cbranch_scc1 .LBB72_2
; %bb.1:
	s_abs_i32 s1, s44
	v_cvt_f32_u32_e32 v1, s1
	s_sub_i32 s35, 0, s1
	s_abs_i32 s11, s33
	s_ashr_i32 s10, s33, 31
	v_rcp_iflag_f32_e32 v1, v1
	s_load_dwordx2 s[2:3], s[6:7], 0xc8
	v_mul_f32_e32 v1, 0x4f7ffffe, v1
	v_cvt_u32_f32_e32 v1, v1
	v_readfirstlane_b32 s36, v1
	s_mul_i32 s35, s35, s36
	s_mul_hi_u32 s35, s36, s35
	s_add_i32 s36, s36, s35
	s_mul_hi_u32 s35, s11, s36
	s_mul_i32 s35, s35, s1
	s_sub_i32 s11, s11, s35
	s_sub_i32 s35, s11, s1
	s_cmp_ge_u32 s11, s1
	s_cselect_b32 s11, s35, s11
	s_sub_i32 s35, s11, s1
	s_cmp_ge_u32 s11, s1
	s_cselect_b32 s1, s35, s11
	s_xor_b32 s1, s1, s10
	s_sub_i32 s1, s1, s10
	s_ashr_i32 s10, s1, 31
	s_waitcnt lgkmcnt(0)
	s_mul_i32 s3, s1, s3
	s_mul_hi_u32 s11, s1, s2
	s_add_i32 s3, s11, s3
	s_mul_i32 s10, s10, s2
	s_add_i32 s3, s3, s10
	s_mul_i32 s1, s1, s2
	s_add_u32 s40, s18, s1
	s_addc_u32 s41, s19, s3
.LBB72_2:
	s_load_dwordx4 s[36:39], s[6:7], 0x40
	s_load_dwordx2 s[18:19], s[6:7], 0x50
	s_mul_hi_u32 s44, s46, s0
	v_mov_b32_e32 v38, 1.0
	s_waitcnt lgkmcnt(0)
	v_cmp_le_f32_e64 s[0:1], s37, 0
	s_and_b64 vcc, exec, s[0:1]
	s_cbranch_vccnz .LBB72_4
; %bb.3:
	s_sub_i32 s0, s34, s18
	s_lshl_b32 s0, s0, 1
	s_add_i32 s2, s34, 1
	s_or_b32 s3, s0, 1
	s_cmp_lt_u32 s34, s18
	s_cselect_b64 vcc, -1, 0
	s_and_b64 s[0:1], vcc, exec
	v_mov_b32_e32 v1, s39
	v_mov_b32_e32 v2, s38
	s_cselect_b32 s0, s2, s3
	v_cndmask_b32_e32 v18, v1, v2, vcc
	v_cvt_f32_i32_e32 v1, s0
	v_cmp_neq_f32_e32 vcc, 1.0, v18
	s_mov_b32 s0, 0x3f2aaaab
	s_movk_i32 s2, 0x204
	v_cndmask_b32_e32 v19, 1.0, v1, vcc
	v_cmp_eq_f32_e32 vcc, 0, v19
	v_cndmask_b32_e64 v20, |v18|, 1.0, vcc
	v_frexp_mant_f32_e32 v1, v20
	v_cmp_gt_f32_e64 s[0:1], s0, v1
	v_cndmask_b32_e64 v2, 1.0, 2.0, s[0:1]
	v_mul_f32_e32 v1, v1, v2
	v_add_f32_e32 v2, 1.0, v1
	v_rcp_f32_e32 v10, v2
	v_add_f32_e32 v3, -1.0, v2
	v_sub_f32_e32 v5, v1, v3
	v_add_f32_e32 v3, -1.0, v1
	v_mul_f32_e32 v1, v3, v10
	v_mul_f32_e32 v4, v2, v1
	v_fma_f32 v6, v1, v2, -v4
	v_fmac_f32_e32 v6, v1, v5
	v_add_f32_e32 v2, v4, v6
	v_sub_f32_e32 v5, v3, v2
	v_pk_add_f32 v[8:9], v[2:3], v[4:5] neg_lo:[0,1] neg_hi:[0,1]
	v_mov_b32_e32 v7, v2
	v_pk_add_f32 v[2:3], v[8:9], v[6:7] neg_lo:[0,1] neg_hi:[0,1]
	v_add_f32_e32 v2, v2, v3
	v_add_f32_e32 v2, v5, v2
	v_mul_f32_e32 v3, v10, v2
	v_add_f32_e32 v2, v1, v3
	v_sub_f32_e32 v1, v2, v1
	v_sub_f32_e32 v1, v3, v1
	v_mul_f32_e32 v3, v2, v2
	v_fma_f32 v5, v2, v2, -v3
	v_add_f32_e32 v4, v1, v1
	v_fmac_f32_e32 v5, v2, v4
	v_add_f32_e32 v4, v3, v5
	v_mov_b32_e32 v6, 0x3e91f4c4
	v_fmac_f32_e32 v6, 0x3e76c4e1, v4
	v_mov_b32_e32 v7, 0x3ecccdef
	v_fmac_f32_e32 v7, v4, v6
	v_sub_f32_e32 v3, v4, v3
	v_sub_f32_e32 v12, v5, v3
	v_mul_f32_e32 v3, v4, v7
	v_fma_f32 v5, v4, v7, -v3
	v_fmac_f32_e32 v5, v12, v7
	v_add_f32_e32 v6, v3, v5
	v_add_f32_e32 v7, 0x3f2aaaaa, v6
	v_sub_f32_e32 v3, v6, v3
	v_sub_f32_e32 v3, v5, v3
	v_add_f32_e32 v5, 0xbf2aaaaa, v7
	v_add_f32_e32 v3, 0x31739010, v3
	v_sub_f32_e32 v5, v6, v5
	v_pk_mul_f32 v[8:9], v[2:3], v[4:5]
	v_fma_f32 v6, v4, v2, -v8
	v_pk_add_f32 v[10:11], v[2:3], v[4:5]
	v_fmac_f32_e32 v6, v4, v1
	v_mov_b32_e32 v9, v11
	v_fmac_f32_e32 v6, v12, v2
	v_pk_add_f32 v[4:5], v[8:9], v[6:7]
	v_sub_f32_e32 v3, v4, v8
	v_sub_f32_e32 v3, v6, v3
	;; [unrolled: 1-line block ×3, first 2 shown]
	v_add_f32_e32 v9, v11, v6
	v_mov_b32_e32 v6, v5
	v_pk_mul_f32 v[6:7], v[4:5], v[6:7]
	v_cvt_f64_f32_e32 v[10:11], v20
	v_frexp_exp_i32_f64_e32 v7, v[10:11]
	v_subbrev_co_u32_e64 v7, s[0:1], 0, v7, s[0:1]
	v_cvt_f32_i32_e32 v7, v7
	v_fma_f32 v8, v4, v5, -v6
	v_fmac_f32_e32 v8, v4, v9
	s_mov_b32 s0, 0x3f317218
	v_mul_f32_e32 v4, 0x3f317218, v7
	v_fmac_f32_e32 v8, v3, v5
	v_fma_f32 v10, v7, s0, -v4
	v_fmac_f32_e32 v10, 0xb102e308, v7
	v_ldexp_f32 v11, v2, 1
	v_add_f32_e32 v5, v6, v8
	v_pk_add_f32 v[2:3], v[4:5], v[10:11]
	v_mov_b32_e32 v12, v5
	v_mov_b32_e32 v13, v3
	;; [unrolled: 1-line block ×3, first 2 shown]
	v_pk_add_f32 v[6:7], v[12:13], v[6:7] neg_lo:[0,1] neg_hi:[0,1]
	v_mov_b32_e32 v9, v5
	v_ldexp_f32 v1, v1, 1
	v_pk_add_f32 v[6:7], v[8:9], v[6:7] neg_lo:[0,1] neg_hi:[0,1]
	v_add_f32_e32 v1, v1, v6
	v_add_f32_e32 v5, v1, v7
	v_pk_add_f32 v[6:7], v[2:3], v[4:5] neg_lo:[0,1] neg_hi:[0,1]
	v_pk_add_f32 v[8:9], v[2:3], v[4:5]
	v_mov_b32_e32 v12, v6
	v_mov_b32_e32 v13, v9
	;; [unrolled: 1-line block ×3, first 2 shown]
	v_pk_add_f32 v[12:13], v[10:11], v[12:13]
	v_mov_b32_e32 v4, v13
	v_pk_add_f32 v[14:15], v[4:5], v[2:3] neg_lo:[0,1] neg_hi:[0,1]
	v_mov_b32_e32 v1, v14
	v_mov_b32_e32 v12, v9
	;; [unrolled: 1-line block ×4, first 2 shown]
	v_pk_add_f32 v[6:7], v[10:11], v[6:7] neg_lo:[0,1] neg_hi:[0,1]
	v_pk_add_f32 v[16:17], v[8:9], v[0:1] neg_lo:[0,1] neg_hi:[0,1]
	;; [unrolled: 1-line block ×3, first 2 shown]
	v_mov_b32_e32 v10, v5
	v_pk_add_f32 v[2:3], v[10:11], v[2:3] neg_lo:[0,1] neg_hi:[0,1]
	v_mov_b32_e32 v16, v6
	v_pk_add_f32 v[8:9], v[16:17], v[2:3]
	v_mov_b32_e32 v10, v9
	v_pk_add_f32 v[10:11], v[8:9], v[10:11]
	v_pk_add_f32 v[4:5], v[4:5], v[10:11]
	v_mov_b32_e32 v7, v13
	v_mov_b32_e32 v9, v4
	v_pk_add_f32 v[12:13], v[8:9], v[6:7] neg_lo:[0,1] neg_hi:[0,1]
	v_mov_b32_e32 v3, v10
	v_sub_f32_e32 v1, v8, v12
	v_pk_add_f32 v[2:3], v[2:3], v[12:13] neg_lo:[0,1] neg_hi:[0,1]
	v_sub_f32_e32 v1, v6, v1
	v_add_f32_e32 v1, v2, v1
	v_add_f32_e32 v1, v1, v3
	;; [unrolled: 1-line block ×3, first 2 shown]
	v_sub_f32_e32 v3, v2, v4
	v_sub_f32_e32 v1, v1, v3
	v_mul_f32_e32 v3, v19, v2
	v_fma_f32 v2, v19, v2, -v3
	v_fmac_f32_e32 v2, v19, v1
	v_add_f32_e32 v1, v3, v2
	v_cmp_class_f32_e64 s[0:1], v3, s2
	v_sub_f32_e32 v4, v1, v3
	v_cndmask_b32_e64 v1, v1, v3, s[0:1]
	s_mov_b32 s10, 0x42b17218
	v_mov_b32_e32 v3, 0x37000000
	v_cmp_eq_f32_e64 s[0:1], s10, v1
	v_cndmask_b32_e64 v3, 0, v3, s[0:1]
	v_sub_f32_e32 v2, v2, v4
	v_sub_f32_e32 v4, v1, v3
	s_mov_b32 s0, 0x3fb8aa3b
	v_mul_f32_e32 v5, 0x3fb8aa3b, v4
	v_fma_f32 v6, v4, s0, -v5
	v_rndne_f32_e32 v7, v5
	v_fmac_f32_e32 v6, 0x32a5705f, v4
	v_sub_f32_e32 v5, v5, v7
	v_add_f32_e32 v5, v5, v6
	v_exp_f32_e32 v5, v5
	v_cvt_i32_f32_e32 v6, v7
	s_mov_b32 s3, 0x7f800000
	v_cmp_neq_f32_e64 s[0:1], |v1|, s3
	v_cndmask_b32_e64 v1, 0, v2, s[0:1]
	s_mov_b32 s0, 0xc2ce8ed0
	v_ldexp_f32 v2, v5, v6
	v_cmp_ngt_f32_e64 s[0:1], s0, v4
	v_add_f32_e32 v1, v3, v1
	v_cndmask_b32_e64 v2, 0, v2, s[0:1]
	v_mov_b32_e32 v3, 0x7f800000
	v_cmp_nlt_f32_e64 s[0:1], s10, v4
	v_cndmask_b32_e64 v2, v3, v2, s[0:1]
	v_fma_f32 v1, v2, v1, v2
	v_cmp_class_f32_e64 s[0:1], v2, s2
	v_trunc_f32_e32 v4, v19
	v_cndmask_b32_e64 v1, v1, v2, s[0:1]
	v_cndmask_b32_e64 v2, v18, 1.0, vcc
	v_cmp_eq_f32_e32 vcc, v4, v19
	v_mul_f32_e32 v4, 0.5, v19
	v_trunc_f32_e32 v6, v4
	v_cmp_neq_f32_e64 s[0:1], v6, v4
	s_and_b64 s[0:1], vcc, s[0:1]
	v_cndmask_b32_e64 v4, 1.0, v2, s[0:1]
	s_brev_b32 s18, -2
	v_mov_b32_e32 v5, 0x7fc00000
	v_bfi_b32 v1, s18, v1, v4
	v_cndmask_b32_e32 v4, v5, v1, vcc
	v_cmp_gt_f32_e32 vcc, 0, v2
	v_cndmask_b32_e32 v1, v1, v4, vcc
	v_cmp_eq_f32_e32 vcc, s3, v20
	v_cmp_eq_f32_e64 s[2:3], 0, v2
	v_cmp_gt_f32_e64 s[10:11], 0, v19
	s_xor_b64 s[10:11], s[10:11], s[2:3]
	v_cndmask_b32_e64 v3, v3, 0, s[10:11]
	v_cndmask_b32_e64 v4, 0, v2, s[0:1]
	v_bfi_b32 v3, s18, v3, v4
	s_or_b64 vcc, vcc, s[2:3]
	v_cndmask_b32_e32 v1, v1, v3, vcc
	v_cmp_o_f32_e32 vcc, v2, v2
	v_cndmask_b32_e32 v38, v5, v1, vcc
.LBB72_4:
	s_load_dwordx4 s[48:51], s[6:7], 0x70
	v_bfe_u32 v17, v0, 10, 10
	v_lshl_add_u32 v149, s8, 3, v17
	s_ashr_i32 s35, s34, 31
	s_ashr_i32 s2, s47, 31
	s_waitcnt lgkmcnt(0)
	s_mul_i32 s0, s33, s50
	s_ashr_i32 s1, s0, 31
	v_mul_hi_u32 v1, s28, v149
	s_add_u32 s0, s12, s0
	s_mul_i32 s3, s34, s49
	v_add_u32_e32 v1, v149, v1
	s_addc_u32 s1, s13, s1
	s_ashr_i32 s10, s3, 31
	v_lshrrev_b32_e32 v1, s29, v1
	s_add_u32 s3, s0, s3
	v_mul_lo_u32 v1, v1, s30
	s_addc_u32 s10, s1, s10
	v_sub_u32_e32 v40, v149, v1
	s_ashr_i32 s11, s48, 31
	v_mov_b32_e32 v1, s48
	v_alignbit_b32 v1, s11, v1, 2
	v_mad_u64_u32 v[2:3], s[0:1], v1, v40, 0
	v_mov_b32_e32 v4, v3
	s_lshr_b32 s0, s11, 2
	v_mad_u64_u32 v[4:5], s[0:1], s0, v40, v[4:5]
	v_mov_b32_e32 v3, v4
	v_lshlrev_b64 v[2:3], 2, v[2:3]
	v_and_b32_e32 v148, 0x3ff, v0
	v_mov_b32_e32 v1, s10
	v_add_co_u32_e32 v2, vcc, s3, v2
	v_addc_co_u32_e32 v1, vcc, v1, v3, vcc
	v_lshlrev_b32_e32 v3, 4, v148
	v_add_co_u32_e32 v10, vcc, v2, v3
	v_addc_co_u32_e32 v11, vcc, 0, v1, vcc
	global_load_dwordx4 v[2:5], v[10:11], off
	global_load_dwordx4 v[6:9], v[10:11], off offset:512
	v_lshlrev_b32_e32 v156, 7, v17
	v_lshlrev_b32_e32 v36, 1, v148
	v_add_lshl_u32 v1, v36, v156, 2
	s_mov_b32 s1, 0
	v_lshlrev_b32_e32 v151, 2, v148
	v_add_u32_e32 v1, 0x4000, v1
	s_cmp_eq_u64 s[22:23], 0
	s_waitcnt vmcnt(1)
	v_pk_mul_f32 v[2:3], v[2:3], s[36:37] op_sel_hi:[1,0]
	v_pk_mul_f32 v[4:5], v[4:5], s[36:37] op_sel_hi:[1,0]
	s_waitcnt vmcnt(0)
	v_pk_mul_f32 v[6:7], v[6:7], s[36:37] op_sel_hi:[1,0]
	v_pk_mul_f32 v[8:9], v[8:9], s[36:37] op_sel_hi:[1,0]
	v_cvt_f16_f32_e32 v10, v3
	v_cvt_f16_f32_e32 v2, v2
	;; [unrolled: 1-line block ×8, first 2 shown]
	v_pack_b32_f16 v3, v4, v3
	v_pack_b32_f16 v2, v2, v10
	;; [unrolled: 1-line block ×4, first 2 shown]
	ds_write2_b64 v1, v[2:3], v[4:5] offset0:128 offset1:160
	s_waitcnt lgkmcnt(0)
	s_barrier
	s_cbranch_scc1 .LBB72_6
; %bb.5:
	s_load_dword s0, s[6:7], 0xd0
	s_waitcnt lgkmcnt(0)
	s_mul_i32 s0, s0, s33
	s_add_i32 s0, s0, s8
	s_lshl_b64 s[0:1], s[0:1], 2
	s_add_u32 s0, s22, s0
	s_addc_u32 s1, s23, s1
	s_load_dword s42, s[0:1], 0x0
.LBB72_6:
	s_nop 0
	s_load_dwordx2 s[0:1], s[6:7], 0x8c
	s_load_dwordx4 s[36:39], s[6:7], 0x98
	s_load_dwordx2 s[10:11], s[6:7], 0xa8
	s_ashr_i32 s22, s45, 1
	s_mul_i32 s13, s44, s43
	s_waitcnt lgkmcnt(0)
	s_ashr_i32 s23, s0, 2
	s_ashr_i32 s0, s33, 31
	s_mul_i32 s3, s33, s37
	s_mul_hi_u32 s12, s33, s36
	s_add_i32 s3, s12, s3
	s_mul_i32 s12, s0, s36
	s_ashr_i32 s8, s38, 2
	s_add_i32 s3, s3, s12
	s_mul_i32 s12, s33, s36
	s_add_u32 s12, s14, s12
	s_addc_u32 s3, s15, s3
	s_sub_i32 s13, s46, s13
	s_xor_b32 s2, s35, s2
	s_add_i32 s14, s44, 1
	s_sub_i32 s15, s13, s43
	s_cmp_ge_u32 s13, s43
	s_cselect_b32 s14, s14, s44
	s_cselect_b32 s13, s15, s13
	s_add_i32 s15, s14, 1
	s_cmp_ge_u32 s13, s43
	s_cselect_b32 s13, s15, s14
	s_xor_b32 s13, s13, s2
	s_sub_i32 s2, s13, s2
	s_mul_i32 s1, s2, s1
	s_ashr_i32 s13, s1, 31
	s_add_u32 s28, s12, s1
	s_addc_u32 s29, s3, s13
	s_mul_i32 s1, s33, s11
	s_mul_hi_u32 s3, s33, s10
	s_add_i32 s1, s3, s1
	s_mul_i32 s0, s0, s10
	s_add_i32 s1, s1, s0
	s_mul_i32 s0, s33, s10
	s_add_u32 s0, s16, s0
	s_mul_i32 s2, s2, s39
	s_addc_u32 s1, s17, s1
	s_ashr_i32 s3, s2, 31
	s_add_u32 s14, s0, s2
	s_addc_u32 s15, s1, s3
	s_lshl_b32 s16, s9, 6
	s_sub_i32 s17, s42, 64
	v_mul_lo_u32 v14, s8, v17
	s_cmp_ge_i32 s16, s17
	v_mov_b32_e32 v159, 0
	v_lshrrev_b32_e32 v1, 4, v148
	v_and_b32_e32 v16, 60, v151
	v_lshlrev_b32_e32 v37, 9, v17
	v_ashrrev_i32_e32 v15, 31, v14
	v_lshlrev_b32_e32 v157, 3, v148
	v_mbcnt_lo_u32_b32 v39, -1, 0
	s_cbranch_scc1 .LBB72_23
; %bb.7:
	v_lshl_add_u32 v2, v17, 1, v1
	v_lshlrev_b32_e32 v3, 2, v16
	s_movk_i32 s0, 0x110
	v_mad_u32_u24 v41, v2, s0, v3
	v_mul_lo_u32 v2, s23, v2
	s_lshl_b32 s0, s23, 4
	v_add_u32_e32 v4, s0, v2
	v_add_u32_e32 v6, s0, v4
	;; [unrolled: 1-line block ×3, first 2 shown]
	s_cmp_lg_u64 s[40:41], 0
	v_mad_u64_u32 v[18:19], s[0:1], v40, s22, v[148:149]
	s_cselect_b64 s[2:3], -1, 0
	s_lshl_b32 s0, s8, 3
	v_add_u32_e32 v12, s0, v14
	v_add_u32_e32 v32, s0, v12
	s_add_u32 s10, s6, 0xd0
	v_add_u32_e32 v34, s0, v32
	s_addc_u32 s11, s7, 0
	v_ashrrev_i32_e32 v3, 31, v2
	v_ashrrev_i32_e32 v5, 31, v4
	;; [unrolled: 1-line block ×4, first 2 shown]
	v_add_u32_e32 v19, 0x5400, v156
	v_lshl_add_u32 v48, v151, 2, v37
	v_ashrrev_i32_e32 v13, 31, v12
	v_ashrrev_i32_e32 v33, 31, v32
	;; [unrolled: 1-line block ×3, first 2 shown]
	s_add_u32 s36, s40, 64
	v_mov_b32_e32 v158, 0
	v_add_u32_e32 v42, 0x1100, v41
	v_add_u32_e32 v43, 0x2200, v41
	v_add_u32_e32 v44, 0x3300, v41
	v_add_u32_e32 v45, 0x4400, v37
	v_mul_u32_u24_e32 v46, 0x110, v148
	v_lshl_add_u32 v47, v148, 1, v19
	v_add_u32_e32 v49, 0x1000, v48
	v_add_u32_e32 v50, 0x2000, v48
	v_add_u32_e32 v51, 0x3000, v48
	s_mov_b32 s18, s19
	s_addc_u32 s37, s41, 0
	v_mov_b32_e32 v11, 0xfeffffff
	v_lshlrev_b64 v[20:21], 2, v[2:3]
	v_lshlrev_b32_e32 v52, 2, v16
	v_lshlrev_b64 v[22:23], 2, v[4:5]
	v_lshlrev_b64 v[24:25], 2, v[6:7]
	v_lshlrev_b64 v[26:27], 2, v[8:9]
	s_mov_b32 s38, 0x3f200000
	s_mov_b32 s39, 0x3fb8aa3b
	;; [unrolled: 1-line block ×4, first 2 shown]
	v_mov_b32_e32 v53, 0xbd5c1c4e
	v_mov_b32_e32 v54, 0x3e088382
	;; [unrolled: 1-line block ×3, first 2 shown]
	s_brev_b32 s45, -2
	v_mbcnt_hi_u32_b32 v56, -1, v39
	v_lshlrev_b64 v[28:29], 2, v[14:15]
	v_lshlrev_b64 v[30:31], 2, v[12:13]
	;; [unrolled: 1-line block ×4, first 2 shown]
	v_mov_b32_e32 v57, 0x7f800000
	v_mov_b32_e32 v161, 0
	;; [unrolled: 1-line block ×5, first 2 shown]
.LBB72_8:                               ; =>This Inner Loop Header: Depth=1
	s_mul_hi_i32 s1, s16, s23
	s_mul_i32 s0, s16, s23
	s_lshl_b64 s[0:1], s[0:1], 2
	s_add_u32 s0, s28, s0
	s_addc_u32 s1, s29, s1
	v_mov_b32_e32 v2, s1
	v_add_co_u32_e32 v3, vcc, s0, v20
	v_addc_co_u32_e32 v4, vcc, v2, v21, vcc
	v_add_co_u32_e32 v2, vcc, v3, v52
	v_addc_co_u32_e32 v3, vcc, 0, v4, vcc
	v_mov_b32_e32 v4, s1
	v_add_co_u32_e32 v5, vcc, s0, v22
	v_addc_co_u32_e32 v6, vcc, v4, v23, vcc
	v_add_co_u32_e32 v4, vcc, v5, v52
	v_addc_co_u32_e32 v5, vcc, 0, v6, vcc
	;; [unrolled: 5-line block ×3, first 2 shown]
	v_mov_b32_e32 v8, s1
	v_add_co_u32_e32 v9, vcc, s0, v26
	v_addc_co_u32_e32 v12, vcc, v8, v27, vcc
	v_add_co_u32_e32 v8, vcc, v9, v52
	global_load_dwordx4 v[58:61], v[2:3], off
	global_load_dwordx4 v[62:65], v[4:5], off
	v_addc_co_u32_e32 v9, vcc, 0, v12, vcc
	global_load_dwordx4 v[66:69], v[6:7], off
	global_load_dwordx4 v[70:73], v[8:9], off
	v_mov_b32_e32 v12, 0
	v_mov_b32_e32 v13, 0
	s_waitcnt vmcnt(3)
	ds_write_b128 v41, v[58:61]
	s_waitcnt vmcnt(2)
	ds_write_b128 v42, v[62:65]
	;; [unrolled: 2-line block ×4, first 2 shown]
	s_waitcnt lgkmcnt(0)
	s_barrier
	ds_read_b128 v[58:61], v46
	ds_read_b128 v[62:65], v45
	ds_read_b128 v[66:69], v46 offset:8704
	s_waitcnt lgkmcnt(1)
	;;#ASMSTART
	v_dot2_f32_f16 v12, v58, v62, v12
	;;#ASMEND
	;;#ASMSTART
	v_dot2_f32_f16 v12, v59, v63, v12
	;;#ASMEND
	;;#ASMSTART
	v_dot2_f32_f16 v12, v60, v64, v12
	;;#ASMEND
	;;#ASMSTART
	v_dot2_f32_f16 v12, v61, v65, v12
	;;#ASMEND
	s_waitcnt lgkmcnt(0)
	;;#ASMSTART
	v_dot2_f32_f16 v13, v66, v62, v13
	;;#ASMEND
	;;#ASMSTART
	v_dot2_f32_f16 v13, v67, v63, v13
	;;#ASMEND
	;;#ASMSTART
	v_dot2_f32_f16 v13, v68, v64, v13
	;;#ASMEND
	;;#ASMSTART
	v_dot2_f32_f16 v13, v69, v65, v13
	;;#ASMEND
	ds_read_b128 v[58:61], v46 offset:16
	ds_read_b128 v[62:65], v45 offset:16
	ds_read_b128 v[66:69], v46 offset:8720
	s_waitcnt lgkmcnt(1)
	;;#ASMSTART
	v_dot2_f32_f16 v12, v58, v62, v12
	;;#ASMEND
	;;#ASMSTART
	v_dot2_f32_f16 v12, v59, v63, v12
	;;#ASMEND
	;;#ASMSTART
	v_dot2_f32_f16 v12, v60, v64, v12
	;;#ASMEND
	;;#ASMSTART
	v_dot2_f32_f16 v12, v61, v65, v12
	;;#ASMEND
	s_waitcnt lgkmcnt(0)
	;;#ASMSTART
	v_dot2_f32_f16 v13, v66, v62, v13
	;;#ASMEND
	;;#ASMSTART
	v_dot2_f32_f16 v13, v67, v63, v13
	;;#ASMEND
	;;#ASMSTART
	v_dot2_f32_f16 v13, v68, v64, v13
	;;#ASMEND
	;;#ASMSTART
	v_dot2_f32_f16 v13, v69, v65, v13
	;;#ASMEND
	ds_read_b128 v[58:61], v46 offset:32
	ds_read_b128 v[62:65], v45 offset:32
	;; [unrolled: 29-line block ×15, first 2 shown]
	ds_read_b128 v[66:69], v46 offset:8944
	s_waitcnt lgkmcnt(1)
	;;#ASMSTART
	v_dot2_f32_f16 v12, v58, v62, v12
	;;#ASMEND
	;;#ASMSTART
	v_dot2_f32_f16 v12, v59, v63, v12
	;;#ASMEND
	;; [unrolled: 3-line block ×4, first 2 shown]
	s_waitcnt lgkmcnt(0)
	;;#ASMSTART
	v_dot2_f32_f16 v13, v66, v62, v13
	;;#ASMEND
	;;#ASMSTART
	v_dot2_f32_f16 v13, v67, v63, v13
	;;#ASMEND
	;; [unrolled: 3-line block ×4, first 2 shown]
	s_barrier
	global_load_dwordx4 v[58:61], v[2:3], off offset:256
	global_load_dwordx4 v[62:65], v[4:5], off offset:256
	;; [unrolled: 1-line block ×4, first 2 shown]
	s_waitcnt vmcnt(3)
	ds_write_b128 v41, v[58:61]
	s_waitcnt vmcnt(2)
	ds_write_b128 v42, v[62:65]
	;; [unrolled: 2-line block ×4, first 2 shown]
	s_waitcnt lgkmcnt(0)
	s_barrier
	ds_read_b128 v[2:5], v46
	ds_read_b128 v[6:9], v45 offset:256
	ds_read_b128 v[58:61], v46 offset:8704
	s_waitcnt lgkmcnt(1)
	;;#ASMSTART
	v_dot2_f32_f16 v12, v2, v6, v12
	;;#ASMEND
	;;#ASMSTART
	v_dot2_f32_f16 v12, v3, v7, v12
	;;#ASMEND
	;;#ASMSTART
	v_dot2_f32_f16 v12, v4, v8, v12
	;;#ASMEND
	;;#ASMSTART
	v_dot2_f32_f16 v12, v5, v9, v12
	;;#ASMEND
	s_waitcnt lgkmcnt(0)
	;;#ASMSTART
	v_dot2_f32_f16 v13, v58, v6, v13
	;;#ASMEND
	;;#ASMSTART
	v_dot2_f32_f16 v13, v59, v7, v13
	;;#ASMEND
	;;#ASMSTART
	v_dot2_f32_f16 v13, v60, v8, v13
	;;#ASMEND
	;;#ASMSTART
	v_dot2_f32_f16 v13, v61, v9, v13
	;;#ASMEND
	ds_read_b128 v[2:5], v46 offset:16
	ds_read_b128 v[6:9], v45 offset:272
	ds_read_b128 v[58:61], v46 offset:8720
	s_waitcnt lgkmcnt(1)
	;;#ASMSTART
	v_dot2_f32_f16 v12, v2, v6, v12
	;;#ASMEND
	;;#ASMSTART
	v_dot2_f32_f16 v12, v3, v7, v12
	;;#ASMEND
	;;#ASMSTART
	v_dot2_f32_f16 v12, v4, v8, v12
	;;#ASMEND
	;;#ASMSTART
	v_dot2_f32_f16 v12, v5, v9, v12
	;;#ASMEND
	s_waitcnt lgkmcnt(0)
	;;#ASMSTART
	v_dot2_f32_f16 v13, v58, v6, v13
	;;#ASMEND
	;;#ASMSTART
	v_dot2_f32_f16 v13, v59, v7, v13
	;;#ASMEND
	;;#ASMSTART
	v_dot2_f32_f16 v13, v60, v8, v13
	;;#ASMEND
	;;#ASMSTART
	v_dot2_f32_f16 v13, v61, v9, v13
	;;#ASMEND
	ds_read_b128 v[2:5], v46 offset:32
	;; [unrolled: 29-line block ×15, first 2 shown]
	ds_read_b128 v[6:9], v45 offset:496
	ds_read_b128 v[58:61], v46 offset:8944
	s_waitcnt lgkmcnt(1)
	;;#ASMSTART
	v_dot2_f32_f16 v12, v2, v6, v12
	;;#ASMEND
	;;#ASMSTART
	v_dot2_f32_f16 v12, v3, v7, v12
	;;#ASMEND
	;; [unrolled: 3-line block ×4, first 2 shown]
	s_waitcnt lgkmcnt(0)
	;;#ASMSTART
	v_dot2_f32_f16 v13, v58, v6, v13
	;;#ASMEND
	;;#ASMSTART
	v_dot2_f32_f16 v13, v59, v7, v13
	;;#ASMEND
	;; [unrolled: 3-line block ×3, first 2 shown]
	v_cmp_nlt_f32_e64 s[0:1], |v12|, s38
	;;#ASMSTART
	v_dot2_f32_f16 v13, v61, v9, v13
	;;#ASMEND
                                        ; implicit-def: $vgpr6
	s_and_saveexec_b64 s[12:13], s[0:1]
	s_xor_b64 s[0:1], exec, s[12:13]
	s_cbranch_execz .LBB72_10
; %bb.9:                                ;   in Loop: Header=BB72_8 Depth=1
	v_add_f32_e64 v2, |v12|, |v12|
	v_mul_f32_e32 v3, 0x3fb8aa3b, v2
	v_rndne_f32_e32 v4, v3
	v_sub_f32_e32 v5, v3, v4
	v_fma_f32 v3, v2, s39, -v3
	v_fmac_f32_e32 v3, 0x32a5705f, v2
	v_add_f32_e32 v3, v5, v3
	v_cvt_i32_f32_e32 v4, v4
	v_exp_f32_e32 v3, v3
	v_cmp_ngt_f32_e32 vcc, s43, v2
	v_ldexp_f32 v3, v3, v4
	v_cndmask_b32_e32 v3, 0, v3, vcc
	v_cmp_nlt_f32_e32 vcc, s44, v2
	v_cndmask_b32_e32 v2, v57, v3, vcc
	v_add_f32_e32 v2, 1.0, v2
	v_rcp_f32_e32 v2, v2
	v_fma_f32 v6, v2, -2.0, 1.0
.LBB72_10:                              ;   in Loop: Header=BB72_8 Depth=1
	s_andn2_saveexec_b64 s[0:1], s[0:1]
; %bb.11:                               ;   in Loop: Header=BB72_8 Depth=1
	v_mul_f32_e32 v2, v12, v12
	v_mov_b32_e32 v3, 0x3ca908c9
	v_fmac_f32_e32 v3, 0xbbbac73d, v2
	v_fma_f32 v3, v2, v3, v53
	v_fma_f32 v3, v2, v3, v54
	;; [unrolled: 1-line block ×3, first 2 shown]
	v_mul_f32_e64 v3, |v12|, v3
	v_fma_f32 v6, v2, v3, |v12|
; %bb.12:                               ;   in Loop: Header=BB72_8 Depth=1
	s_or_b64 exec, exec, s[0:1]
	v_add_u32_e32 v4, s16, v18
	v_cndmask_b32_e64 v2, 0, 1, s[2:3]
	v_cmp_ne_u32_e64 s[0:1], 1, v2
	s_andn2_b64 vcc, exec, s[2:3]
	v_ashrrev_i32_e32 v5, 31, v4
	s_cbranch_vccnz .LBB72_22
; %bb.13:                               ;   in Loop: Header=BB72_8 Depth=1
	v_lshlrev_b64 v[2:3], 1, v[4:5]
	v_mov_b32_e32 v7, s41
	v_add_co_u32_e32 v2, vcc, s40, v2
	v_addc_co_u32_e32 v3, vcc, v7, v3, vcc
	flat_load_ushort v2, v[2:3]
	s_waitcnt vmcnt(0) lgkmcnt(0)
	v_cvt_f32_f16_e32 v2, v2
	v_mul_f32_e32 v2, v38, v2
	v_cmp_nlt_f32_e64 s[12:13], |v13|, s38
                                        ; implicit-def: $vgpr7
	s_and_saveexec_b64 s[46:47], s[12:13]
	s_xor_b64 s[12:13], exec, s[46:47]
	s_cbranch_execz .LBB72_15
.LBB72_14:                              ;   in Loop: Header=BB72_8 Depth=1
	v_add_f32_e64 v3, |v13|, |v13|
	v_mul_f32_e32 v7, 0x3fb8aa3b, v3
	v_rndne_f32_e32 v8, v7
	v_sub_f32_e32 v9, v7, v8
	v_fma_f32 v7, v3, s39, -v7
	v_fmac_f32_e32 v7, 0x32a5705f, v3
	v_add_f32_e32 v7, v9, v7
	v_cvt_i32_f32_e32 v8, v8
	v_exp_f32_e32 v7, v7
	v_cmp_ngt_f32_e32 vcc, s43, v3
	v_ldexp_f32 v7, v7, v8
	v_cndmask_b32_e32 v7, 0, v7, vcc
	v_cmp_nlt_f32_e32 vcc, s44, v3
	v_cndmask_b32_e32 v3, v57, v7, vcc
	v_add_f32_e32 v3, 1.0, v3
	v_rcp_f32_e32 v3, v3
	v_fma_f32 v7, v3, -2.0, 1.0
.LBB72_15:                              ;   in Loop: Header=BB72_8 Depth=1
	s_andn2_saveexec_b64 s[12:13], s[12:13]
	s_cbranch_execz .LBB72_18
; %bb.16:                               ;   in Loop: Header=BB72_8 Depth=1
	v_mul_f32_e32 v3, v13, v13
	v_mov_b32_e32 v7, 0x3ca908c9
	v_fmac_f32_e32 v7, 0xbbbac73d, v3
	v_fma_f32 v7, v3, v7, v53
	v_fma_f32 v7, v3, v7, v54
	;; [unrolled: 1-line block ×3, first 2 shown]
	v_mul_f32_e64 v7, |v13|, v7
	v_fma_f32 v7, v3, v7, |v13|
	s_or_b64 exec, exec, s[12:13]
	s_and_b64 vcc, exec, s[0:1]
	s_cbranch_vccz .LBB72_19
.LBB72_17:                              ;   in Loop: Header=BB72_8 Depth=1
	v_mov_b32_e32 v3, 0
	s_branch .LBB72_20
.LBB72_18:                              ;   in Loop: Header=BB72_8 Depth=1
	s_or_b64 exec, exec, s[12:13]
	s_and_b64 vcc, exec, s[0:1]
	s_cbranch_vccnz .LBB72_17
.LBB72_19:                              ;   in Loop: Header=BB72_8 Depth=1
	v_lshlrev_b64 v[4:5], 1, v[4:5]
	v_mov_b32_e32 v3, s37
	v_add_co_u32_e32 v4, vcc, s36, v4
	v_addc_co_u32_e32 v5, vcc, v3, v5, vcc
	flat_load_ushort v3, v[4:5]
	s_waitcnt vmcnt(0) lgkmcnt(0)
	v_cvt_f32_f16_e32 v3, v3
	v_mul_f32_e32 v3, v38, v3
.LBB72_20:                              ;   in Loop: Header=BB72_8 Depth=1
	v_bfi_b32 v4, s45, v6, v12
	v_and_b32_e32 v6, 0x60, v56
	v_bfi_b32 v5, s45, v7, v13
	v_add_u32_e32 v70, 32, v6
	v_xor_b32_e32 v6, 16, v56
	v_cmp_lt_i32_e32 vcc, v6, v70
	v_pk_fma_f32 v[12:13], v[4:5], s[18:19], v[2:3]
	v_cndmask_b32_e32 v6, v56, v6, vcc
	v_add_f32_e32 v2, 0x40051340, v12
	v_add_f32_e32 v3, 0x40051340, v13
	v_lshlrev_b32_e32 v6, 2, v6
	v_max3_f32 v2, v11, v2, v3
	ds_bpermute_b32 v3, v6, v2
	s_mul_hi_i32 s1, s16, s8
	s_mul_i32 s0, s16, s8
	s_lshl_b64 s[0:1], s[0:1], 2
	v_xor_b32_e32 v7, 8, v56
	s_add_u32 s0, s14, s0
	v_cmp_lt_i32_e32 vcc, v7, v70
	s_waitcnt lgkmcnt(0)
	v_max_f32_e32 v3, v3, v3
	s_addc_u32 s1, s15, s1
	v_cndmask_b32_e32 v7, v56, v7, vcc
	v_max_f32_e32 v72, v2, v3
	v_mov_b32_e32 v2, s1
	v_add_co_u32_e32 v3, vcc, s0, v28
	v_addc_co_u32_e32 v2, vcc, v2, v29, vcc
	v_lshlrev_b32_e32 v146, 2, v151
	v_add_co_u32_e32 v58, vcc, v3, v146
	v_addc_co_u32_e32 v59, vcc, 0, v2, vcc
	v_mov_b32_e32 v2, s1
	v_add_co_u32_e32 v3, vcc, s0, v30
	v_addc_co_u32_e32 v2, vcc, v2, v31, vcc
	v_add_co_u32_e32 v60, vcc, v3, v146
	v_lshlrev_b32_e32 v7, 2, v7
	v_addc_co_u32_e32 v61, vcc, 0, v2, vcc
	s_barrier
	ds_bpermute_b32 v73, v7, v72
	global_load_dwordx4 v[2:5], v[58:59], off
	global_load_dwordx4 v[6:9], v[60:61], off
	v_mov_b32_e32 v58, s1
	v_add_co_u32_e32 v59, vcc, s0, v32
	v_addc_co_u32_e32 v58, vcc, v58, v33, vcc
	v_add_co_u32_e32 v66, vcc, v59, v146
	v_addc_co_u32_e32 v67, vcc, 0, v58, vcc
	v_mov_b32_e32 v58, s1
	v_add_co_u32_e32 v59, vcc, s0, v34
	v_addc_co_u32_e32 v58, vcc, v58, v35, vcc
	v_add_co_u32_e32 v68, vcc, v59, v146
	v_addc_co_u32_e32 v69, vcc, 0, v58, vcc
	global_load_dwordx4 v[58:61], v[66:67], off
	global_load_dwordx4 v[62:65], v[68:69], off
	v_xor_b32_e32 v71, 4, v56
	v_cmp_lt_i32_e32 vcc, v71, v70
	v_cndmask_b32_e32 v66, v56, v71, vcc
	s_waitcnt lgkmcnt(0)
	v_max_f32_e32 v67, v73, v73
	v_lshlrev_b32_e32 v66, 2, v66
	v_max_f32_e32 v67, v72, v67
	ds_bpermute_b32 v66, v66, v67
	v_xor_b32_e32 v68, 2, v56
	v_cmp_lt_i32_e32 vcc, v68, v70
	v_cndmask_b32_e32 v68, v56, v68, vcc
	v_lshlrev_b32_e32 v68, 2, v68
	s_waitcnt lgkmcnt(0)
	v_max_f32_e32 v66, v66, v66
	v_max_f32_e32 v66, v67, v66
	ds_bpermute_b32 v67, v68, v66
	v_xor_b32_e32 v68, 1, v56
	v_cmp_lt_i32_e32 vcc, v68, v70
	v_cndmask_b32_e32 v68, v56, v68, vcc
	v_lshlrev_b32_e32 v68, 2, v68
	s_waitcnt lgkmcnt(0)
	v_max_f32_e32 v67, v67, v67
	v_max_f32_e32 v66, v66, v67
	ds_bpermute_b32 v67, v68, v66
	v_add_u32_e32 v147, 0x800, v157
	v_add_u32_e32 v163, 0x1000, v157
	;; [unrolled: 1-line block ×3, first 2 shown]
	s_or_b32 s0, s16, 32
	s_waitcnt lgkmcnt(0)
	v_max_f32_e32 v67, v67, v67
	v_max_f32_e32 v150, v66, v67
	v_pk_add_f32 v[12:13], v[12:13], v[150:151] op_sel_hi:[1,0] neg_lo:[0,1] neg_hi:[0,1]
	v_mul_f32_e32 v66, 0x3fb8aa3b, v13
	v_fma_f32 v67, v13, s39, -v66
	v_rndne_f32_e32 v68, v66
	v_fmac_f32_e32 v67, 0x32a5705f, v13
	v_sub_f32_e32 v66, v66, v68
	v_add_f32_e32 v66, v66, v67
	v_exp_f32_e32 v66, v66
	v_cvt_i32_f32_e32 v67, v68
	v_cmp_ngt_f32_e32 vcc, s43, v13
	v_sub_f32_e32 v11, v11, v150
	s_mul_hi_i32 s1, s0, s8
	v_ldexp_f32 v66, v66, v67
	v_mul_f32_e32 v67, 0x3fb8aa3b, v12
	v_fma_f32 v68, v12, s39, -v67
	v_rndne_f32_e32 v69, v67
	v_fmac_f32_e32 v68, 0x32a5705f, v12
	v_sub_f32_e32 v67, v67, v69
	v_add_f32_e32 v67, v67, v68
	v_exp_f32_e32 v67, v67
	v_cvt_i32_f32_e32 v68, v69
	v_cndmask_b32_e32 v66, 0, v66, vcc
	v_cmp_nlt_f32_e32 vcc, s44, v13
	v_cndmask_b32_e32 v13, v57, v66, vcc
	v_ldexp_f32 v66, v67, v68
	v_mul_f32_e32 v67, 0x3fb8aa3b, v11
	v_fma_f32 v68, v11, s39, -v67
	v_rndne_f32_e32 v69, v67
	v_cmp_ngt_f32_e32 vcc, s43, v12
	v_fmac_f32_e32 v68, 0x32a5705f, v11
	v_sub_f32_e32 v67, v67, v69
	v_cndmask_b32_e32 v66, 0, v66, vcc
	v_add_f32_e32 v67, v67, v68
	v_cmp_nlt_f32_e32 vcc, s44, v12
	v_exp_f32_e32 v67, v67
	v_cvt_i32_f32_e32 v68, v69
	v_cndmask_b32_e32 v12, v57, v66, vcc
	v_cvt_f16_f32_e32 v66, v12
	v_add_f32_e32 v162, v12, v13
	v_cvt_f16_f32_e32 v12, v13
	v_ldexp_f32 v67, v67, v68
	v_cmp_ngt_f32_e32 vcc, s43, v11
	v_cndmask_b32_e32 v67, 0, v67, vcc
	v_cmp_nlt_f32_e32 vcc, s44, v11
	ds_write_b16 v47, v66
	ds_write_b16 v47, v12 offset:64
	s_waitcnt vmcnt(3)
	ds_write_b128 v48, v[2:5]
	s_waitcnt vmcnt(2)
	ds_write_b128 v49, v[6:9]
	;; [unrolled: 2-line block ×4, first 2 shown]
	s_waitcnt lgkmcnt(0)
	s_barrier
	ds_read2_b64 v[58:61], v157 offset1:32
	ds_read_b128 v[62:65], v19
	v_cndmask_b32_e32 v11, v57, v67, vcc
	v_cvt_f16_f32_e32 v70, v11
	v_fmac_f32_e32 v162, v10, v11
	ds_read_b128 v[10:13], v19 offset:16
	ds_read_b128 v[6:9], v19 offset:32
	;; [unrolled: 1-line block ×3, first 2 shown]
	s_waitcnt lgkmcnt(3)
	v_pk_mul_f16 v58, v58, v62 op_sel_hi:[1,0]
	v_pk_mul_f16 v71, v70, v161 op_sel_hi:[0,1]
	v_pk_mul_f16 v72, v70, v158 op_sel_hi:[0,1]
	v_pk_fma_f16 v73, v159, v70, v58 op_sel_hi:[1,0,1]
	v_pk_mul_f16 v58, v59, v62 op_sel_hi:[1,0]
	ds_read2_b64 v[66:69], v157 offset0:64 offset1:96
	v_pk_fma_f16 v70, v160, v70, v58 op_sel_hi:[1,0,1]
	v_pk_fma_f16 v71, v60, v62, v71 op_sel_hi:[1,0,1]
	;; [unrolled: 1-line block ×3, first 2 shown]
	ds_read2_b64 v[58:61], v157 offset0:128 offset1:160
	s_waitcnt lgkmcnt(1)
	v_pk_fma_f16 v66, v66, v62, v73 op_sel:[0,1,0]
	v_pk_fma_f16 v67, v67, v62, v70 op_sel:[0,1,0]
	;; [unrolled: 1-line block ×4, first 2 shown]
	s_waitcnt lgkmcnt(0)
	v_pk_fma_f16 v71, v58, v63, v66 op_sel_hi:[1,0,1]
	v_pk_fma_f16 v72, v59, v63, v67 op_sel_hi:[1,0,1]
	ds_read2_b64 v[66:69], v157 offset0:192 offset1:224
	v_pk_fma_f16 v70, v60, v63, v70 op_sel_hi:[1,0,1]
	v_pk_fma_f16 v62, v61, v63, v62 op_sel_hi:[1,0,1]
	ds_read2_b64 v[58:61], v147 offset1:32
	s_mul_i32 s0, s0, s8
	s_waitcnt lgkmcnt(1)
	v_pk_fma_f16 v66, v66, v63, v71 op_sel:[0,1,0]
	v_pk_fma_f16 v71, v67, v63, v72 op_sel:[0,1,0]
	;; [unrolled: 1-line block ×4, first 2 shown]
	s_waitcnt lgkmcnt(0)
	v_pk_fma_f16 v63, v58, v64, v66 op_sel_hi:[1,0,1]
	ds_read2_b64 v[66:69], v147 offset0:64 offset1:96
	v_pk_fma_f16 v71, v59, v64, v71 op_sel_hi:[1,0,1]
	v_pk_fma_f16 v70, v60, v64, v70 op_sel_hi:[1,0,1]
	;; [unrolled: 1-line block ×3, first 2 shown]
	ds_read2_b64 v[58:61], v147 offset0:128 offset1:160
	s_waitcnt lgkmcnt(1)
	v_pk_fma_f16 v63, v66, v64, v63 op_sel:[0,1,0]
	v_pk_fma_f16 v66, v67, v64, v71 op_sel:[0,1,0]
	;; [unrolled: 1-line block ×4, first 2 shown]
	s_waitcnt lgkmcnt(0)
	v_pk_fma_f16 v64, v59, v65, v66 op_sel_hi:[1,0,1]
	ds_read2_b64 v[66:69], v147 offset0:192 offset1:224
	v_pk_fma_f16 v63, v58, v65, v63 op_sel_hi:[1,0,1]
	v_pk_fma_f16 v70, v60, v65, v70 op_sel_hi:[1,0,1]
	;; [unrolled: 1-line block ×3, first 2 shown]
	ds_read2_b64 v[58:61], v163 offset1:32
	s_waitcnt lgkmcnt(1)
	v_pk_fma_f16 v63, v66, v65, v63 op_sel:[0,1,0]
	v_pk_fma_f16 v66, v67, v65, v64 op_sel:[0,1,0]
	;; [unrolled: 1-line block ×4, first 2 shown]
	s_waitcnt lgkmcnt(0)
	v_pk_fma_f16 v69, v58, v10, v63 op_sel_hi:[1,0,1]
	ds_read2_b64 v[62:65], v163 offset0:64 offset1:96
	v_pk_fma_f16 v66, v59, v10, v66 op_sel_hi:[1,0,1]
	v_pk_fma_f16 v67, v60, v10, v67 op_sel_hi:[1,0,1]
	;; [unrolled: 1-line block ×3, first 2 shown]
	ds_read2_b64 v[58:61], v163 offset0:128 offset1:160
	s_waitcnt lgkmcnt(1)
	v_pk_fma_f16 v62, v62, v10, v69 op_sel:[0,1,0]
	v_pk_fma_f16 v63, v63, v10, v66 op_sel:[0,1,0]
	;; [unrolled: 1-line block ×4, first 2 shown]
	s_waitcnt lgkmcnt(0)
	v_pk_fma_f16 v67, v58, v11, v62 op_sel_hi:[1,0,1]
	v_pk_fma_f16 v68, v59, v11, v63 op_sel_hi:[1,0,1]
	ds_read2_b64 v[62:65], v163 offset0:192 offset1:224
	v_pk_fma_f16 v66, v60, v11, v66 op_sel_hi:[1,0,1]
	v_pk_fma_f16 v10, v61, v11, v10 op_sel_hi:[1,0,1]
	ds_read2_b64 v[58:61], v164 offset1:32
	s_lshl_b64 s[0:1], s[0:1], 2
	s_add_u32 s0, s14, s0
	s_addc_u32 s1, s15, s1
	s_waitcnt lgkmcnt(1)
	v_pk_fma_f16 v62, v62, v11, v67 op_sel:[0,1,0]
	v_pk_fma_f16 v63, v63, v11, v68 op_sel:[0,1,0]
	;; [unrolled: 1-line block ×4, first 2 shown]
	v_mov_b32_e32 v10, s1
	v_add_co_u32_e32 v11, vcc, s0, v28
	s_waitcnt lgkmcnt(0)
	v_pk_fma_f16 v166, v58, v12, v62 op_sel_hi:[1,0,1]
	v_addc_co_u32_e32 v58, vcc, v10, v29, vcc
	v_add_co_u32_e32 v10, vcc, v11, v146
	v_addc_co_u32_e32 v11, vcc, 0, v58, vcc
	v_pk_fma_f16 v167, v59, v12, v63 op_sel_hi:[1,0,1]
	v_mov_b32_e32 v58, s1
	v_add_co_u32_e32 v59, vcc, s0, v30
	v_addc_co_u32_e32 v138, vcc, v58, v31, vcc
	v_add_co_u32_e32 v58, vcc, v59, v146
	v_add_u32_e32 v168, 0x2000, v157
	v_add_u32_e32 v169, 0x2800, v157
	;; [unrolled: 1-line block ×4, first 2 shown]
	v_addc_co_u32_e32 v59, vcc, 0, v138, vcc
	v_pk_fma_f16 v60, v60, v12, v64 op_sel_hi:[1,0,1]
	ds_read2_b64 v[62:65], v164 offset0:64 offset1:96
	ds_read2_b64 v[66:69], v164 offset0:128 offset1:160
	ds_read2_b64 v[70:73], v164 offset0:192 offset1:224
	ds_read2_b64 v[74:77], v168 offset1:32
	ds_read2_b64 v[78:81], v168 offset0:64 offset1:96
	ds_read2_b64 v[82:85], v168 offset0:128 offset1:160
	ds_read2_b64 v[86:89], v168 offset0:192 offset1:224
	ds_read2_b64 v[90:93], v169 offset1:32
	;; [unrolled: 4-line block ×4, first 2 shown]
	ds_read2_b64 v[126:129], v171 offset0:64 offset1:96
	ds_read2_b64 v[130:133], v171 offset0:128 offset1:160
	;; [unrolled: 1-line block ×3, first 2 shown]
	s_waitcnt lgkmcnt(0)
	s_barrier
	global_load_dwordx4 v[138:141], v[10:11], off
	global_load_dwordx4 v[142:145], v[58:59], off
	v_mov_b32_e32 v10, s1
	v_add_co_u32_e32 v11, vcc, s0, v32
	v_addc_co_u32_e32 v58, vcc, v10, v33, vcc
	v_add_co_u32_e32 v10, vcc, v11, v146
	v_addc_co_u32_e32 v11, vcc, 0, v58, vcc
	v_mov_b32_e32 v58, s1
	v_add_co_u32_e32 v59, vcc, s0, v34
	v_addc_co_u32_e32 v152, vcc, v58, v35, vcc
	v_add_co_u32_e32 v58, vcc, v59, v146
	v_addc_co_u32_e32 v59, vcc, 0, v152, vcc
	global_load_dwordx4 v[152:155], v[10:11], off
	global_load_dwordx4 v[158:161], v[58:59], off
	v_pk_fma_f16 v10, v61, v12, v165 op_sel_hi:[1,0,1]
	v_pk_fma_f16 v11, v62, v12, v166 op_sel:[0,1,0]
	v_pk_fma_f16 v58, v63, v12, v167 op_sel:[0,1,0]
	v_pk_fma_f16 v59, v64, v12, v60 op_sel:[0,1,0]
	v_pk_fma_f16 v10, v65, v12, v10 op_sel:[0,1,0]
	v_pk_fma_f16 v11, v66, v13, v11 op_sel_hi:[1,0,1]
	v_pk_fma_f16 v12, v67, v13, v58 op_sel_hi:[1,0,1]
	v_pk_fma_f16 v58, v68, v13, v59 op_sel_hi:[1,0,1]
	v_pk_fma_f16 v10, v69, v13, v10 op_sel_hi:[1,0,1]
	v_pk_fma_f16 v11, v70, v13, v11 op_sel:[0,1,0]
	v_pk_fma_f16 v12, v71, v13, v12 op_sel:[0,1,0]
	v_pk_fma_f16 v58, v72, v13, v58 op_sel:[0,1,0]
	v_pk_fma_f16 v10, v73, v13, v10 op_sel:[0,1,0]
	v_pk_fma_f16 v11, v74, v6, v11 op_sel_hi:[1,0,1]
	v_pk_fma_f16 v12, v75, v6, v12 op_sel_hi:[1,0,1]
	v_pk_fma_f16 v13, v76, v6, v58 op_sel_hi:[1,0,1]
	;; [unrolled: 8-line block ×8, first 2 shown]
	v_pk_fma_f16 v2, v125, v4, v2 op_sel_hi:[1,0,1]
	v_pk_fma_f16 v6, v127, v4, v6 op_sel:[0,1,0]
	v_pk_fma_f16 v7, v128, v4, v7 op_sel:[0,1,0]
	;; [unrolled: 1-line block ×4, first 2 shown]
	v_pk_fma_f16 v4, v131, v5, v6 op_sel_hi:[1,0,1]
	v_pk_fma_f16 v6, v132, v5, v7 op_sel_hi:[1,0,1]
	v_pk_fma_f16 v71, v136, v5, v6 op_sel:[0,1,0]
	s_waitcnt vmcnt(3)
	ds_write_b128 v48, v[138:141]
	s_waitcnt vmcnt(2)
	ds_write_b128 v49, v[142:145]
	;; [unrolled: 2-line block ×4, first 2 shown]
	s_waitcnt lgkmcnt(0)
	s_barrier
	ds_read2_b64 v[6:9], v157 offset1:32
	ds_read_b128 v[10:13], v19 offset:64
	v_pk_fma_f16 v3, v130, v5, v3 op_sel_hi:[1,0,1]
	v_pk_fma_f16 v2, v133, v5, v2 op_sel_hi:[1,0,1]
	v_pk_fma_f16 v66, v134, v5, v3 op_sel:[0,1,0]
	v_pk_fma_f16 v70, v135, v5, v4 op_sel:[0,1,0]
	;; [unrolled: 1-line block ×3, first 2 shown]
	ds_read_b128 v[58:61], v19 offset:80
	ds_read_b128 v[62:65], v19 offset:96
	;; [unrolled: 1-line block ×3, first 2 shown]
	s_waitcnt lgkmcnt(3)
	v_pk_fma_f16 v73, v6, v10, v66 op_sel_hi:[1,0,1]
	ds_read2_b64 v[66:69], v157 offset0:64 offset1:96
	v_pk_fma_f16 v70, v7, v10, v70 op_sel_hi:[1,0,1]
	v_pk_fma_f16 v71, v8, v10, v71 op_sel_hi:[1,0,1]
	;; [unrolled: 1-line block ×3, first 2 shown]
	ds_read2_b64 v[6:9], v157 offset0:128 offset1:160
	s_waitcnt lgkmcnt(1)
	v_pk_fma_f16 v66, v66, v10, v73 op_sel:[0,1,0]
	v_pk_fma_f16 v70, v67, v10, v70 op_sel:[0,1,0]
	;; [unrolled: 1-line block ×4, first 2 shown]
	s_waitcnt lgkmcnt(0)
	v_pk_fma_f16 v72, v6, v11, v66 op_sel_hi:[1,0,1]
	ds_read2_b64 v[66:69], v157 offset0:192 offset1:224
	v_pk_fma_f16 v70, v7, v11, v70 op_sel_hi:[1,0,1]
	v_pk_fma_f16 v71, v8, v11, v71 op_sel_hi:[1,0,1]
	;; [unrolled: 1-line block ×3, first 2 shown]
	ds_read2_b64 v[6:9], v147 offset1:32
	s_waitcnt lgkmcnt(1)
	v_pk_fma_f16 v66, v66, v11, v72 op_sel:[0,1,0]
	v_pk_fma_f16 v70, v67, v11, v70 op_sel:[0,1,0]
	;; [unrolled: 1-line block ×4, first 2 shown]
	s_waitcnt lgkmcnt(0)
	v_pk_fma_f16 v11, v6, v12, v66 op_sel_hi:[1,0,1]
	ds_read2_b64 v[66:69], v147 offset0:64 offset1:96
	v_pk_fma_f16 v70, v7, v12, v70 op_sel_hi:[1,0,1]
	v_pk_fma_f16 v71, v8, v12, v71 op_sel_hi:[1,0,1]
	;; [unrolled: 1-line block ×3, first 2 shown]
	ds_read2_b64 v[6:9], v147 offset0:128 offset1:160
	s_waitcnt lgkmcnt(1)
	v_pk_fma_f16 v11, v66, v12, v11 op_sel:[0,1,0]
	v_pk_fma_f16 v70, v67, v12, v70 op_sel:[0,1,0]
	;; [unrolled: 1-line block ×4, first 2 shown]
	ds_read2_b64 v[66:69], v147 offset0:192 offset1:224
	s_waitcnt lgkmcnt(1)
	v_pk_fma_f16 v11, v6, v13, v11 op_sel_hi:[1,0,1]
	v_pk_fma_f16 v12, v7, v13, v70 op_sel_hi:[1,0,1]
	;; [unrolled: 1-line block ×4, first 2 shown]
	ds_read2_b64 v[6:9], v163 offset1:32
	s_waitcnt lgkmcnt(1)
	v_pk_fma_f16 v11, v66, v13, v11 op_sel:[0,1,0]
	v_pk_fma_f16 v66, v67, v13, v12 op_sel:[0,1,0]
	v_pk_fma_f16 v67, v68, v13, v70 op_sel:[0,1,0]
	v_pk_fma_f16 v68, v69, v13, v10 op_sel:[0,1,0]
	s_waitcnt lgkmcnt(0)
	v_pk_fma_f16 v69, v6, v58, v11 op_sel_hi:[1,0,1]
	ds_read2_b64 v[10:13], v163 offset0:64 offset1:96
	v_pk_fma_f16 v66, v7, v58, v66 op_sel_hi:[1,0,1]
	v_pk_fma_f16 v67, v8, v58, v67 op_sel_hi:[1,0,1]
	v_pk_fma_f16 v68, v9, v58, v68 op_sel_hi:[1,0,1]
	ds_read2_b64 v[6:9], v163 offset0:128 offset1:160
	s_waitcnt lgkmcnt(1)
	v_pk_fma_f16 v10, v10, v58, v69 op_sel:[0,1,0]
	v_pk_fma_f16 v66, v11, v58, v66 op_sel:[0,1,0]
	v_pk_fma_f16 v67, v12, v58, v67 op_sel:[0,1,0]
	v_pk_fma_f16 v58, v13, v58, v68 op_sel:[0,1,0]
	s_waitcnt lgkmcnt(0)
	v_pk_fma_f16 v68, v6, v59, v10 op_sel_hi:[1,0,1]
	ds_read2_b64 v[10:13], v163 offset0:192 offset1:224
	v_pk_fma_f16 v66, v7, v59, v66 op_sel_hi:[1,0,1]
	v_pk_fma_f16 v67, v8, v59, v67 op_sel_hi:[1,0,1]
	v_pk_fma_f16 v58, v9, v59, v58 op_sel_hi:[1,0,1]
	ds_read2_b64 v[6:9], v164 offset1:32
	s_waitcnt lgkmcnt(1)
	v_pk_fma_f16 v10, v10, v59, v68 op_sel:[0,1,0]
	v_pk_fma_f16 v66, v11, v59, v66 op_sel:[0,1,0]
	v_pk_fma_f16 v67, v12, v59, v67 op_sel:[0,1,0]
	v_pk_fma_f16 v58, v13, v59, v58 op_sel:[0,1,0]
	s_waitcnt lgkmcnt(0)
	v_pk_fma_f16 v59, v6, v60, v10 op_sel_hi:[1,0,1]
	ds_read2_b64 v[10:13], v164 offset0:64 offset1:96
	v_pk_fma_f16 v66, v7, v60, v66 op_sel_hi:[1,0,1]
	v_pk_fma_f16 v67, v8, v60, v67 op_sel_hi:[1,0,1]
	v_pk_fma_f16 v58, v9, v60, v58 op_sel_hi:[1,0,1]
	ds_read2_b64 v[6:9], v164 offset0:128 offset1:160
	s_waitcnt lgkmcnt(1)
	v_pk_fma_f16 v10, v10, v60, v59 op_sel:[0,1,0]
	v_pk_fma_f16 v59, v11, v60, v66 op_sel:[0,1,0]
	v_pk_fma_f16 v66, v12, v60, v67 op_sel:[0,1,0]
	v_pk_fma_f16 v58, v13, v60, v58 op_sel:[0,1,0]
	s_waitcnt lgkmcnt(0)
	v_pk_fma_f16 v60, v6, v61, v10 op_sel_hi:[1,0,1]
	ds_read2_b64 v[10:13], v164 offset0:192 offset1:224
	v_pk_fma_f16 v59, v7, v61, v59 op_sel_hi:[1,0,1]
	v_pk_fma_f16 v66, v8, v61, v66 op_sel_hi:[1,0,1]
	v_pk_fma_f16 v58, v9, v61, v58 op_sel_hi:[1,0,1]
	;; [unrolled: 24-line block ×5, first 2 shown]
	ds_read2_b64 v[6:9], v171 offset1:32
	s_waitcnt lgkmcnt(1)
	v_pk_fma_f16 v10, v10, v3, v58 op_sel:[0,1,0]
	v_pk_fma_f16 v58, v11, v3, v59 op_sel:[0,1,0]
	v_pk_fma_f16 v59, v12, v3, v60 op_sel:[0,1,0]
	v_pk_fma_f16 v2, v13, v3, v2 op_sel:[0,1,0]
	s_waitcnt lgkmcnt(0)
	v_pk_fma_f16 v3, v6, v4, v10 op_sel_hi:[1,0,1]
	ds_read2_b64 v[10:13], v171 offset0:64 offset1:96
	v_pk_fma_f16 v58, v7, v4, v58 op_sel_hi:[1,0,1]
	v_pk_fma_f16 v59, v8, v4, v59 op_sel_hi:[1,0,1]
	;; [unrolled: 1-line block ×3, first 2 shown]
	ds_read2_b64 v[6:9], v171 offset0:128 offset1:160
	s_waitcnt lgkmcnt(1)
	v_pk_fma_f16 v3, v10, v4, v3 op_sel:[0,1,0]
	v_pk_fma_f16 v10, v11, v4, v58 op_sel:[0,1,0]
	;; [unrolled: 1-line block ×4, first 2 shown]
	s_waitcnt lgkmcnt(0)
	v_pk_fma_f16 v3, v6, v5, v3 op_sel_hi:[1,0,1]
	v_pk_fma_f16 v4, v7, v5, v10 op_sel_hi:[1,0,1]
	;; [unrolled: 1-line block ×3, first 2 shown]
	ds_read2_b64 v[10:13], v171 offset0:192 offset1:224
	s_waitcnt lgkmcnt(0)
	s_barrier
	s_load_dword s0, s[10:11], 0x4
	v_pk_fma_f16 v2, v9, v5, v2 op_sel_hi:[1,0,1]
	v_pk_fma_f16 v159, v10, v5, v3 op_sel:[0,1,0]
	v_pk_fma_f16 v160, v11, v5, v4 op_sel:[0,1,0]
	;; [unrolled: 1-line block ×3, first 2 shown]
	s_waitcnt lgkmcnt(0)
	s_lshl_b32 s0, s0, 6
	s_add_i32 s16, s0, s16
	s_cmp_lt_i32 s16, s17
	v_pk_fma_f16 v158, v13, v5, v2 op_sel:[0,1,0]
	s_cbranch_scc0 .LBB72_24
; %bb.21:                               ;   in Loop: Header=BB72_8 Depth=1
	v_mov_b32_e32 v11, v150
	v_mov_b32_e32 v10, v162
	s_branch .LBB72_8
.LBB72_22:                              ;   in Loop: Header=BB72_8 Depth=1
	v_mov_b32_e32 v2, 0
	v_cmp_nlt_f32_e64 s[12:13], |v13|, s38
                                        ; implicit-def: $vgpr7
	s_and_saveexec_b64 s[46:47], s[12:13]
	s_xor_b64 s[12:13], exec, s[46:47]
	s_cbranch_execz .LBB72_15
	s_branch .LBB72_14
.LBB72_23:
	v_mov_b32_e32 v150, 0xfeffffff
	v_mov_b32_e32 v162, 0
	;; [unrolled: 1-line block ×5, first 2 shown]
.LBB72_24:
	s_cmp_gt_i32 s42, s16
	s_cbranch_scc1 .LBB72_26
; %bb.25:
	v_mbcnt_hi_u32_b32 v163, -1, v39
	v_and_b32_e32 v2, 0x60, v163
	v_add_u32_e32 v164, 32, v2
	v_xor_b32_e32 v165, 16, v163
	v_xor_b32_e32 v166, 8, v163
	;; [unrolled: 1-line block ×5, first 2 shown]
	v_pk_mov_b32 v[152:153], v[150:151], v[150:151] op_sel:[0,1]
	s_cbranch_execz .LBB72_27
	s_branch .LBB72_46
.LBB72_26:
                                        ; implicit-def: $vgpr163
                                        ; implicit-def: $vgpr164
                                        ; implicit-def: $vgpr165
                                        ; implicit-def: $vgpr166
                                        ; implicit-def: $vgpr167
                                        ; implicit-def: $vgpr168
                                        ; implicit-def: $vgpr169
                                        ; implicit-def: $vgpr152_vgpr153
.LBB72_27:
	s_load_dwordx2 s[0:1], s[4:5], 0x4
	v_bfe_u32 v0, v0, 20, 10
	s_mul_hi_i32 s3, s16, s23
	s_mul_i32 s2, s16, s23
	s_sub_i32 s12, s42, s16
	s_waitcnt lgkmcnt(0)
	s_lshr_b32 s0, s0, 16
	s_mul_i32 s0, s0, s1
	v_mul_u32_u24_e32 v2, s1, v17
	v_mul_lo_u32 v3, s0, v148
	v_add3_u32 v0, v3, v2, v0
	v_lshl_add_u32 v2, v17, 1, v1
	v_lshlrev_b32_e32 v153, 4, v0
	s_lshl_b64 s[0:1], s[2:3], 2
	v_mul_lo_u32 v0, s23, v2
	s_add_u32 s4, s28, s0
	v_ashrrev_i32_e32 v1, 31, v0
	s_addc_u32 s5, s29, s1
	v_lshlrev_b64 v[6:7], 2, v[0:1]
	v_mov_b32_e32 v1, s5
	v_add_co_u32_e32 v6, vcc, s4, v6
	v_lshlrev_b32_e32 v16, 2, v16
	v_addc_co_u32_e32 v1, vcc, v1, v7, vcc
	v_add_co_u32_e32 v8, vcc, v6, v16
	s_mov_b64 s[0:1], src_shared_base
	v_addc_co_u32_e32 v9, vcc, 0, v1, vcc
	v_add_u32_e32 v3, 0x5800, v153
	v_mov_b32_e32 v5, 0
	v_mov_b32_e32 v7, s1
	v_cmp_gt_i32_e32 vcc, s12, v2
	v_add_u32_e32 v4, 0x5804, v153
	ds_write_b32 v153, v5 offset:22528
	ds_write2_b32 v4, v5, v5 offset1:1
	ds_write_b32 v153, v5 offset:22540
	v_cndmask_b32_e32 v11, v7, v9, vcc
	v_cndmask_b32_e32 v10, v3, v8, vcc
	flat_load_dwordx4 v[18:21], v[10:11]
	s_lshl_b32 s10, s23, 4
	v_add_u32_e32 v0, s10, v0
	v_ashrrev_i32_e32 v1, 31, v0
	s_movk_i32 s0, 0x110
	v_lshlrev_b64 v[10:11], 2, v[0:1]
	v_mad_u32_u24 v6, v2, s0, v16
	v_mov_b32_e32 v13, s5
	v_add_co_u32_e64 v1, s[0:1], s4, v10
	v_addc_co_u32_e64 v11, s[0:1], v13, v11, s[0:1]
	v_add_co_u32_e64 v10, s[0:1], v1, v16
	v_add_u32_e32 v12, 16, v2
	v_addc_co_u32_e64 v11, s[0:1], 0, v11, s[0:1]
	v_cmp_gt_i32_e64 s[0:1], s12, v12
	ds_write_b32 v153, v5 offset:22528
	ds_write2_b32 v4, v5, v5 offset1:1
	ds_write_b32 v153, v5 offset:22540
	v_cndmask_b32_e64 v13, v7, v11, s[0:1]
	v_cndmask_b32_e64 v12, v3, v10, s[0:1]
	v_add_u32_e32 v0, s10, v0
	v_ashrrev_i32_e32 v1, 31, v0
	v_mov_b32_e32 v23, s5
	v_add_u32_e32 v22, 32, v2
	v_add_u32_e32 v2, 48, v2
	s_movk_i32 s13, 0x100
	s_waitcnt vmcnt(0) lgkmcnt(0)
	ds_write_b128 v6, v[18:21]
	flat_load_dwordx4 v[18:21], v[12:13]
	v_lshlrev_b64 v[12:13], 2, v[0:1]
	v_add_co_u32_e64 v1, s[2:3], s4, v12
	v_addc_co_u32_e64 v13, s[2:3], v23, v13, s[2:3]
	v_add_co_u32_e64 v12, s[2:3], v1, v16
	v_addc_co_u32_e64 v13, s[2:3], 0, v13, s[2:3]
	v_cmp_gt_i32_e64 s[2:3], s12, v22
	v_cndmask_b32_e64 v23, v7, v13, s[2:3]
	v_cndmask_b32_e64 v22, v3, v12, s[2:3]
	v_add_u32_e32 v0, s10, v0
	v_ashrrev_i32_e32 v1, 31, v0
	v_lshlrev_b64 v[0:1], 2, v[0:1]
	v_add_co_u32_e64 v8, s[10:11], s13, v8
	v_addc_co_u32_e64 v9, s[10:11], 0, v9, s[10:11]
	v_cndmask_b32_e32 v8, v3, v8, vcc
	v_cndmask_b32_e32 v9, v7, v9, vcc
	ds_write_b32 v153, v5 offset:22528
	ds_write2_b32 v4, v5, v5 offset1:1
	ds_write_b32 v153, v5 offset:22540
	s_waitcnt vmcnt(0) lgkmcnt(0)
	ds_write_b128 v6, v[18:21] offset:4352
	flat_load_dwordx4 v[20:23], v[22:23]
	v_mov_b32_e32 v18, s5
	v_add_co_u32_e64 v0, s[4:5], s4, v0
	v_addc_co_u32_e64 v1, s[4:5], v18, v1, s[4:5]
	v_add_co_u32_e64 v16, s[4:5], v0, v16
	v_addc_co_u32_e64 v18, s[4:5], 0, v1, s[4:5]
	v_cmp_gt_i32_e64 s[4:5], s12, v2
	v_cndmask_b32_e64 v1, v7, v18, s[4:5]
	v_cndmask_b32_e64 v0, v3, v16, s[4:5]
	v_mul_u32_u24_e32 v2, 0x110, v148
	ds_write_b32 v153, v5 offset:22528
	ds_write2_b32 v4, v5, v5 offset1:1
	ds_write_b32 v153, v5 offset:22540
	s_waitcnt vmcnt(0) lgkmcnt(0)
	ds_write_b128 v6, v[20:23] offset:8704
	flat_load_dwordx4 v[20:23], v[0:1]
	v_mov_b32_e32 v0, 0
	v_mov_b32_e32 v1, 0
	s_waitcnt vmcnt(0) lgkmcnt(0)
	ds_write_b128 v6, v[20:23] offset:13056
	s_waitcnt lgkmcnt(0)
	s_barrier
	ds_read_b128 v[20:23], v37 offset:17408
	ds_read_b128 v[24:27], v2
	ds_read_b128 v[28:31], v2 offset:8704
	s_waitcnt lgkmcnt(1)
	;;#ASMSTART
	v_dot2_f32_f16 v0, v24, v20, v0
	;;#ASMEND
	;;#ASMSTART
	v_dot2_f32_f16 v0, v25, v21, v0
	;;#ASMEND
	;;#ASMSTART
	v_dot2_f32_f16 v0, v26, v22, v0
	;;#ASMEND
	;;#ASMSTART
	v_dot2_f32_f16 v0, v27, v23, v0
	;;#ASMEND
	s_waitcnt lgkmcnt(0)
	;;#ASMSTART
	v_dot2_f32_f16 v1, v28, v20, v1
	;;#ASMEND
	;;#ASMSTART
	v_dot2_f32_f16 v1, v29, v21, v1
	;;#ASMEND
	;;#ASMSTART
	v_dot2_f32_f16 v1, v30, v22, v1
	;;#ASMEND
	;;#ASMSTART
	v_dot2_f32_f16 v1, v31, v23, v1
	;;#ASMEND
	ds_read_b128 v[20:23], v37 offset:17424
	ds_read_b128 v[24:27], v2 offset:16
	ds_read_b128 v[28:31], v2 offset:8720
	s_waitcnt lgkmcnt(1)
	;;#ASMSTART
	v_dot2_f32_f16 v0, v24, v20, v0
	;;#ASMEND
	;;#ASMSTART
	v_dot2_f32_f16 v0, v25, v21, v0
	;;#ASMEND
	;;#ASMSTART
	v_dot2_f32_f16 v0, v26, v22, v0
	;;#ASMEND
	;;#ASMSTART
	v_dot2_f32_f16 v0, v27, v23, v0
	;;#ASMEND
	s_waitcnt lgkmcnt(0)
	;;#ASMSTART
	v_dot2_f32_f16 v1, v28, v20, v1
	;;#ASMEND
	;;#ASMSTART
	v_dot2_f32_f16 v1, v29, v21, v1
	;;#ASMEND
	;;#ASMSTART
	v_dot2_f32_f16 v1, v30, v22, v1
	;;#ASMEND
	;;#ASMSTART
	v_dot2_f32_f16 v1, v31, v23, v1
	;;#ASMEND
	ds_read_b128 v[20:23], v37 offset:17440
	ds_read_b128 v[24:27], v2 offset:32
	;; [unrolled: 29-line block ×15, first 2 shown]
	ds_read_b128 v[28:31], v2 offset:8944
	s_waitcnt lgkmcnt(1)
	;;#ASMSTART
	v_dot2_f32_f16 v0, v20, v24, v0
	;;#ASMEND
	;;#ASMSTART
	v_dot2_f32_f16 v0, v21, v25, v0
	;;#ASMEND
	;;#ASMSTART
	v_dot2_f32_f16 v0, v22, v26, v0
	;;#ASMEND
	;;#ASMSTART
	v_dot2_f32_f16 v0, v23, v27, v0
	;;#ASMEND
	s_waitcnt lgkmcnt(0)
	;;#ASMSTART
	v_dot2_f32_f16 v1, v28, v24, v1
	;;#ASMEND
	;;#ASMSTART
	v_dot2_f32_f16 v1, v29, v25, v1
	;;#ASMEND
	;; [unrolled: 3-line block ×4, first 2 shown]
	s_barrier
	ds_write_b32 v153, v5 offset:22528
	ds_write2_b32 v4, v5, v5 offset1:1
	ds_write_b32 v153, v5 offset:22540
	flat_load_dwordx4 v[20:23], v[8:9]
	v_add_co_u32_e32 v8, vcc, s13, v10
	v_addc_co_u32_e32 v9, vcc, 0, v11, vcc
	v_cndmask_b32_e64 v9, v7, v9, s[0:1]
	v_cndmask_b32_e64 v8, v3, v8, s[0:1]
	v_add_co_u32_e32 v12, vcc, s13, v12
	v_addc_co_u32_e32 v13, vcc, 0, v13, vcc
	v_cndmask_b32_e64 v13, v7, v13, s[2:3]
	v_cndmask_b32_e64 v12, v3, v12, s[2:3]
	s_mov_b32 s0, 0x3f200000
	ds_write_b32 v153, v5 offset:22528
	ds_write2_b32 v4, v5, v5 offset1:1
	ds_write_b32 v153, v5 offset:22540
	s_waitcnt vmcnt(0) lgkmcnt(0)
	ds_write_b128 v6, v[20:23]
	flat_load_dwordx4 v[8:11], v[8:9]
	ds_write_b32 v153, v5 offset:22528
	ds_write2_b32 v4, v5, v5 offset1:1
	ds_write_b32 v153, v5 offset:22540
	s_waitcnt vmcnt(0) lgkmcnt(0)
	ds_write_b128 v6, v[8:11] offset:4352
	flat_load_dwordx4 v[8:11], v[12:13]
	v_add_co_u32_e32 v12, vcc, s13, v16
	v_addc_co_u32_e32 v13, vcc, 0, v18, vcc
	v_cndmask_b32_e64 v13, v7, v13, s[4:5]
	v_cndmask_b32_e64 v12, v3, v12, s[4:5]
	ds_write_b32 v153, v5 offset:22528
	ds_write2_b32 v4, v5, v5 offset1:1
	ds_write_b32 v153, v5 offset:22540
	s_waitcnt vmcnt(0) lgkmcnt(0)
	ds_write_b128 v6, v[8:11] offset:8704
	flat_load_dwordx4 v[8:11], v[12:13]
	s_waitcnt vmcnt(0) lgkmcnt(0)
	ds_write_b128 v6, v[8:11] offset:13056
	s_waitcnt lgkmcnt(0)
	s_barrier
	ds_read_b128 v[4:7], v37 offset:17664
	ds_read_b128 v[8:11], v2
	ds_read_b128 v[18:21], v2 offset:8704
	s_waitcnt lgkmcnt(1)
	;;#ASMSTART
	v_dot2_f32_f16 v0, v8, v4, v0
	;;#ASMEND
	;;#ASMSTART
	v_dot2_f32_f16 v0, v9, v5, v0
	;;#ASMEND
	;;#ASMSTART
	v_dot2_f32_f16 v0, v10, v6, v0
	;;#ASMEND
	;;#ASMSTART
	v_dot2_f32_f16 v0, v11, v7, v0
	;;#ASMEND
	s_waitcnt lgkmcnt(0)
	;;#ASMSTART
	v_dot2_f32_f16 v1, v18, v4, v1
	;;#ASMEND
	;;#ASMSTART
	v_dot2_f32_f16 v1, v19, v5, v1
	;;#ASMEND
	;;#ASMSTART
	v_dot2_f32_f16 v1, v20, v6, v1
	;;#ASMEND
	;;#ASMSTART
	v_dot2_f32_f16 v1, v21, v7, v1
	;;#ASMEND
	ds_read_b128 v[4:7], v37 offset:17680
	ds_read_b128 v[8:11], v2 offset:16
	ds_read_b128 v[18:21], v2 offset:8720
	s_waitcnt lgkmcnt(1)
	;;#ASMSTART
	v_dot2_f32_f16 v0, v8, v4, v0
	;;#ASMEND
	;;#ASMSTART
	v_dot2_f32_f16 v0, v9, v5, v0
	;;#ASMEND
	;;#ASMSTART
	v_dot2_f32_f16 v0, v10, v6, v0
	;;#ASMEND
	;;#ASMSTART
	v_dot2_f32_f16 v0, v11, v7, v0
	;;#ASMEND
	s_waitcnt lgkmcnt(0)
	;;#ASMSTART
	v_dot2_f32_f16 v1, v18, v4, v1
	;;#ASMEND
	;;#ASMSTART
	v_dot2_f32_f16 v1, v19, v5, v1
	;;#ASMEND
	;;#ASMSTART
	v_dot2_f32_f16 v1, v20, v6, v1
	;;#ASMEND
	;;#ASMSTART
	v_dot2_f32_f16 v1, v21, v7, v1
	;;#ASMEND
	ds_read_b128 v[4:7], v37 offset:17696
	ds_read_b128 v[8:11], v2 offset:32
	;; [unrolled: 29-line block ×15, first 2 shown]
	ds_read_b128 v[18:21], v2 offset:8944
	s_waitcnt lgkmcnt(1)
	;;#ASMSTART
	v_dot2_f32_f16 v0, v8, v4, v0
	;;#ASMEND
	;;#ASMSTART
	v_dot2_f32_f16 v0, v9, v5, v0
	;;#ASMEND
	;; [unrolled: 3-line block ×4, first 2 shown]
	s_waitcnt lgkmcnt(0)
	;;#ASMSTART
	v_dot2_f32_f16 v1, v18, v4, v1
	;;#ASMEND
	;;#ASMSTART
	v_dot2_f32_f16 v1, v19, v5, v1
	;;#ASMEND
	;; [unrolled: 3-line block ×3, first 2 shown]
	v_cmp_nlt_f32_e64 s[0:1], |v0|, s0
	;;#ASMSTART
	v_dot2_f32_f16 v1, v21, v7, v1
	;;#ASMEND
                                        ; implicit-def: $vgpr2
	s_and_saveexec_b64 s[2:3], s[0:1]
	s_xor_b64 s[0:1], exec, s[2:3]
	s_cbranch_execz .LBB72_29
; %bb.28:
	v_add_f32_e64 v2, |v0|, |v0|
	v_mul_f32_e32 v3, 0x3fb8aa3b, v2
	s_mov_b32 s2, 0x3fb8aa3b
	v_rndne_f32_e32 v4, v3
	v_sub_f32_e32 v5, v3, v4
	v_fma_f32 v3, v2, s2, -v3
	v_fmac_f32_e32 v3, 0x32a5705f, v2
	v_add_f32_e32 v3, v5, v3
	v_exp_f32_e32 v3, v3
	v_cvt_i32_f32_e32 v4, v4
	s_mov_b32 s2, 0xc2ce8ed0
	v_cmp_ngt_f32_e32 vcc, s2, v2
	s_mov_b32 s2, 0x42b17218
	v_ldexp_f32 v3, v3, v4
	v_cndmask_b32_e32 v3, 0, v3, vcc
	v_mov_b32_e32 v4, 0x7f800000
	v_cmp_nlt_f32_e32 vcc, s2, v2
	v_cndmask_b32_e32 v2, v4, v3, vcc
	v_add_f32_e32 v2, 1.0, v2
	v_rcp_f32_e32 v2, v2
	v_fma_f32 v2, v2, -2.0, 1.0
.LBB72_29:
	s_andn2_saveexec_b64 s[0:1], s[0:1]
; %bb.30:
	v_mul_f32_e32 v2, v0, v0
	v_mov_b32_e32 v3, 0x3ca908c9
	v_fmac_f32_e32 v3, 0xbbbac73d, v2
	v_mov_b32_e32 v4, 0xbd5c1c4e
	v_fmac_f32_e32 v4, v2, v3
	;; [unrolled: 2-line block ×4, first 2 shown]
	v_mul_f32_e64 v3, |v0|, v4
	v_fma_f32 v2, v2, v3, |v0|
; %bb.31:
	s_or_b64 exec, exec, s[0:1]
	s_cmp_lg_u64 s[40:41], 0
	s_brev_b32 s0, -2
	v_bfi_b32 v0, s0, v2, v0
	s_cselect_b64 s[0:1], -1, 0
	v_mul_lo_u32 v3, v40, s22
	v_cndmask_b32_e64 v2, 0, 1, s[0:1]
	v_add_u32_e32 v4, s16, v3
	v_mul_f32_e32 v0, s19, v0
	v_cmp_gt_i32_e32 vcc, s12, v148
	v_cmp_ne_u32_e64 s[0:1], 1, v2
	v_mov_b32_e32 v3, v150
	s_and_saveexec_b64 s[2:3], vcc
	s_cbranch_execz .LBB72_36
; %bb.32:
	s_and_b64 vcc, exec, s[0:1]
	s_cbranch_vccnz .LBB72_34
; %bb.33:
	v_add_u32_e32 v2, v4, v148
	v_ashrrev_i32_e32 v3, 31, v2
	v_lshlrev_b64 v[2:3], 1, v[2:3]
	v_mov_b32_e32 v5, s41
	v_add_co_u32_e32 v2, vcc, s40, v2
	v_addc_co_u32_e32 v3, vcc, v5, v3, vcc
	flat_load_ushort v2, v[2:3]
	s_waitcnt vmcnt(0) lgkmcnt(0)
	v_cvt_f32_f16_e32 v2, v2
	v_mul_f32_e32 v2, v38, v2
	s_branch .LBB72_35
.LBB72_34:
	v_mov_b32_e32 v2, 0
.LBB72_35:
	v_add_f32_e32 v0, v0, v2
	v_add_f32_e32 v2, 0x40051340, v0
	v_max_f32_e32 v3, v150, v150
	v_max_f32_e32 v3, v3, v2
.LBB72_36:
	s_or_b64 exec, exec, s[2:3]
	s_mov_b32 s2, 0x3f200000
	v_cmp_nlt_f32_e64 s[2:3], |v1|, s2
                                        ; implicit-def: $vgpr5
	s_and_saveexec_b64 s[4:5], s[2:3]
	s_xor_b64 s[2:3], exec, s[4:5]
	s_cbranch_execz .LBB72_38
; %bb.37:
	v_add_f32_e64 v2, |v1|, |v1|
	v_mul_f32_e32 v5, 0x3fb8aa3b, v2
	s_mov_b32 s4, 0x3fb8aa3b
	v_rndne_f32_e32 v6, v5
	v_sub_f32_e32 v7, v5, v6
	v_fma_f32 v5, v2, s4, -v5
	v_fmac_f32_e32 v5, 0x32a5705f, v2
	v_add_f32_e32 v5, v7, v5
	v_exp_f32_e32 v5, v5
	v_cvt_i32_f32_e32 v6, v6
	s_mov_b32 s4, 0xc2ce8ed0
	v_cmp_ngt_f32_e32 vcc, s4, v2
	s_mov_b32 s4, 0x42b17218
	v_ldexp_f32 v5, v5, v6
	v_cndmask_b32_e32 v5, 0, v5, vcc
	v_mov_b32_e32 v6, 0x7f800000
	v_cmp_nlt_f32_e32 vcc, s4, v2
	v_cndmask_b32_e32 v2, v6, v5, vcc
	v_add_f32_e32 v2, 1.0, v2
	v_rcp_f32_e32 v2, v2
	v_fma_f32 v5, v2, -2.0, 1.0
.LBB72_38:
	s_andn2_saveexec_b64 s[2:3], s[2:3]
; %bb.39:
	v_mul_f32_e32 v2, v1, v1
	v_mov_b32_e32 v5, 0x3ca908c9
	v_fmac_f32_e32 v5, 0xbbbac73d, v2
	v_mov_b32_e32 v6, 0xbd5c1c4e
	v_fmac_f32_e32 v6, v2, v5
	;; [unrolled: 2-line block ×4, first 2 shown]
	v_mul_f32_e64 v5, |v1|, v6
	v_fma_f32 v5, v2, v5, |v1|
; %bb.40:
	s_or_b64 exec, exec, s[2:3]
	s_brev_b32 s2, -2
	v_add_u32_e32 v2, 32, v148
	v_bfi_b32 v1, s2, v5, v1
	v_mul_f32_e32 v1, s19, v1
	v_cmp_gt_i32_e32 vcc, s12, v2
	s_and_saveexec_b64 s[2:3], vcc
	s_cbranch_execz .LBB72_45
; %bb.41:
	s_and_b64 vcc, exec, s[0:1]
	s_cbranch_vccnz .LBB72_43
; %bb.42:
	v_ashrrev_i32_e32 v5, 31, v4
	v_add_co_u32_e32 v4, vcc, v4, v148
	v_addc_co_u32_e32 v5, vcc, 0, v5, vcc
	v_lshlrev_b64 v[4:5], 1, v[4:5]
	v_mov_b32_e32 v6, s41
	v_add_co_u32_e32 v4, vcc, s40, v4
	v_addc_co_u32_e32 v5, vcc, v6, v5, vcc
	flat_load_ushort v4, v[4:5] offset:64
	s_waitcnt vmcnt(0) lgkmcnt(0)
	v_cvt_f32_f16_e32 v4, v4
	v_mul_f32_e32 v4, v38, v4
	s_branch .LBB72_44
.LBB72_43:
	v_mov_b32_e32 v4, 0
.LBB72_44:
	v_add_f32_e32 v1, v1, v4
	v_add_f32_e32 v4, 0x40051340, v1
	v_max_f32_e32 v3, v3, v3
	v_max_f32_e32 v3, v3, v4
.LBB72_45:
	s_or_b64 exec, exec, s[2:3]
	v_mbcnt_hi_u32_b32 v163, -1, v39
	v_and_b32_e32 v4, 0x60, v163
	v_add_u32_e32 v164, 32, v4
	v_xor_b32_e32 v165, 16, v163
	v_cmp_lt_i32_e32 vcc, v165, v164
	v_cndmask_b32_e32 v4, v163, v165, vcc
	v_lshlrev_b32_e32 v4, 2, v4
	ds_bpermute_b32 v4, v4, v3
	v_xor_b32_e32 v166, 8, v163
	v_max_f32_e32 v3, v3, v3
	v_cmp_lt_i32_e32 vcc, v166, v164
	v_xor_b32_e32 v167, 4, v163
	s_waitcnt lgkmcnt(0)
	v_max_f32_e32 v4, v4, v4
	v_max_f32_e32 v3, v3, v4
	v_cndmask_b32_e32 v4, v163, v166, vcc
	v_lshlrev_b32_e32 v4, 2, v4
	ds_bpermute_b32 v4, v4, v3
	v_cmp_lt_i32_e32 vcc, v167, v164
	v_xor_b32_e32 v168, 2, v163
	v_xor_b32_e32 v169, 1, v163
	s_mov_b32 s0, 0x3fb8aa3b
	s_waitcnt lgkmcnt(0)
	v_max_f32_e32 v4, v4, v4
	v_max_f32_e32 v3, v3, v4
	v_cndmask_b32_e32 v4, v163, v167, vcc
	v_lshlrev_b32_e32 v4, 2, v4
	ds_bpermute_b32 v4, v4, v3
	v_cmp_lt_i32_e32 vcc, v168, v164
	s_mov_b32 s1, 0xc2ce8ed0
	s_mov_b32 s2, 0x42b17218
	v_mov_b32_e32 v183, 0x7f800000
	s_waitcnt lgkmcnt(0)
	v_max_f32_e32 v4, v4, v4
	v_max_f32_e32 v3, v3, v4
	v_cndmask_b32_e32 v4, v163, v168, vcc
	v_lshlrev_b32_e32 v4, 2, v4
	ds_bpermute_b32 v4, v4, v3
	v_cmp_lt_i32_e32 vcc, v169, v164
	s_movk_i32 s3, 0x5400
	s_mul_hi_i32 s11, s16, s8
	s_mul_i32 s10, s16, s8
	s_waitcnt lgkmcnt(0)
	v_max_f32_e32 v4, v4, v4
	v_max_f32_e32 v3, v3, v4
	v_cndmask_b32_e32 v4, v163, v169, vcc
	v_lshlrev_b32_e32 v4, 2, v4
	ds_bpermute_b32 v4, v4, v3
	s_mov_b64 s[4:5], src_shared_base
	s_lshl_b64 s[10:11], s[10:11], 2
	s_waitcnt lgkmcnt(0)
	s_barrier
	v_max_f32_e32 v4, v4, v4
	v_max_f32_e32 v152, v3, v4
	v_pk_add_f32 v[0:1], v[0:1], v[152:153] op_sel_hi:[1,0] neg_lo:[0,1] neg_hi:[0,1]
	v_mul_f32_e32 v3, 0x3fb8aa3b, v0
	v_fma_f32 v4, v0, s0, -v3
	v_rndne_f32_e32 v5, v3
	v_fmac_f32_e32 v4, 0x32a5705f, v0
	v_sub_f32_e32 v3, v3, v5
	v_add_f32_e32 v3, v3, v4
	v_exp_f32_e32 v3, v3
	v_cvt_i32_f32_e32 v4, v5
	v_cmp_ngt_f32_e32 vcc, s1, v0
	v_lshlrev_b32_e32 v185, 2, v151
	v_ldexp_f32 v3, v3, v4
	v_mul_f32_e32 v4, 0x3fb8aa3b, v1
	v_fma_f32 v5, v1, s0, -v4
	v_rndne_f32_e32 v6, v4
	v_fmac_f32_e32 v5, 0x32a5705f, v1
	v_sub_f32_e32 v4, v4, v6
	v_add_f32_e32 v4, v4, v5
	v_exp_f32_e32 v4, v4
	v_cvt_i32_f32_e32 v5, v6
	v_cndmask_b32_e32 v3, 0, v3, vcc
	v_cmp_nlt_f32_e32 vcc, s2, v0
	v_cndmask_b32_e32 v0, v183, v3, vcc
	v_ldexp_f32 v3, v4, v5
	v_cmp_ngt_f32_e32 vcc, s1, v1
	v_cndmask_b32_e32 v3, 0, v3, vcc
	v_cmp_nlt_f32_e32 vcc, s2, v1
	v_cndmask_b32_e32 v1, v183, v3, vcc
	v_cmp_gt_u32_e32 vcc, s12, v2
	v_cndmask_b32_e32 v172, 0, v1, vcc
	v_cmp_gt_u32_e32 vcc, s12, v148
	v_cndmask_b32_e32 v173, 0, v0, vcc
	v_cvt_f16_f32_e32 v0, v173
	v_cvt_f16_f32_e32 v1, v172
	v_add3_u32 v2, v156, s3, v36
	s_lshl_b32 s3, s8, 3
	s_add_u32 s4, s14, s10
	s_addc_u32 s10, s15, s11
	v_lshlrev_b64 v[4:5], 2, v[14:15]
	ds_write_b16 v2, v0
	ds_write_b16 v2, v1 offset:64
	v_mov_b32_e32 v0, s10
	v_add_co_u32_e32 v1, vcc, s4, v4
	v_addc_co_u32_e32 v0, vcc, v0, v5, vcc
	v_add_co_u32_e32 v2, vcc, v1, v185
	v_addc_co_u32_e32 v0, vcc, 0, v0, vcc
	v_add_u32_e32 v182, 0x6800, v153
	v_mov_b32_e32 v170, 0
	v_mov_b32_e32 v190, s5
	v_cmp_gt_i32_e32 vcc, s12, v17
	v_add_u32_e32 v171, 0x6804, v153
	ds_write_b32 v153, v170 offset:26624
	ds_write2_b32 v171, v170, v170 offset1:1
	ds_write_b32 v153, v170 offset:26636
	v_cndmask_b32_e32 v1, v190, v0, vcc
	v_cndmask_b32_e32 v0, v182, v2, vcc
	flat_load_dwordx4 v[0:3], v[0:1]
	v_add_u32_e32 v6, s3, v14
	v_ashrrev_i32_e32 v7, 31, v6
	v_lshlrev_b64 v[146:147], 2, v[6:7]
	v_mov_b32_e32 v7, s10
	v_add_co_u32_e32 v8, vcc, s4, v146
	v_addc_co_u32_e32 v7, vcc, v7, v147, vcc
	v_add_co_u32_e32 v8, vcc, v8, v185
	v_add_u32_e32 v191, 8, v17
	v_addc_co_u32_e32 v7, vcc, 0, v7, vcc
	v_cmp_gt_i32_e32 vcc, s12, v191
	v_add_u32_e32 v192, v37, v185
	v_cndmask_b32_e32 v9, v190, v7, vcc
	v_cndmask_b32_e32 v8, v182, v8, vcc
	v_add_u32_e32 v6, s3, v6
	v_ashrrev_i32_e32 v7, 31, v6
	v_lshlrev_b64 v[144:145], 2, v[6:7]
	v_mov_b32_e32 v7, s10
	v_add_u32_e32 v193, 16, v17
	v_lshl_add_u32 v194, v191, 9, v185
	v_add_u32_e32 v6, s3, v6
	v_add_u32_e32 v195, 24, v17
	v_lshl_add_u32 v176, v193, 9, v185
	s_or_b32 s3, s16, 32
	s_mul_hi_i32 s5, s3, s8
	v_lshl_add_u32 v184, v195, 9, v185
	v_add_u32_e32 v174, 0x800, v157
	v_add_u32_e32 v175, 0x1000, v157
	;; [unrolled: 1-line block ×7, first 2 shown]
	v_sub_f32_e32 v150, v150, v152
	v_add_f32_e32 v172, v173, v172
	ds_write_b32 v153, v170 offset:26624
	ds_write2_b32 v171, v170, v170 offset1:1
	ds_write_b32 v153, v170 offset:26636
	s_waitcnt vmcnt(0) lgkmcnt(0)
	ds_write_b128 v192, v[0:3]
	flat_load_dwordx4 v[0:3], v[8:9]
	v_add_co_u32_e32 v8, vcc, s4, v144
	v_addc_co_u32_e32 v7, vcc, v7, v145, vcc
	v_add_co_u32_e32 v8, vcc, v8, v185
	v_addc_co_u32_e32 v7, vcc, 0, v7, vcc
	v_cmp_gt_i32_e32 vcc, s12, v193
	v_cndmask_b32_e32 v9, v190, v7, vcc
	v_cndmask_b32_e32 v8, v182, v8, vcc
	v_ashrrev_i32_e32 v7, 31, v6
	v_lshlrev_b64 v[154:155], 2, v[6:7]
	v_add_co_u32_e32 v6, vcc, s4, v154
	s_mul_i32 s4, s3, s8
	s_lshl_b64 s[4:5], s[4:5], 2
	s_add_u32 s3, s14, s4
	s_addc_u32 s4, s15, s5
	s_sub_i32 s5, s12, 32
	v_mov_b32_e32 v196, s4
	ds_write_b32 v153, v170 offset:26624
	ds_write2_b32 v171, v170, v170 offset1:1
	ds_write_b32 v153, v170 offset:26636
	s_waitcnt vmcnt(0) lgkmcnt(0)
	ds_write_b128 v194, v[0:3]
	flat_load_dwordx4 v[0:3], v[8:9]
	v_mov_b32_e32 v8, s10
	v_addc_co_u32_e32 v7, vcc, v8, v155, vcc
	v_add_co_u32_e32 v6, vcc, v6, v185
	v_addc_co_u32_e32 v7, vcc, 0, v7, vcc
	v_cmp_gt_i32_e32 vcc, s12, v195
	v_cndmask_b32_e32 v7, v190, v7, vcc
	v_cndmask_b32_e32 v6, v182, v6, vcc
	v_add_co_u32_e32 v4, vcc, s3, v4
	ds_write_b32 v153, v170 offset:26624
	ds_write2_b32 v171, v170, v170 offset1:1
	ds_write_b32 v153, v170 offset:26636
	s_waitcnt vmcnt(0) lgkmcnt(0)
	ds_write_b128 v176, v[0:3]
	flat_load_dwordx4 v[0:3], v[6:7]
	v_mov_b32_e32 v6, s4
	v_addc_co_u32_e32 v5, vcc, v6, v5, vcc
	v_add_co_u32_e32 v4, vcc, v4, v185
	v_addc_co_u32_e32 v5, vcc, 0, v5, vcc
	v_cmp_gt_i32_e32 vcc, s5, v17
	v_cndmask_b32_e32 v187, v190, v5, vcc
	v_cndmask_b32_e32 v186, v182, v4, vcc
	v_add_co_u32_e32 v146, vcc, s3, v146
	v_addc_co_u32_e32 v147, vcc, v196, v147, vcc
	v_add_co_u32_e32 v146, vcc, v146, v185
	v_addc_co_u32_e32 v147, vcc, 0, v147, vcc
	v_cmp_gt_i32_e32 vcc, s5, v191
	v_cndmask_b32_e32 v147, v190, v147, vcc
	v_cndmask_b32_e32 v146, v182, v146, vcc
	v_add_co_u32_e32 v144, vcc, s3, v144
	s_waitcnt vmcnt(0) lgkmcnt(0)
	ds_write_b128 v184, v[0:3]
	s_waitcnt lgkmcnt(0)
	s_barrier
	ds_read2_b64 v[140:143], v157 offset1:32
	ds_read_b128 v[96:99], v156 offset:21504
	ds_read_b128 v[52:55], v156 offset:21520
	ds_read_b128 v[4:7], v156 offset:21536
	ds_read_b128 v[0:3], v156 offset:21552
	ds_read2_b64 v[136:139], v157 offset0:64 offset1:96
	ds_read2_b64 v[132:135], v157 offset0:128 offset1:160
	ds_read2_b64 v[128:131], v157 offset0:192 offset1:224
	ds_read2_b64 v[124:127], v174 offset1:32
	ds_read2_b64 v[120:123], v174 offset0:64 offset1:96
	ds_read2_b64 v[116:119], v174 offset0:128 offset1:160
	ds_read2_b64 v[112:115], v174 offset0:192 offset1:224
	ds_read2_b64 v[108:111], v175 offset1:32
	ds_read2_b64 v[104:107], v175 offset0:64 offset1:96
	ds_read2_b64 v[100:103], v175 offset0:128 offset1:160
	ds_read2_b64 v[92:95], v175 offset0:192 offset1:224
	ds_read2_b64 v[88:91], v177 offset1:32
	ds_read2_b64 v[84:87], v177 offset0:64 offset1:96
	ds_read2_b64 v[80:83], v177 offset0:128 offset1:160
	ds_read2_b64 v[76:79], v177 offset0:192 offset1:224
	ds_read2_b64 v[72:75], v178 offset1:32
	ds_read2_b64 v[68:71], v178 offset0:64 offset1:96
	ds_read2_b64 v[64:67], v178 offset0:128 offset1:160
	ds_read2_b64 v[60:63], v178 offset0:192 offset1:224
	ds_read2_b64 v[56:59], v179 offset1:32
	ds_read2_b64 v[48:51], v179 offset0:64 offset1:96
	ds_read2_b64 v[44:47], v179 offset0:128 offset1:160
	ds_read2_b64 v[40:43], v179 offset0:192 offset1:224
	ds_read2_b64 v[36:39], v180 offset1:32
	ds_read2_b64 v[32:35], v180 offset0:64 offset1:96
	ds_read2_b64 v[28:31], v180 offset0:128 offset1:160
	ds_read2_b64 v[24:27], v180 offset0:192 offset1:224
	ds_read2_b64 v[20:23], v181 offset1:32
	ds_read2_b64 v[16:19], v181 offset0:64 offset1:96
	ds_read2_b64 v[12:15], v181 offset0:128 offset1:160
	;; [unrolled: 1-line block ×3, first 2 shown]
	s_waitcnt lgkmcnt(0)
	s_barrier
	ds_write_b32 v153, v170 offset:26624
	ds_write2_b32 v171, v170, v170 offset1:1
	ds_write_b32 v153, v170 offset:26636
	flat_load_dwordx4 v[186:189], v[186:187]
	v_pk_mul_f16 v140, v140, v96 op_sel_hi:[1,0]
	v_pk_mul_f16 v141, v141, v96 op_sel_hi:[1,0]
	ds_write_b32 v153, v170 offset:26624
	ds_write2_b32 v171, v170, v170 offset1:1
	ds_write_b32 v153, v170 offset:26636
	s_waitcnt vmcnt(0) lgkmcnt(0)
	ds_write_b128 v192, v[186:189]
	flat_load_dwordx4 v[186:189], v[146:147]
	v_mov_b32_e32 v146, s4
	v_addc_co_u32_e32 v145, vcc, v146, v145, vcc
	v_mov_b32_e32 v147, s4
	v_add_co_u32_e32 v154, vcc, s3, v154
	v_addc_co_u32_e32 v155, vcc, v147, v155, vcc
	v_add_co_u32_e32 v144, vcc, v144, v185
	v_addc_co_u32_e32 v145, vcc, 0, v145, vcc
	v_cmp_gt_i32_e32 vcc, s5, v193
	v_cndmask_b32_e32 v145, v190, v145, vcc
	v_cndmask_b32_e32 v144, v182, v144, vcc
	v_add_co_u32_e32 v154, vcc, v154, v185
	v_mul_f32_e32 v185, 0x3fb8aa3b, v150
	v_addc_co_u32_e32 v155, vcc, 0, v155, vcc
	v_cmp_gt_i32_e32 vcc, s5, v195
	v_cndmask_b32_e32 v155, v190, v155, vcc
	v_cndmask_b32_e32 v154, v182, v154, vcc
	v_cmp_ngt_f32_e32 vcc, s1, v150
	ds_write_b32 v153, v170 offset:26624
	ds_write2_b32 v171, v170, v170 offset1:1
	ds_write_b32 v153, v170 offset:26636
	s_waitcnt vmcnt(0) lgkmcnt(0)
	ds_write_b128 v194, v[186:189]
	flat_load_dwordx4 v[144:147], v[144:145]
	v_fma_f32 v186, v150, s0, -v185
	v_rndne_f32_e32 v187, v185
	v_fmac_f32_e32 v186, 0x32a5705f, v150
	v_sub_f32_e32 v185, v185, v187
	v_add_f32_e32 v185, v185, v186
	v_cvt_i32_f32_e32 v187, v187
	v_exp_f32_e32 v185, v185
	ds_write_b32 v153, v170 offset:26624
	ds_write2_b32 v171, v170, v170 offset1:1
	ds_write_b32 v153, v170 offset:26636
	s_waitcnt vmcnt(0) lgkmcnt(0)
	ds_write_b128 v176, v[144:147]
	v_ldexp_f32 v182, v185, v187
	v_cndmask_b32_e32 v182, 0, v182, vcc
	v_cmp_nlt_f32_e32 vcc, s2, v150
	v_cndmask_b32_e32 v182, v183, v182, vcc
	v_cvt_f16_f32_e32 v183, v182
	v_fmac_f32_e32 v172, v162, v182
	v_mov_b32_e32 v150, v152
	v_mov_b32_e32 v162, v172
	v_pk_mul_f16 v161, v183, v161 op_sel_hi:[0,1]
	v_pk_mul_f16 v158, v183, v158 op_sel_hi:[0,1]
	v_pk_fma_f16 v142, v142, v96, v161 op_sel_hi:[1,0,1]
	v_pk_fma_f16 v143, v143, v96, v158 op_sel_hi:[1,0,1]
	v_pk_fma_f16 v140, v159, v183, v140 op_sel_hi:[1,0,1]
	v_pk_fma_f16 v141, v160, v183, v141 op_sel_hi:[1,0,1]
	v_pk_fma_f16 v138, v138, v96, v142 op_sel:[0,1,0]
	v_pk_fma_f16 v139, v139, v96, v143 op_sel:[0,1,0]
	v_pk_fma_f16 v136, v136, v96, v140 op_sel:[0,1,0]
	v_pk_fma_f16 v96, v137, v96, v141 op_sel:[0,1,0]
	v_pk_fma_f16 v134, v134, v97, v138 op_sel_hi:[1,0,1]
	v_pk_fma_f16 v135, v135, v97, v139 op_sel_hi:[1,0,1]
	v_pk_fma_f16 v132, v132, v97, v136 op_sel_hi:[1,0,1]
	v_pk_fma_f16 v96, v133, v97, v96 op_sel_hi:[1,0,1]
	v_pk_fma_f16 v130, v130, v97, v134 op_sel:[0,1,0]
	v_pk_fma_f16 v131, v131, v97, v135 op_sel:[0,1,0]
	v_pk_fma_f16 v128, v128, v97, v132 op_sel:[0,1,0]
	v_pk_fma_f16 v96, v129, v97, v96 op_sel:[0,1,0]
	;; [unrolled: 8-line block ×6, first 2 shown]
	v_pk_fma_f16 v53, v90, v54, v94 op_sel_hi:[1,0,1]
	flat_load_dwordx4 v[92:95], v[154:155]
	v_pk_fma_f16 v90, v91, v54, v96 op_sel_hi:[1,0,1]
	v_pk_fma_f16 v88, v88, v54, v97 op_sel_hi:[1,0,1]
	v_pk_fma_f16 v52, v89, v54, v52 op_sel_hi:[1,0,1]
	v_pk_fma_f16 v53, v86, v54, v53 op_sel:[0,1,0]
	v_pk_fma_f16 v86, v87, v54, v90 op_sel:[0,1,0]
	v_pk_fma_f16 v84, v84, v54, v88 op_sel:[0,1,0]
	v_pk_fma_f16 v52, v85, v54, v52 op_sel:[0,1,0]
	v_pk_fma_f16 v53, v82, v55, v53 op_sel_hi:[1,0,1]
	v_pk_fma_f16 v54, v83, v55, v86 op_sel_hi:[1,0,1]
	v_pk_fma_f16 v80, v80, v55, v84 op_sel_hi:[1,0,1]
	v_pk_fma_f16 v52, v81, v55, v52 op_sel_hi:[1,0,1]
	v_pk_fma_f16 v53, v78, v55, v53 op_sel:[0,1,0]
	v_pk_fma_f16 v54, v79, v55, v54 op_sel:[0,1,0]
	v_pk_fma_f16 v76, v76, v55, v80 op_sel:[0,1,0]
	v_pk_fma_f16 v52, v77, v55, v52 op_sel:[0,1,0]
	v_pk_fma_f16 v53, v74, v4, v53 op_sel_hi:[1,0,1]
	;; [unrolled: 8-line block ×9, first 2 shown]
	v_pk_fma_f16 v2, v15, v3, v4 op_sel_hi:[1,0,1]
	v_pk_fma_f16 v4, v12, v3, v5 op_sel_hi:[1,0,1]
	;; [unrolled: 1-line block ×3, first 2 shown]
	v_pk_fma_f16 v144, v10, v3, v1 op_sel:[0,1,0]
	v_pk_fma_f16 v145, v11, v3, v2 op_sel:[0,1,0]
	;; [unrolled: 1-line block ×4, first 2 shown]
	s_waitcnt vmcnt(0) lgkmcnt(0)
	ds_write_b128 v184, v[92:95]
	s_waitcnt lgkmcnt(0)
	s_barrier
	ds_read2_b64 v[0:3], v157 offset1:32
	ds_read_b128 v[4:7], v156 offset:21568
	ds_read_b128 v[8:11], v156 offset:21584
	;; [unrolled: 1-line block ×4, first 2 shown]
	ds_read2_b64 v[20:23], v157 offset0:64 offset1:96
	ds_read2_b64 v[24:27], v157 offset0:128 offset1:160
	ds_read2_b64 v[28:31], v157 offset0:192 offset1:224
	ds_read2_b64 v[32:35], v174 offset1:32
	ds_read2_b64 v[36:39], v174 offset0:64 offset1:96
	ds_read2_b64 v[40:43], v174 offset0:128 offset1:160
	ds_read2_b64 v[44:47], v174 offset0:192 offset1:224
	ds_read2_b64 v[48:51], v175 offset1:32
	;; [unrolled: 4-line block ×7, first 2 shown]
	ds_read2_b64 v[132:135], v181 offset0:64 offset1:96
	ds_read2_b64 v[136:139], v181 offset0:128 offset1:160
	;; [unrolled: 1-line block ×3, first 2 shown]
	s_waitcnt lgkmcnt(14)
	v_pk_fma_f16 v0, v0, v4, v146 op_sel_hi:[1,0,1]
	v_pk_fma_f16 v1, v1, v4, v147 op_sel_hi:[1,0,1]
	v_pk_fma_f16 v2, v2, v4, v144 op_sel_hi:[1,0,1]
	v_pk_fma_f16 v3, v3, v4, v145 op_sel_hi:[1,0,1]
	v_pk_fma_f16 v0, v20, v4, v0 op_sel:[0,1,0]
	v_pk_fma_f16 v1, v21, v4, v1 op_sel:[0,1,0]
	v_pk_fma_f16 v2, v22, v4, v2 op_sel:[0,1,0]
	v_pk_fma_f16 v3, v23, v4, v3 op_sel:[0,1,0]
	v_pk_fma_f16 v0, v24, v5, v0 op_sel_hi:[1,0,1]
	v_pk_fma_f16 v1, v25, v5, v1 op_sel_hi:[1,0,1]
	v_pk_fma_f16 v2, v26, v5, v2 op_sel_hi:[1,0,1]
	v_pk_fma_f16 v3, v27, v5, v3 op_sel_hi:[1,0,1]
	v_pk_fma_f16 v0, v28, v5, v0 op_sel:[0,1,0]
	v_pk_fma_f16 v1, v29, v5, v1 op_sel:[0,1,0]
	v_pk_fma_f16 v2, v30, v5, v2 op_sel:[0,1,0]
	v_pk_fma_f16 v3, v31, v5, v3 op_sel:[0,1,0]
	;; [unrolled: 8-line block ×9, first 2 shown]
	s_waitcnt lgkmcnt(13)
	v_pk_fma_f16 v0, v88, v13, v0 op_sel_hi:[1,0,1]
	v_pk_fma_f16 v1, v89, v13, v1 op_sel_hi:[1,0,1]
	v_pk_fma_f16 v2, v90, v13, v2 op_sel_hi:[1,0,1]
	v_pk_fma_f16 v3, v91, v13, v3 op_sel_hi:[1,0,1]
	s_waitcnt lgkmcnt(12)
	v_pk_fma_f16 v0, v92, v13, v0 op_sel:[0,1,0]
	v_pk_fma_f16 v1, v93, v13, v1 op_sel:[0,1,0]
	v_pk_fma_f16 v2, v94, v13, v2 op_sel:[0,1,0]
	v_pk_fma_f16 v3, v95, v13, v3 op_sel:[0,1,0]
	s_waitcnt lgkmcnt(11)
	v_pk_fma_f16 v0, v96, v14, v0 op_sel_hi:[1,0,1]
	v_pk_fma_f16 v1, v97, v14, v1 op_sel_hi:[1,0,1]
	v_pk_fma_f16 v2, v98, v14, v2 op_sel_hi:[1,0,1]
	v_pk_fma_f16 v3, v99, v14, v3 op_sel_hi:[1,0,1]
	s_waitcnt lgkmcnt(10)
	v_pk_fma_f16 v0, v100, v14, v0 op_sel:[0,1,0]
	v_pk_fma_f16 v1, v101, v14, v1 op_sel:[0,1,0]
	v_pk_fma_f16 v2, v102, v14, v2 op_sel:[0,1,0]
	v_pk_fma_f16 v3, v103, v14, v3 op_sel:[0,1,0]
	;; [unrolled: 10-line block ×7, first 2 shown]
	s_barrier
.LBB72_46:
	v_cmp_lt_i32_e32 vcc, v165, v164
	v_cndmask_b32_e32 v0, v163, v165, vcc
	v_lshlrev_b32_e32 v0, 2, v0
	ds_bpermute_b32 v0, v0, v162
	v_cmp_lt_i32_e32 vcc, v166, v164
	v_cndmask_b32_e32 v1, v163, v166, vcc
	v_lshlrev_b32_e32 v1, 2, v1
	v_cmp_lt_i32_e32 vcc, v167, v164
	s_waitcnt lgkmcnt(0)
	v_add_f32_e32 v0, v162, v0
	ds_bpermute_b32 v1, v1, v0
	v_cndmask_b32_e32 v2, v163, v167, vcc
	v_lshlrev_b32_e32 v2, 2, v2
	v_cmp_lt_i32_e32 vcc, v168, v164
	s_cmp_eq_u64 s[20:21], 0
	s_waitcnt lgkmcnt(0)
	v_add_f32_e32 v0, v0, v1
	ds_bpermute_b32 v1, v2, v0
	v_cndmask_b32_e32 v2, v163, v168, vcc
	v_lshlrev_b32_e32 v2, 2, v2
	v_cmp_lt_i32_e32 vcc, v169, v164
	s_cselect_b64 s[0:1], -1, 0
	s_waitcnt lgkmcnt(0)
	v_add_f32_e32 v0, v0, v1
	ds_bpermute_b32 v1, v2, v0
	v_cndmask_b32_e32 v2, v163, v169, vcc
	v_lshlrev_b32_e32 v2, 2, v2
	s_cmp_lg_u32 s9, 0
	s_cselect_b64 s[2:3], -1, 0
	s_waitcnt lgkmcnt(0)
	v_add_f32_e32 v0, v0, v1
	ds_bpermute_b32 v1, v2, v0
	s_or_b64 s[0:1], s[2:3], s[0:1]
	s_and_b64 vcc, exec, s[0:1]
	s_waitcnt lgkmcnt(0)
	v_add_f32_e32 v153, v0, v1
	s_cbranch_vccnz .LBB72_48
; %bb.47:
	s_lshl_b64 s[0:1], s[34:35], 2
	s_add_u32 s0, s20, s0
	s_addc_u32 s1, s21, s1
	v_mov_b32_e32 v0, 0
	global_load_dword v1, v0, s[0:1]
	v_max_f32_e32 v0, v150, v150
	s_mov_b32 s0, 0x3fb8aa3b
	s_mov_b32 s1, 0xc2ce8ed0
	s_waitcnt vmcnt(0)
	v_max_f32_e32 v2, v1, v1
	v_max_f32_e32 v0, v0, v2
	v_sub_f32_e32 v2, v150, v0
	v_sub_f32_e32 v1, v1, v0
	v_mul_f32_e32 v3, 0x3fb8aa3b, v2
	v_mul_f32_e32 v4, 0x3fb8aa3b, v1
	v_fma_f32 v5, v2, s0, -v3
	v_rndne_f32_e32 v6, v3
	v_fma_f32 v7, v1, s0, -v4
	v_rndne_f32_e32 v8, v4
	v_fmac_f32_e32 v5, 0x32a5705f, v2
	v_sub_f32_e32 v3, v3, v6
	v_fmac_f32_e32 v7, 0x32a5705f, v1
	v_sub_f32_e32 v4, v4, v8
	v_add_f32_e32 v3, v3, v5
	v_cvt_i32_f32_e32 v6, v6
	v_add_f32_e32 v4, v4, v7
	v_exp_f32_e32 v3, v3
	v_cvt_i32_f32_e32 v8, v8
	v_exp_f32_e32 v4, v4
	v_cmp_ngt_f32_e32 vcc, s1, v2
	v_ldexp_f32 v3, v3, v6
	s_mov_b32 s0, 0x42b17218
	v_ldexp_f32 v4, v4, v8
	v_cndmask_b32_e32 v3, 0, v3, vcc
	v_cmp_ngt_f32_e32 vcc, s1, v1
	v_mov_b32_e32 v5, 0x7f800000
	v_cndmask_b32_e32 v4, 0, v4, vcc
	v_cmp_nlt_f32_e32 vcc, s0, v2
	v_cndmask_b32_e32 v2, v5, v3, vcc
	v_cvt_f16_f32_e32 v3, v2
	v_cmp_nlt_f32_e32 vcc, s0, v1
	v_cndmask_b32_e32 v1, v5, v4, vcc
	v_fmac_f32_e32 v1, v153, v2
	v_pk_mul_f16 v159, v3, v159 op_sel_hi:[0,1]
	v_pk_mul_f16 v160, v3, v160 op_sel_hi:[0,1]
	;; [unrolled: 1-line block ×4, first 2 shown]
	v_mov_b32_e32 v153, v1
	v_cmp_gt_i32_e32 vcc, s30, v149
	s_and_saveexec_b64 s[0:1], vcc
	s_cbranch_execnz .LBB72_49
	s_branch .LBB72_51
.LBB72_48:
	v_pk_mov_b32 v[0:1], v[152:153], v[152:153] op_sel:[0,1]
	v_cmp_gt_i32_e32 vcc, s30, v149
	s_and_saveexec_b64 s[0:1], vcc
	s_cbranch_execz .LBB72_51
.LBB72_49:
	v_div_scale_f32 v2, s[0:1], v153, v153, 1.0
	v_rcp_f32_e32 v3, v2
	s_load_dword s2, s[6:7], 0xd4
	s_mul_i32 s33, s33, s30
	v_cvt_f32_f16_sdwa v7, v159 dst_sel:DWORD dst_unused:UNUSED_PAD src0_sel:WORD_1
	v_fma_f32 v4, -v2, v3, 1.0
	v_fmac_f32_e32 v3, v4, v3
	v_div_scale_f32 v4, vcc, 1.0, v153, 1.0
	v_mul_f32_e32 v5, v4, v3
	v_fma_f32 v6, -v2, v5, v4
	v_fmac_f32_e32 v5, v6, v3
	v_fma_f32 v2, -v2, v5, v4
	s_waitcnt lgkmcnt(0)
	s_cmp_lg_u32 s2, 1
	v_div_fmas_f32 v2, v2, v3, v5
	v_div_fixup_f32 v2, v2, v153, 1.0
	s_cselect_b64 s[0:1], -1, 0
	v_cndmask_b32_e64 v8, v2, 1.0, s[0:1]
	v_add_u32_e32 v2, s33, v149
	v_mul_lo_u32 v2, v2, s31
	v_add_u32_e32 v2, s34, v2
	v_mul_lo_u32 v2, s2, v2
	v_add_u32_e32 v2, s9, v2
	v_cvt_f32_f16_e32 v6, v159
	v_cvt_f32_f16_sdwa v13, v160 dst_sel:DWORD dst_unused:UNUSED_PAD src0_sel:WORD_1
	v_cvt_f32_f16_e32 v12, v160
	v_lshl_add_u32 v10, v2, 8, v151
	v_mov_b32_e32 v11, 0
	v_lshlrev_b64 v[4:5], 2, v[10:11]
	v_mov_b32_e32 v3, s25
	v_add_co_u32_e32 v14, vcc, s24, v4
	v_addc_co_u32_e32 v15, vcc, v3, v5, vcc
	v_pk_mul_f32 v[4:5], v[8:9], v[6:7] op_sel_hi:[0,1]
	v_pk_mul_f32 v[6:7], v[8:9], v[12:13] op_sel_hi:[0,1]
	v_add_u32_e32 v10, 0x80, v10
	global_store_dwordx4 v[14:15], v[4:7], off
	s_nop 0
	v_lshlrev_b64 v[4:5], 2, v[10:11]
	v_cvt_f32_f16_sdwa v7, v161 dst_sel:DWORD dst_unused:UNUSED_PAD src0_sel:WORD_1
	v_cvt_f32_f16_e32 v6, v161
	v_cvt_f32_f16_sdwa v11, v158 dst_sel:DWORD dst_unused:UNUSED_PAD src0_sel:WORD_1
	v_cvt_f32_f16_e32 v10, v158
	v_add_co_u32_e32 v12, vcc, s24, v4
	v_addc_co_u32_e32 v13, vcc, v3, v5, vcc
	v_cmp_eq_u32_e32 vcc, 0, v148
	v_pk_mul_f32 v[4:5], v[8:9], v[6:7] op_sel_hi:[0,1]
	v_pk_mul_f32 v[6:7], v[8:9], v[10:11] op_sel_hi:[0,1]
	s_and_b64 s[0:1], vcc, s[0:1]
	global_store_dwordx4 v[12:13], v[4:7], off
	s_and_b64 exec, exec, s[0:1]
	s_cbranch_execz .LBB72_51
; %bb.50:
	v_ashrrev_i32_e32 v3, 31, v2
	v_lshlrev_b64 v[2:3], 3, v[2:3]
	v_mov_b32_e32 v4, s27
	v_add_co_u32_e32 v2, vcc, s26, v2
	v_addc_co_u32_e32 v3, vcc, v4, v3, vcc
	global_store_dwordx2 v[2:3], v[0:1], off
	s_endpgm
.LBB72_51:
	s_endpgm
	.section	.rodata,"a",@progbits
	.p2align	6, 0x0
	.amdhsa_kernel _ZL15flash_attn_tileILi256ELi256ELi8ELi1ELb1EEvPKcS1_S1_S1_S1_PKiPfP15HIP_vector_typeIfLj2EEffffjfiS5_IjLj3EEiiiiiiiiiiiliiliiiiil
		.amdhsa_group_segment_fixed_size 30720
		.amdhsa_private_segment_fixed_size 0
		.amdhsa_kernarg_size 464
		.amdhsa_user_sgpr_count 8
		.amdhsa_user_sgpr_private_segment_buffer 1
		.amdhsa_user_sgpr_dispatch_ptr 1
		.amdhsa_user_sgpr_queue_ptr 0
		.amdhsa_user_sgpr_kernarg_segment_ptr 1
		.amdhsa_user_sgpr_dispatch_id 0
		.amdhsa_user_sgpr_flat_scratch_init 0
		.amdhsa_user_sgpr_kernarg_preload_length 0
		.amdhsa_user_sgpr_kernarg_preload_offset 0
		.amdhsa_user_sgpr_private_segment_size 0
		.amdhsa_uses_dynamic_stack 0
		.amdhsa_system_sgpr_private_segment_wavefront_offset 0
		.amdhsa_system_sgpr_workgroup_id_x 1
		.amdhsa_system_sgpr_workgroup_id_y 1
		.amdhsa_system_sgpr_workgroup_id_z 1
		.amdhsa_system_sgpr_workgroup_info 0
		.amdhsa_system_vgpr_workitem_id 2
		.amdhsa_next_free_vgpr 197
		.amdhsa_next_free_sgpr 52
		.amdhsa_accum_offset 200
		.amdhsa_reserve_vcc 1
		.amdhsa_reserve_flat_scratch 0
		.amdhsa_float_round_mode_32 0
		.amdhsa_float_round_mode_16_64 0
		.amdhsa_float_denorm_mode_32 3
		.amdhsa_float_denorm_mode_16_64 3
		.amdhsa_dx10_clamp 1
		.amdhsa_ieee_mode 1
		.amdhsa_fp16_overflow 0
		.amdhsa_tg_split 0
		.amdhsa_exception_fp_ieee_invalid_op 0
		.amdhsa_exception_fp_denorm_src 0
		.amdhsa_exception_fp_ieee_div_zero 0
		.amdhsa_exception_fp_ieee_overflow 0
		.amdhsa_exception_fp_ieee_underflow 0
		.amdhsa_exception_fp_ieee_inexact 0
		.amdhsa_exception_int_div_zero 0
	.end_amdhsa_kernel
	.section	.text._ZL15flash_attn_tileILi256ELi256ELi8ELi1ELb1EEvPKcS1_S1_S1_S1_PKiPfP15HIP_vector_typeIfLj2EEffffjfiS5_IjLj3EEiiiiiiiiiiiliiliiiiil,"axG",@progbits,_ZL15flash_attn_tileILi256ELi256ELi8ELi1ELb1EEvPKcS1_S1_S1_S1_PKiPfP15HIP_vector_typeIfLj2EEffffjfiS5_IjLj3EEiiiiiiiiiiiliiliiiiil,comdat
.Lfunc_end72:
	.size	_ZL15flash_attn_tileILi256ELi256ELi8ELi1ELb1EEvPKcS1_S1_S1_S1_PKiPfP15HIP_vector_typeIfLj2EEffffjfiS5_IjLj3EEiiiiiiiiiiiliiliiiiil, .Lfunc_end72-_ZL15flash_attn_tileILi256ELi256ELi8ELi1ELb1EEvPKcS1_S1_S1_S1_PKiPfP15HIP_vector_typeIfLj2EEffffjfiS5_IjLj3EEiiiiiiiiiiiliiliiiiil
                                        ; -- End function
	.section	.AMDGPU.csdata,"",@progbits
; Kernel info:
; codeLenInByte = 20068
; NumSgprs: 56
; NumVgprs: 197
; NumAgprs: 0
; TotalNumVgprs: 197
; ScratchSize: 0
; MemoryBound: 0
; FloatMode: 240
; IeeeMode: 1
; LDSByteSize: 30720 bytes/workgroup (compile time only)
; SGPRBlocks: 6
; VGPRBlocks: 24
; NumSGPRsForWavesPerEU: 56
; NumVGPRsForWavesPerEU: 197
; AccumOffset: 200
; Occupancy: 2
; WaveLimiterHint : 1
; COMPUTE_PGM_RSRC2:SCRATCH_EN: 0
; COMPUTE_PGM_RSRC2:USER_SGPR: 8
; COMPUTE_PGM_RSRC2:TRAP_HANDLER: 0
; COMPUTE_PGM_RSRC2:TGID_X_EN: 1
; COMPUTE_PGM_RSRC2:TGID_Y_EN: 1
; COMPUTE_PGM_RSRC2:TGID_Z_EN: 1
; COMPUTE_PGM_RSRC2:TIDIG_COMP_CNT: 2
; COMPUTE_PGM_RSRC3_GFX90A:ACCUM_OFFSET: 49
; COMPUTE_PGM_RSRC3_GFX90A:TG_SPLIT: 0
	.section	.text._ZL15flash_attn_tileILi256ELi256ELi4ELi1ELb1EEvPKcS1_S1_S1_S1_PKiPfP15HIP_vector_typeIfLj2EEffffjfiS5_IjLj3EEiiiiiiiiiiiliiliiiiil,"axG",@progbits,_ZL15flash_attn_tileILi256ELi256ELi4ELi1ELb1EEvPKcS1_S1_S1_S1_PKiPfP15HIP_vector_typeIfLj2EEffffjfiS5_IjLj3EEiiiiiiiiiiiliiliiiiil,comdat
	.globl	_ZL15flash_attn_tileILi256ELi256ELi4ELi1ELb1EEvPKcS1_S1_S1_S1_PKiPfP15HIP_vector_typeIfLj2EEffffjfiS5_IjLj3EEiiiiiiiiiiiliiliiiiil ; -- Begin function _ZL15flash_attn_tileILi256ELi256ELi4ELi1ELb1EEvPKcS1_S1_S1_S1_PKiPfP15HIP_vector_typeIfLj2EEffffjfiS5_IjLj3EEiiiiiiiiiiiliiliiiiil
	.p2align	8
	.type	_ZL15flash_attn_tileILi256ELi256ELi4ELi1ELb1EEvPKcS1_S1_S1_S1_PKiPfP15HIP_vector_typeIfLj2EEffffjfiS5_IjLj3EEiiiiiiiiiiiliiliiiiil,@function
_ZL15flash_attn_tileILi256ELi256ELi4ELi1ELb1EEvPKcS1_S1_S1_S1_PKiPfP15HIP_vector_typeIfLj2EEffffjfiS5_IjLj3EEiiiiiiiiiiiliiliiiiil: ; @_ZL15flash_attn_tileILi256ELi256ELi4ELi1ELb1EEvPKcS1_S1_S1_S1_PKiPfP15HIP_vector_typeIfLj2EEffffjfiS5_IjLj3EEiiiiiiiiiiiliiliiiiil
; %bb.0:
	s_load_dwordx4 s[36:39], s[4:5], 0x5c
	s_load_dwordx2 s[14:15], s[4:5], 0x80
	s_add_u32 flat_scratch_lo, s6, s11
	s_addc_u32 flat_scratch_hi, s7, 0
	s_add_u32 s0, s0, s11
	s_waitcnt lgkmcnt(0)
	v_cvt_f32_u32_e32 v1, s39
	s_addc_u32 s1, s1, 0
	s_sub_i32 s6, 0, s39
	s_load_dwordx16 s[16:31], s[4:5], 0x0
	v_rcp_iflag_f32_e32 v1, v1
	s_load_dwordx2 s[46:47], s[4:5], 0xb8
	s_mov_b64 s[44:45], 0
	v_mul_f32_e32 v1, 0x4f7ffffe, v1
	v_cvt_u32_f32_e32 v1, v1
	v_readfirstlane_b32 s7, v1
	s_mul_i32 s6, s6, s7
	s_mul_hi_u32 s6, s7, s6
	s_add_i32 s7, s7, s6
	s_mul_hi_u32 s6, s10, s7
	s_mul_i32 s7, s6, s39
	s_sub_i32 s7, s10, s7
	s_add_i32 s11, s6, 1
	s_sub_i32 s12, s7, s39
	s_cmp_ge_u32 s7, s39
	s_cselect_b32 s6, s11, s6
	s_cselect_b32 s7, s12, s7
	s_add_i32 s11, s6, 1
	s_cmp_ge_u32 s7, s39
	s_cselect_b32 s33, s11, s6
	s_abs_i32 s6, s15
	v_cvt_f32_u32_e32 v1, s6
	s_mul_i32 s12, s33, s39
	s_sub_i32 s13, 0, s6
	s_sub_i32 s34, s10, s12
	v_rcp_iflag_f32_e32 v1, v1
	s_abs_i32 s11, s39
	s_xor_b32 s7, s39, s15
	s_ashr_i32 s7, s7, 31
	v_mul_f32_e32 v1, 0x4f7ffffe, v1
	v_cvt_u32_f32_e32 v1, v1
	v_readfirstlane_b32 s10, v1
	s_mul_i32 s13, s13, s10
	s_mul_hi_u32 s12, s10, s13
	s_add_i32 s10, s10, s12
	s_mul_hi_u32 s10, s11, s10
	s_mul_i32 s12, s10, s6
	s_sub_i32 s11, s11, s12
	s_add_i32 s13, s10, 1
	s_sub_i32 s12, s11, s6
	s_cmp_ge_u32 s11, s6
	s_cselect_b32 s10, s13, s10
	s_cselect_b32 s11, s12, s11
	s_add_i32 s12, s10, 1
	s_cmp_ge_u32 s11, s6
	s_cselect_b32 s6, s12, s10
	s_xor_b32 s6, s6, s7
	s_sub_i32 s15, s6, s7
	s_abs_i32 s48, s15
	v_cvt_f32_u32_e32 v1, s48
	s_sub_i32 s6, 0, s48
	s_abs_i32 s49, s34
	v_rcp_iflag_f32_e32 v1, v1
	v_mul_f32_e32 v1, 0x4f7ffffe, v1
	v_cvt_u32_f32_e32 v1, v1
	v_readfirstlane_b32 s7, v1
	s_mul_i32 s6, s6, s7
	s_mul_hi_u32 s6, s7, s6
	s_add_i32 s6, s7, s6
	s_waitcnt lgkmcnt(0)
	s_cmp_eq_u64 s[22:23], 0
	s_cbranch_scc1 .LBB73_2
; %bb.1:
	s_abs_i32 s7, s46
	v_cvt_f32_u32_e32 v1, s7
	s_sub_i32 s35, 0, s7
	s_abs_i32 s13, s33
	s_ashr_i32 s12, s33, 31
	v_rcp_iflag_f32_e32 v1, v1
	s_load_dwordx2 s[10:11], s[4:5], 0xc8
	v_mul_f32_e32 v1, 0x4f7ffffe, v1
	v_cvt_u32_f32_e32 v1, v1
	v_readfirstlane_b32 s40, v1
	s_mul_i32 s35, s35, s40
	s_mul_hi_u32 s35, s40, s35
	s_add_i32 s40, s40, s35
	s_mul_hi_u32 s35, s13, s40
	s_mul_i32 s35, s35, s7
	s_sub_i32 s13, s13, s35
	s_sub_i32 s35, s13, s7
	s_cmp_ge_u32 s13, s7
	s_cselect_b32 s13, s35, s13
	s_sub_i32 s35, s13, s7
	s_cmp_ge_u32 s13, s7
	s_cselect_b32 s7, s35, s13
	s_xor_b32 s7, s7, s12
	s_sub_i32 s7, s7, s12
	s_ashr_i32 s12, s7, 31
	s_waitcnt lgkmcnt(0)
	s_mul_i32 s11, s7, s11
	s_mul_hi_u32 s13, s7, s10
	s_add_i32 s11, s13, s11
	s_mul_i32 s12, s12, s10
	s_add_i32 s11, s11, s12
	s_mul_i32 s7, s7, s10
	s_add_u32 s44, s22, s7
	s_addc_u32 s45, s23, s11
.LBB73_2:
	s_load_dwordx4 s[40:43], s[4:5], 0x40
	s_load_dwordx2 s[22:23], s[4:5], 0x50
	s_mul_hi_u32 s46, s49, s6
	v_mov_b32_e32 v7, 1.0
	s_waitcnt lgkmcnt(0)
	v_cmp_le_f32_e64 s[6:7], s41, 0
	s_and_b64 vcc, exec, s[6:7]
	s_cbranch_vccnz .LBB73_4
; %bb.3:
	s_sub_i32 s6, s34, s22
	s_lshl_b32 s6, s6, 1
	s_add_i32 s10, s34, 1
	s_or_b32 s11, s6, 1
	s_cmp_lt_u32 s34, s22
	s_cselect_b64 vcc, -1, 0
	s_and_b64 s[6:7], vcc, exec
	v_mov_b32_e32 v1, s43
	v_mov_b32_e32 v2, s42
	s_cselect_b32 s6, s10, s11
	v_cndmask_b32_e32 v18, v1, v2, vcc
	v_cvt_f32_i32_e32 v1, s6
	v_cmp_neq_f32_e32 vcc, 1.0, v18
	s_mov_b32 s6, 0x3f2aaaab
	s_movk_i32 s10, 0x204
	v_cndmask_b32_e32 v19, 1.0, v1, vcc
	v_cmp_eq_f32_e32 vcc, 0, v19
	v_cndmask_b32_e64 v20, |v18|, 1.0, vcc
	v_frexp_mant_f32_e32 v1, v20
	v_cmp_gt_f32_e64 s[6:7], s6, v1
	v_cndmask_b32_e64 v2, 1.0, 2.0, s[6:7]
	v_mul_f32_e32 v1, v1, v2
	v_add_f32_e32 v2, 1.0, v1
	v_rcp_f32_e32 v10, v2
	v_add_f32_e32 v3, -1.0, v2
	v_sub_f32_e32 v5, v1, v3
	v_add_f32_e32 v3, -1.0, v1
	v_mul_f32_e32 v1, v3, v10
	v_mul_f32_e32 v4, v2, v1
	v_fma_f32 v6, v1, v2, -v4
	v_fmac_f32_e32 v6, v1, v5
	v_add_f32_e32 v2, v4, v6
	v_sub_f32_e32 v5, v3, v2
	v_pk_add_f32 v[8:9], v[2:3], v[4:5] neg_lo:[0,1] neg_hi:[0,1]
	v_mov_b32_e32 v7, v2
	v_pk_add_f32 v[2:3], v[8:9], v[6:7] neg_lo:[0,1] neg_hi:[0,1]
	v_add_f32_e32 v2, v2, v3
	v_add_f32_e32 v2, v5, v2
	v_mul_f32_e32 v3, v10, v2
	v_add_f32_e32 v2, v1, v3
	v_sub_f32_e32 v1, v2, v1
	v_sub_f32_e32 v1, v3, v1
	v_mul_f32_e32 v3, v2, v2
	v_fma_f32 v5, v2, v2, -v3
	v_add_f32_e32 v4, v1, v1
	v_fmac_f32_e32 v5, v2, v4
	v_add_f32_e32 v4, v3, v5
	v_mov_b32_e32 v6, 0x3e91f4c4
	v_fmac_f32_e32 v6, 0x3e76c4e1, v4
	v_mov_b32_e32 v7, 0x3ecccdef
	v_fmac_f32_e32 v7, v4, v6
	v_sub_f32_e32 v3, v4, v3
	v_sub_f32_e32 v12, v5, v3
	v_mul_f32_e32 v3, v4, v7
	v_fma_f32 v5, v4, v7, -v3
	v_fmac_f32_e32 v5, v12, v7
	v_add_f32_e32 v6, v3, v5
	v_add_f32_e32 v7, 0x3f2aaaaa, v6
	v_sub_f32_e32 v3, v6, v3
	v_sub_f32_e32 v3, v5, v3
	v_add_f32_e32 v5, 0xbf2aaaaa, v7
	v_add_f32_e32 v3, 0x31739010, v3
	v_sub_f32_e32 v5, v6, v5
	v_pk_mul_f32 v[8:9], v[2:3], v[4:5]
	v_fma_f32 v6, v4, v2, -v8
	v_pk_add_f32 v[10:11], v[2:3], v[4:5]
	v_fmac_f32_e32 v6, v4, v1
	v_mov_b32_e32 v9, v11
	v_fmac_f32_e32 v6, v12, v2
	v_pk_add_f32 v[4:5], v[8:9], v[6:7]
	v_sub_f32_e32 v3, v4, v8
	v_sub_f32_e32 v3, v6, v3
	;; [unrolled: 1-line block ×3, first 2 shown]
	v_add_f32_e32 v9, v11, v6
	v_mov_b32_e32 v6, v5
	v_pk_mul_f32 v[6:7], v[4:5], v[6:7]
	v_cvt_f64_f32_e32 v[10:11], v20
	v_frexp_exp_i32_f64_e32 v7, v[10:11]
	v_subbrev_co_u32_e64 v7, s[6:7], 0, v7, s[6:7]
	v_cvt_f32_i32_e32 v7, v7
	v_fma_f32 v8, v4, v5, -v6
	v_fmac_f32_e32 v8, v4, v9
	s_mov_b32 s6, 0x3f317218
	v_mul_f32_e32 v4, 0x3f317218, v7
	v_fmac_f32_e32 v8, v3, v5
	v_fma_f32 v10, v7, s6, -v4
	v_fmac_f32_e32 v10, 0xb102e308, v7
	v_ldexp_f32 v11, v2, 1
	v_add_f32_e32 v5, v6, v8
	v_pk_add_f32 v[2:3], v[4:5], v[10:11]
	v_mov_b32_e32 v12, v5
	v_mov_b32_e32 v13, v3
	;; [unrolled: 1-line block ×3, first 2 shown]
	v_pk_add_f32 v[6:7], v[12:13], v[6:7] neg_lo:[0,1] neg_hi:[0,1]
	v_mov_b32_e32 v9, v5
	v_ldexp_f32 v1, v1, 1
	v_pk_add_f32 v[6:7], v[8:9], v[6:7] neg_lo:[0,1] neg_hi:[0,1]
	v_add_f32_e32 v1, v1, v6
	v_add_f32_e32 v5, v1, v7
	v_pk_add_f32 v[6:7], v[2:3], v[4:5] neg_lo:[0,1] neg_hi:[0,1]
	v_pk_add_f32 v[8:9], v[2:3], v[4:5]
	v_mov_b32_e32 v12, v6
	v_mov_b32_e32 v13, v9
	;; [unrolled: 1-line block ×3, first 2 shown]
	v_pk_add_f32 v[12:13], v[10:11], v[12:13]
	v_mov_b32_e32 v4, v13
	v_pk_add_f32 v[14:15], v[4:5], v[2:3] neg_lo:[0,1] neg_hi:[0,1]
	v_mov_b32_e32 v1, v14
	v_mov_b32_e32 v12, v9
	;; [unrolled: 1-line block ×4, first 2 shown]
	v_pk_add_f32 v[6:7], v[10:11], v[6:7] neg_lo:[0,1] neg_hi:[0,1]
	v_pk_add_f32 v[16:17], v[8:9], v[0:1] neg_lo:[0,1] neg_hi:[0,1]
	;; [unrolled: 1-line block ×3, first 2 shown]
	v_mov_b32_e32 v10, v5
	v_pk_add_f32 v[2:3], v[10:11], v[2:3] neg_lo:[0,1] neg_hi:[0,1]
	v_mov_b32_e32 v16, v6
	v_pk_add_f32 v[8:9], v[16:17], v[2:3]
	v_mov_b32_e32 v10, v9
	v_pk_add_f32 v[10:11], v[8:9], v[10:11]
	v_pk_add_f32 v[4:5], v[4:5], v[10:11]
	v_mov_b32_e32 v7, v13
	v_mov_b32_e32 v9, v4
	v_pk_add_f32 v[12:13], v[8:9], v[6:7] neg_lo:[0,1] neg_hi:[0,1]
	v_mov_b32_e32 v3, v10
	v_sub_f32_e32 v1, v8, v12
	v_pk_add_f32 v[2:3], v[2:3], v[12:13] neg_lo:[0,1] neg_hi:[0,1]
	v_sub_f32_e32 v1, v6, v1
	v_add_f32_e32 v1, v2, v1
	v_add_f32_e32 v1, v1, v3
	;; [unrolled: 1-line block ×3, first 2 shown]
	v_sub_f32_e32 v3, v2, v4
	v_sub_f32_e32 v1, v1, v3
	v_mul_f32_e32 v3, v19, v2
	v_fma_f32 v2, v19, v2, -v3
	v_fmac_f32_e32 v2, v19, v1
	v_add_f32_e32 v1, v3, v2
	v_cmp_class_f32_e64 s[6:7], v3, s10
	v_sub_f32_e32 v4, v1, v3
	v_cndmask_b32_e64 v1, v1, v3, s[6:7]
	s_mov_b32 s12, 0x42b17218
	v_mov_b32_e32 v3, 0x37000000
	v_cmp_eq_f32_e64 s[6:7], s12, v1
	v_cndmask_b32_e64 v3, 0, v3, s[6:7]
	v_sub_f32_e32 v2, v2, v4
	v_sub_f32_e32 v4, v1, v3
	s_mov_b32 s6, 0x3fb8aa3b
	v_mul_f32_e32 v5, 0x3fb8aa3b, v4
	v_fma_f32 v6, v4, s6, -v5
	v_rndne_f32_e32 v7, v5
	v_fmac_f32_e32 v6, 0x32a5705f, v4
	v_sub_f32_e32 v5, v5, v7
	v_add_f32_e32 v5, v5, v6
	v_exp_f32_e32 v5, v5
	v_cvt_i32_f32_e32 v6, v7
	s_mov_b32 s11, 0x7f800000
	v_cmp_neq_f32_e64 s[6:7], |v1|, s11
	v_cndmask_b32_e64 v1, 0, v2, s[6:7]
	s_mov_b32 s6, 0xc2ce8ed0
	v_ldexp_f32 v2, v5, v6
	v_cmp_ngt_f32_e64 s[6:7], s6, v4
	v_add_f32_e32 v1, v3, v1
	v_cndmask_b32_e64 v2, 0, v2, s[6:7]
	v_mov_b32_e32 v3, 0x7f800000
	v_cmp_nlt_f32_e64 s[6:7], s12, v4
	v_cndmask_b32_e64 v2, v3, v2, s[6:7]
	v_fma_f32 v1, v2, v1, v2
	v_cmp_class_f32_e64 s[6:7], v2, s10
	v_trunc_f32_e32 v4, v19
	v_cndmask_b32_e64 v1, v1, v2, s[6:7]
	v_cndmask_b32_e64 v2, v18, 1.0, vcc
	v_cmp_eq_f32_e32 vcc, v4, v19
	v_mul_f32_e32 v4, 0.5, v19
	v_trunc_f32_e32 v6, v4
	v_cmp_neq_f32_e64 s[6:7], v6, v4
	s_and_b64 s[6:7], vcc, s[6:7]
	v_cndmask_b32_e64 v4, 1.0, v2, s[6:7]
	s_brev_b32 s22, -2
	v_mov_b32_e32 v5, 0x7fc00000
	v_bfi_b32 v1, s22, v1, v4
	v_cndmask_b32_e32 v4, v5, v1, vcc
	v_cmp_gt_f32_e32 vcc, 0, v2
	v_cndmask_b32_e32 v1, v1, v4, vcc
	v_cmp_eq_f32_e32 vcc, s11, v20
	v_cmp_eq_f32_e64 s[10:11], 0, v2
	v_cmp_gt_f32_e64 s[12:13], 0, v19
	s_xor_b64 s[12:13], s[12:13], s[10:11]
	v_cndmask_b32_e64 v3, v3, 0, s[12:13]
	v_cndmask_b32_e64 v4, 0, v2, s[6:7]
	v_bfi_b32 v3, s22, v3, v4
	s_or_b64 vcc, vcc, s[10:11]
	v_cndmask_b32_e32 v1, v1, v3, vcc
	v_cmp_o_f32_e32 vcc, v2, v2
	v_cndmask_b32_e32 v7, v5, v1, vcc
.LBB73_4:
	s_load_dwordx4 s[52:55], s[4:5], 0x70
	v_bfe_u32 v79, v0, 10, 10
	v_lshrrev_b32_e32 v6, 1, v79
	v_lshl_add_u32 v77, s8, 2, v6
	s_ashr_i32 s35, s34, 31
	s_waitcnt lgkmcnt(0)
	s_mul_i32 s6, s33, s54
	s_ashr_i32 s10, s15, 31
	s_ashr_i32 s11, s6, 31
	v_mul_hi_u32 v1, s36, v77
	s_mul_i32 s7, s34, s53
	s_add_u32 s6, s16, s6
	v_add_u32_e32 v1, v77, v1
	s_addc_u32 s11, s17, s11
	s_ashr_i32 s12, s7, 31
	v_lshrrev_b32_e32 v1, s37, v1
	s_add_u32 s13, s6, s7
	v_mul_lo_u32 v1, v1, s38
	s_addc_u32 s11, s11, s12
	v_sub_u32_e32 v35, v77, v1
	s_ashr_i32 s12, s52, 31
	v_mov_b32_e32 v1, s52
	v_alignbit_b32 v1, s12, v1, 2
	v_mad_u64_u32 v[2:3], s[6:7], v1, v35, 0
	v_mov_b32_e32 v4, v3
	s_lshr_b32 s6, s12, 2
	v_mad_u64_u32 v[4:5], s[6:7], s6, v35, v[4:5]
	v_mov_b32_e32 v3, v4
	v_and_b32_e32 v76, 0x3ff, v0
	v_lshlrev_b64 v[0:1], 2, v[2:3]
	v_mov_b32_e32 v2, s11
	v_add_co_u32_e32 v0, vcc, s13, v0
	v_addc_co_u32_e32 v1, vcc, v2, v1, vcc
	v_lshlrev_b32_e32 v2, 9, v79
	v_and_b32_e32 v2, 0x200, v2
	v_add_co_u32_e32 v0, vcc, v0, v2
	v_addc_co_u32_e32 v1, vcc, 0, v1, vcc
	v_lshlrev_b32_e32 v2, 4, v76
	v_add_co_u32_e32 v0, vcc, v0, v2
	v_addc_co_u32_e32 v1, vcc, 0, v1, vcc
	global_load_dwordx4 v[0:3], v[0:1], off
	v_lshlrev_b32_e32 v4, 7, v6
	v_lshlrev_b32_e32 v38, 6, v79
	v_and_b32_e32 v5, 64, v38
	v_lshl_add_u32 v5, v76, 1, v5
	s_mov_b32 s7, 0
	v_lshlrev_b32_e32 v78, 2, v76
	s_cmp_eq_u64 s[26:27], 0
	s_waitcnt vmcnt(0)
	v_pk_mul_f32 v[0:1], v[0:1], s[40:41] op_sel_hi:[1,0]
	v_pk_mul_f32 v[2:3], v[2:3], s[40:41] op_sel_hi:[1,0]
	v_cvt_f16_f32_e32 v6, v1
	v_cvt_f16_f32_e32 v1, v3
	;; [unrolled: 1-line block ×4, first 2 shown]
	v_add_lshl_u32 v3, v5, v4, 2
	v_pack_b32_f16 v1, v2, v1
	v_pack_b32_f16 v0, v0, v6
	ds_write_b64 v3, v[0:1] offset:17408
	s_waitcnt lgkmcnt(0)
	s_barrier
	s_cbranch_scc1 .LBB73_6
; %bb.5:
	s_load_dword s6, s[4:5], 0xd0
	s_waitcnt lgkmcnt(0)
	s_mul_i32 s6, s6, s33
	s_add_i32 s6, s6, s8
	s_lshl_b64 s[6:7], s[6:7], 2
	s_add_u32 s6, s26, s6
	s_addc_u32 s7, s27, s7
	s_load_dword s14, s[6:7], 0x0
.LBB73_6:
	s_nop 0
	s_load_dwordx2 s[6:7], s[4:5], 0x8c
	s_load_dwordx4 s[40:43], s[4:5], 0x98
	s_load_dwordx2 s[12:13], s[4:5], 0xa8
	s_ashr_i32 s22, s47, 1
	s_mul_i32 s17, s46, s48
	s_waitcnt lgkmcnt(0)
	s_ashr_i32 s15, s6, 2
	s_ashr_i32 s6, s33, 31
	s_mul_i32 s11, s33, s41
	s_mul_hi_u32 s16, s33, s40
	s_add_i32 s11, s16, s11
	s_mul_i32 s16, s6, s40
	s_ashr_i32 s8, s42, 2
	s_add_i32 s11, s11, s16
	s_mul_i32 s16, s33, s40
	s_add_u32 s16, s18, s16
	s_addc_u32 s11, s19, s11
	s_sub_i32 s17, s49, s17
	s_xor_b32 s10, s35, s10
	s_add_i32 s18, s46, 1
	s_sub_i32 s19, s17, s48
	s_cmp_ge_u32 s17, s48
	s_cselect_b32 s18, s18, s46
	s_cselect_b32 s17, s19, s17
	s_add_i32 s19, s18, 1
	s_cmp_ge_u32 s17, s48
	s_cselect_b32 s17, s19, s18
	s_xor_b32 s17, s17, s10
	s_sub_i32 s10, s17, s10
	s_mul_i32 s7, s10, s7
	s_ashr_i32 s17, s7, 31
	s_add_u32 s26, s16, s7
	s_addc_u32 s27, s11, s17
	s_mul_i32 s7, s33, s13
	s_mul_hi_u32 s11, s33, s12
	s_add_i32 s7, s11, s7
	s_mul_i32 s6, s6, s12
	s_add_i32 s7, s7, s6
	s_mul_i32 s6, s33, s12
	s_add_u32 s6, s20, s6
	s_mul_i32 s10, s10, s43
	s_addc_u32 s7, s21, s7
	s_ashr_i32 s11, s10, 31
	s_add_u32 s18, s6, s10
	s_addc_u32 s19, s7, s11
	s_lshl_b32 s20, s9, 6
	s_sub_i32 s21, s14, 64
	v_mul_lo_u32 v4, s8, v79
	s_cmp_ge_i32 s20, s21
	v_mov_b32_e32 v3, 0
	v_lshrrev_b32_e32 v39, 4, v76
	v_and_b32_e32 v6, 60, v78
	v_lshlrev_b32_e32 v34, 5, v79
	v_and_b32_e32 v36, 1, v76
	v_lshlrev_b32_e32 v80, 2, v78
	v_ashrrev_i32_e32 v5, 31, v4
	v_and_b32_e32 v69, 1, v79
	v_mbcnt_lo_u32_b32 v37, -1, 0
	s_cbranch_scc1 .LBB73_19
; %bb.7:
	v_lshl_add_u32 v1, v79, 1, v39
	v_lshlrev_b32_e32 v2, 2, v6
	s_movk_i32 s6, 0x110
	v_mad_u32_u24 v40, v1, s6, v2
	s_lshl_b32 s6, s15, 4
	v_and_b32_e32 v10, 0xff80, v38
	v_mov_b32_e32 v9, 0x4400
	s_cmp_lg_u64 s[44:45], 0
	s_movk_i32 s12, 0x3fe
	v_mul_lo_u32 v2, s15, v1
	v_and_b32_e32 v1, 32, v34
	v_lshl_add_u32 v45, v10, 2, v9
	s_cselect_b64 s[10:11], -1, 0
	v_and_or_b32 v18, v79, s12, v36
	v_add_u32_e32 v10, 0x4c00, v10
	s_lshl_b32 s12, s8, 3
	v_add_u32_e32 v12, s6, v2
	v_add_u32_e32 v8, v1, v76
	v_lshl_or_b32 v1, v1, 1, v10
	v_add_u32_e32 v20, s12, v4
	v_add_u32_e32 v14, s6, v12
	v_lshl_add_u32 v47, v76, 1, v1
	v_add_u32_e32 v22, s12, v20
	v_and_b32_e32 v1, 1, v79
	v_add_u32_e32 v16, s6, v14
	v_add_u32_e32 v24, s12, v22
	v_lshlrev_b32_e32 v53, 9, v1
	v_mov_b32_e32 v0, 0
	v_ashrrev_i32_e32 v3, 31, v2
	v_ashrrev_i32_e32 v13, 31, v12
	;; [unrolled: 1-line block ×4, first 2 shown]
	v_mul_u32_u24_e32 v44, 0x110, v8
	v_mad_u64_u32 v[8:9], s[6:7], v35, s22, v[8:9]
	v_mov_b32_e32 v11, 0x4e00
	v_lshl_add_u32 v48, v79, 9, v80
	v_ashrrev_i32_e32 v21, 31, v20
	v_ashrrev_i32_e32 v23, 31, v22
	v_ashrrev_i32_e32 v25, 31, v24
	v_lshlrev_b32_e32 v52, 3, v76
	v_lshl_or_b32 v54, v1, 1, v10
	v_or_b32_e32 v1, 0x400, v53
	v_or_b32_e32 v26, 0x800, v53
	;; [unrolled: 1-line block ×15, first 2 shown]
	s_add_u32 s12, s4, 0xd0
	v_add_u32_e32 v41, 0x1100, v40
	v_add_u32_e32 v42, 0x2200, v40
	;; [unrolled: 1-line block ×3, first 2 shown]
	v_cmp_eq_u32_e64 s[6:7], 0, v76
	v_lshl_add_u32 v9, v79, 2, v11
	v_lshl_add_u32 v46, v18, 2, v11
	v_add_u32_e32 v49, 0x1000, v48
	v_add_u32_e32 v50, 0x2000, v48
	;; [unrolled: 1-line block ×3, first 2 shown]
	s_addc_u32 s13, s5, 0
	v_mov_b32_e32 v84, 0xfeffffff
	v_lshlrev_b64 v[10:11], 2, v[2:3]
	v_lshlrev_b32_e32 v55, 2, v6
	v_lshlrev_b64 v[12:13], 2, v[12:13]
	v_lshlrev_b64 v[14:15], 2, v[14:15]
	v_lshlrev_b64 v[16:17], 2, v[16:17]
	s_mov_b32 s36, 0x3f200000
	s_mov_b32 s37, 0x3fb8aa3b
	;; [unrolled: 1-line block ×4, first 2 shown]
	v_mov_b32_e32 v56, 0xbd5c1c4e
	v_mov_b32_e32 v57, 0x3e088382
	;; [unrolled: 1-line block ×3, first 2 shown]
	s_brev_b32 s42, -2
	v_mbcnt_hi_u32_b32 v59, -1, v37
	v_lshlrev_b64 v[18:19], 2, v[4:5]
	v_lshlrev_b64 v[20:21], 2, v[20:21]
	;; [unrolled: 1-line block ×4, first 2 shown]
	v_add_u32_e32 v60, v52, v1
	v_add_u32_e32 v61, v52, v26
	;; [unrolled: 1-line block ×15, first 2 shown]
	v_mov_b32_e32 v83, 0x7f800000
	v_mov_b32_e32 v1, v0
	;; [unrolled: 1-line block ×5, first 2 shown]
.LBB73_8:                               ; =>This Inner Loop Header: Depth=1
	s_mul_hi_i32 s17, s20, s15
	s_mul_i32 s16, s20, s15
	s_lshl_b64 s[16:17], s[16:17], 2
	s_add_u32 s16, s26, s16
	s_addc_u32 s17, s27, s17
	v_mov_b32_e32 v26, s17
	v_add_co_u32_e32 v27, vcc, s16, v10
	v_addc_co_u32_e32 v28, vcc, v26, v11, vcc
	v_add_co_u32_e32 v26, vcc, v27, v55
	v_addc_co_u32_e32 v27, vcc, 0, v28, vcc
	v_mov_b32_e32 v28, s17
	v_add_co_u32_e32 v29, vcc, s16, v12
	v_addc_co_u32_e32 v30, vcc, v28, v13, vcc
	v_add_co_u32_e32 v28, vcc, v29, v55
	v_addc_co_u32_e32 v29, vcc, 0, v30, vcc
	;; [unrolled: 5-line block ×3, first 2 shown]
	v_mov_b32_e32 v32, s17
	v_add_co_u32_e32 v33, vcc, s16, v16
	v_addc_co_u32_e32 v68, vcc, v32, v17, vcc
	v_add_co_u32_e32 v32, vcc, v33, v55
	global_load_dwordx4 v[86:89], v[26:27], off
	global_load_dwordx4 v[90:93], v[28:29], off
	v_addc_co_u32_e32 v33, vcc, 0, v68, vcc
	global_load_dwordx4 v[94:97], v[30:31], off
	global_load_dwordx4 v[98:101], v[32:33], off
	v_mov_b32_e32 v68, 0
	s_waitcnt vmcnt(3)
	ds_write_b128 v40, v[86:89]
	s_waitcnt vmcnt(2)
	ds_write_b128 v41, v[90:93]
	;; [unrolled: 2-line block ×4, first 2 shown]
	s_waitcnt lgkmcnt(0)
	s_barrier
	ds_read_b128 v[86:89], v44
	ds_read_b128 v[90:93], v45
	s_waitcnt lgkmcnt(0)
	;;#ASMSTART
	v_dot2_f32_f16 v68, v86, v90, v68
	;;#ASMEND
	;;#ASMSTART
	v_dot2_f32_f16 v68, v87, v91, v68
	;;#ASMEND
	;;#ASMSTART
	v_dot2_f32_f16 v68, v88, v92, v68
	;;#ASMEND
	;;#ASMSTART
	v_dot2_f32_f16 v68, v89, v93, v68
	;;#ASMEND
	ds_read_b128 v[86:89], v44 offset:16
	ds_read_b128 v[90:93], v45 offset:16
	s_waitcnt lgkmcnt(0)
	;;#ASMSTART
	v_dot2_f32_f16 v68, v86, v90, v68
	;;#ASMEND
	;;#ASMSTART
	v_dot2_f32_f16 v68, v87, v91, v68
	;;#ASMEND
	;;#ASMSTART
	v_dot2_f32_f16 v68, v88, v92, v68
	;;#ASMEND
	;;#ASMSTART
	v_dot2_f32_f16 v68, v89, v93, v68
	;;#ASMEND
	ds_read_b128 v[86:89], v44 offset:32
	ds_read_b128 v[90:93], v45 offset:32
	;; [unrolled: 15-line block ×15, first 2 shown]
	s_waitcnt lgkmcnt(0)
	;;#ASMSTART
	v_dot2_f32_f16 v68, v86, v90, v68
	;;#ASMEND
	;;#ASMSTART
	v_dot2_f32_f16 v68, v87, v91, v68
	;;#ASMEND
	;;#ASMSTART
	v_dot2_f32_f16 v68, v88, v92, v68
	;;#ASMEND
	;;#ASMSTART
	v_dot2_f32_f16 v68, v89, v93, v68
	;;#ASMEND
	s_barrier
	global_load_dwordx4 v[86:89], v[26:27], off offset:256
	global_load_dwordx4 v[90:93], v[28:29], off offset:256
	;; [unrolled: 1-line block ×4, first 2 shown]
	s_waitcnt vmcnt(3)
	ds_write_b128 v40, v[86:89]
	s_waitcnt vmcnt(2)
	ds_write_b128 v41, v[90:93]
	;; [unrolled: 2-line block ×4, first 2 shown]
	s_waitcnt lgkmcnt(0)
	s_barrier
	ds_read_b128 v[26:29], v44
	ds_read_b128 v[30:33], v45 offset:256
	s_waitcnt lgkmcnt(0)
	;;#ASMSTART
	v_dot2_f32_f16 v68, v26, v30, v68
	;;#ASMEND
	;;#ASMSTART
	v_dot2_f32_f16 v68, v27, v31, v68
	;;#ASMEND
	;;#ASMSTART
	v_dot2_f32_f16 v68, v28, v32, v68
	;;#ASMEND
	;;#ASMSTART
	v_dot2_f32_f16 v68, v29, v33, v68
	;;#ASMEND
	ds_read_b128 v[26:29], v44 offset:16
	ds_read_b128 v[30:33], v45 offset:272
	s_waitcnt lgkmcnt(0)
	;;#ASMSTART
	v_dot2_f32_f16 v68, v26, v30, v68
	;;#ASMEND
	;;#ASMSTART
	v_dot2_f32_f16 v68, v27, v31, v68
	;;#ASMEND
	;;#ASMSTART
	v_dot2_f32_f16 v68, v28, v32, v68
	;;#ASMEND
	;;#ASMSTART
	v_dot2_f32_f16 v68, v29, v33, v68
	;;#ASMEND
	ds_read_b128 v[26:29], v44 offset:32
	;; [unrolled: 15-line block ×15, first 2 shown]
	ds_read_b128 v[30:33], v45 offset:496
	s_waitcnt lgkmcnt(0)
	;;#ASMSTART
	v_dot2_f32_f16 v68, v26, v30, v68
	;;#ASMEND
	;;#ASMSTART
	v_dot2_f32_f16 v68, v27, v31, v68
	;;#ASMEND
	;; [unrolled: 3-line block ×4, first 2 shown]
	v_cmp_nlt_f32_e64 s[16:17], |v68|, s36
                                        ; implicit-def: $vgpr27
	s_and_saveexec_b64 s[46:47], s[16:17]
	s_xor_b64 s[16:17], exec, s[46:47]
	s_cbranch_execnz .LBB73_12
; %bb.9:                                ;   in Loop: Header=BB73_8 Depth=1
	s_andn2_saveexec_b64 s[16:17], s[16:17]
	s_cbranch_execnz .LBB73_13
.LBB73_10:                              ;   in Loop: Header=BB73_8 Depth=1
	s_or_b64 exec, exec, s[16:17]
	s_andn2_b64 vcc, exec, s[10:11]
	s_cbranch_vccnz .LBB73_14
.LBB73_11:                              ;   in Loop: Header=BB73_8 Depth=1
	v_add_u32_e32 v28, s20, v8
	v_ashrrev_i32_e32 v29, 31, v28
	v_lshlrev_b64 v[28:29], 1, v[28:29]
	v_mov_b32_e32 v26, s45
	v_add_co_u32_e32 v28, vcc, s44, v28
	v_addc_co_u32_e32 v29, vcc, v26, v29, vcc
	flat_load_ushort v26, v[28:29]
	s_waitcnt vmcnt(0) lgkmcnt(0)
	v_cvt_f32_f16_e32 v26, v26
	v_mul_f32_e32 v26, v7, v26
	s_branch .LBB73_15
.LBB73_12:                              ;   in Loop: Header=BB73_8 Depth=1
	v_add_f32_e64 v26, |v68|, |v68|
	v_mul_f32_e32 v27, 0x3fb8aa3b, v26
	v_rndne_f32_e32 v28, v27
	v_sub_f32_e32 v29, v27, v28
	v_fma_f32 v27, v26, s37, -v27
	v_fmac_f32_e32 v27, 0x32a5705f, v26
	v_add_f32_e32 v27, v29, v27
	v_cvt_i32_f32_e32 v28, v28
	v_exp_f32_e32 v27, v27
	v_cmp_ngt_f32_e32 vcc, s40, v26
	v_ldexp_f32 v27, v27, v28
	v_cndmask_b32_e32 v27, 0, v27, vcc
	v_cmp_nlt_f32_e32 vcc, s41, v26
	v_cndmask_b32_e32 v26, v83, v27, vcc
	v_add_f32_e32 v26, 1.0, v26
	v_rcp_f32_e32 v26, v26
	v_fma_f32 v27, v26, -2.0, 1.0
	s_andn2_saveexec_b64 s[16:17], s[16:17]
	s_cbranch_execz .LBB73_10
.LBB73_13:                              ;   in Loop: Header=BB73_8 Depth=1
	v_mul_f32_e32 v26, v68, v68
	v_mov_b32_e32 v27, 0x3ca908c9
	v_fmac_f32_e32 v27, 0xbbbac73d, v26
	v_fma_f32 v27, v26, v27, v56
	v_fma_f32 v27, v26, v27, v57
	;; [unrolled: 1-line block ×3, first 2 shown]
	v_mul_f32_e64 v27, |v68|, v27
	v_fma_f32 v27, v26, v27, |v68|
	s_or_b64 exec, exec, s[16:17]
	s_andn2_b64 vcc, exec, s[10:11]
	s_cbranch_vccz .LBB73_11
.LBB73_14:                              ;   in Loop: Header=BB73_8 Depth=1
	v_mov_b32_e32 v26, 0
.LBB73_15:                              ;   in Loop: Header=BB73_8 Depth=1
	v_bfi_b32 v27, s42, v27, v68
	v_fmac_f32_e32 v26, s23, v27
	v_add_f32_e32 v27, 0x40051340, v26
	v_max_f32_e32 v28, v84, v84
	v_max_f32_e32 v27, v28, v27
	v_and_b32_e32 v28, 0x60, v59
	v_add_u32_e32 v29, 32, v28
	v_xor_b32_e32 v28, 16, v59
	v_cmp_lt_i32_e32 vcc, v28, v29
	v_cndmask_b32_e32 v28, v59, v28, vcc
	v_lshlrev_b32_e32 v28, 2, v28
	ds_bpermute_b32 v28, v28, v27
	s_waitcnt lgkmcnt(0)
	v_max_f32_e32 v28, v28, v28
	v_max_f32_e32 v27, v27, v28
	v_xor_b32_e32 v28, 8, v59
	v_cmp_lt_i32_e32 vcc, v28, v29
	v_cndmask_b32_e32 v28, v59, v28, vcc
	v_lshlrev_b32_e32 v28, 2, v28
	ds_bpermute_b32 v28, v28, v27
	s_waitcnt lgkmcnt(0)
	v_max_f32_e32 v28, v28, v28
	v_max_f32_e32 v27, v27, v28
	;; [unrolled: 8-line block ×4, first 2 shown]
	v_xor_b32_e32 v27, 1, v59
	v_cmp_lt_i32_e32 vcc, v27, v29
	v_cndmask_b32_e32 v29, v59, v27, vcc
	v_lshlrev_b32_e32 v29, 2, v29
	ds_bpermute_b32 v29, v29, v28
	s_and_saveexec_b64 s[16:17], s[6:7]
	s_cbranch_execz .LBB73_17
; %bb.16:                               ;   in Loop: Header=BB73_8 Depth=1
	s_waitcnt lgkmcnt(0)
	v_max_f32_e32 v29, v29, v29
	v_max_f32_e32 v28, v28, v28
	;; [unrolled: 1-line block ×3, first 2 shown]
	ds_write_b32 v9, v28
.LBB73_17:                              ;   in Loop: Header=BB73_8 Depth=1
	s_or_b64 exec, exec, s[16:17]
	s_waitcnt lgkmcnt(0)
	s_barrier
	ds_read_b32 v28, v46
	v_and_b32_e32 v29, 0x7e, v59
	v_add_u32_e32 v29, 2, v29
	v_cmp_lt_i32_e32 vcc, v27, v29
	v_cndmask_b32_e32 v27, v59, v27, vcc
	v_lshlrev_b32_e32 v27, 2, v27
	s_waitcnt lgkmcnt(0)
	ds_bpermute_b32 v27, v27, v28
	v_max_f32_e32 v28, v28, v28
	s_mul_hi_i32 s17, s20, s8
	s_mul_i32 s16, s20, s8
	s_lshl_b64 s[16:17], s[16:17], 2
	s_waitcnt lgkmcnt(0)
	v_max_f32_e32 v27, v27, v27
	v_max_f32_e32 v68, v28, v27
	v_sub_f32_e32 v27, v84, v68
	v_mul_f32_e32 v28, 0x3fb8aa3b, v27
	v_fma_f32 v29, v27, s37, -v28
	v_rndne_f32_e32 v30, v28
	v_fmac_f32_e32 v29, 0x32a5705f, v27
	v_sub_f32_e32 v28, v28, v30
	v_add_f32_e32 v28, v28, v29
	v_exp_f32_e32 v28, v28
	v_cvt_i32_f32_e32 v29, v30
	v_cmp_ngt_f32_e32 vcc, s40, v27
	v_sub_f32_e32 v26, v26, v68
	s_add_u32 s16, s18, s16
	v_ldexp_f32 v28, v28, v29
	v_cndmask_b32_e32 v28, 0, v28, vcc
	v_cmp_nlt_f32_e32 vcc, s41, v27
	v_cndmask_b32_e32 v27, v83, v28, vcc
	v_mul_f32_e32 v28, 0x3fb8aa3b, v26
	v_fma_f32 v29, v26, s37, -v28
	v_rndne_f32_e32 v30, v28
	v_fmac_f32_e32 v29, 0x32a5705f, v26
	v_sub_f32_e32 v28, v28, v30
	v_add_f32_e32 v28, v28, v29
	v_exp_f32_e32 v28, v28
	v_cvt_i32_f32_e32 v29, v30
	v_cvt_f16_f32_e32 v30, v27
	v_cmp_ngt_f32_e32 vcc, s40, v26
	s_addc_u32 s17, s19, s17
	v_ldexp_f32 v28, v28, v29
	v_cndmask_b32_e32 v28, 0, v28, vcc
	v_cmp_nlt_f32_e32 vcc, s41, v26
	v_cndmask_b32_e32 v26, v83, v28, vcc
	v_pk_mul_f16 v31, v2, v30 op_sel_hi:[1,0]
	v_cvt_f16_f32_e32 v2, v26
	v_pk_mul_f16 v32, v30, v3 op_sel_hi:[0,1]
	v_mov_b32_e32 v3, s17
	v_fma_f32 v81, v81, v27, v26
	ds_write_b16 v47, v2
	v_add_co_u32_e32 v2, vcc, s16, v18
	v_addc_co_u32_e32 v3, vcc, v3, v19, vcc
	v_add_co_u32_e32 v2, vcc, v2, v80
	v_addc_co_u32_e32 v3, vcc, 0, v3, vcc
	global_load_dwordx4 v[26:29], v[2:3], off
	v_add_co_u32_e32 v2, vcc, s16, v20
	v_mov_b32_e32 v3, s17
	v_addc_co_u32_e32 v3, vcc, v3, v21, vcc
	v_add_co_u32_e32 v2, vcc, v2, v80
	v_addc_co_u32_e32 v3, vcc, 0, v3, vcc
	v_add_u32_e32 v33, v52, v53
	s_waitcnt vmcnt(0)
	ds_write_b128 v48, v[26:29]
	global_load_dwordx4 v[26:29], v[2:3], off
	v_add_co_u32_e32 v2, vcc, s16, v22
	v_mov_b32_e32 v3, s17
	v_addc_co_u32_e32 v3, vcc, v3, v23, vcc
	v_add_co_u32_e32 v2, vcc, v2, v80
	v_addc_co_u32_e32 v3, vcc, 0, v3, vcc
	s_waitcnt vmcnt(0)
	ds_write_b128 v49, v[26:29]
	global_load_dwordx4 v[26:29], v[2:3], off
	v_add_co_u32_e32 v2, vcc, s16, v24
	v_mov_b32_e32 v3, s17
	v_addc_co_u32_e32 v3, vcc, v3, v25, vcc
	v_add_co_u32_e32 v2, vcc, v2, v80
	v_addc_co_u32_e32 v3, vcc, 0, v3, vcc
	s_or_b32 s16, s20, 32
	s_mul_hi_i32 s17, s16, s8
	s_mul_i32 s16, s16, s8
	s_lshl_b64 s[16:17], s[16:17], 2
	s_add_u32 s16, s18, s16
	s_addc_u32 s17, s19, s17
	s_waitcnt vmcnt(0)
	ds_write_b128 v50, v[26:29]
	global_load_dwordx4 v[26:29], v[2:3], off
	s_waitcnt vmcnt(0)
	ds_write_b128 v51, v[26:29]
	s_waitcnt lgkmcnt(0)
	s_barrier
	ds_read2_b64 v[26:29], v33 offset1:32
	ds_read_u16 v2, v54
	ds_read_u16 v84, v54 offset:4
	ds_read_u16 v85, v54 offset:8
	;; [unrolled: 1-line block ×15, first 2 shown]
	s_waitcnt lgkmcnt(14)
	v_pk_mul_f16 v3, v26, v2 op_sel_hi:[1,0]
	v_pk_fma_f16 v26, v0, v30, v3 op_sel_hi:[1,0,1]
	v_pk_mul_f16 v0, v27, v2 op_sel_hi:[1,0]
	v_pk_fma_f16 v27, v1, v30, v0 op_sel_hi:[1,0,1]
	v_pk_fma_f16 v28, v28, v2, v31 op_sel_hi:[1,0,1]
	v_pk_fma_f16 v29, v29, v2, v32 op_sel_hi:[1,0,1]
	ds_read2_b64 v[0:3], v60 offset1:32
	s_waitcnt lgkmcnt(0)
	v_pk_fma_f16 v26, v0, v84, v26 op_sel_hi:[1,0,1]
	v_pk_fma_f16 v27, v1, v84, v27 op_sel_hi:[1,0,1]
	v_pk_fma_f16 v28, v2, v84, v28 op_sel_hi:[1,0,1]
	v_pk_fma_f16 v29, v3, v84, v29 op_sel_hi:[1,0,1]
	ds_read2_b64 v[0:3], v61 offset1:32
	s_waitcnt lgkmcnt(0)
	v_pk_fma_f16 v26, v0, v85, v26 op_sel_hi:[1,0,1]
	;; [unrolled: 6-line block ×14, first 2 shown]
	v_pk_fma_f16 v27, v1, v97, v27 op_sel_hi:[1,0,1]
	v_pk_fma_f16 v28, v2, v97, v28 op_sel_hi:[1,0,1]
	v_pk_fma_f16 v29, v3, v97, v29 op_sel_hi:[1,0,1]
	ds_read2_b64 v[0:3], v82 offset1:32
	s_waitcnt lgkmcnt(0)
	s_barrier
	v_pk_fma_f16 v26, v0, v98, v26 op_sel_hi:[1,0,1]
	v_pk_fma_f16 v27, v1, v98, v27 op_sel_hi:[1,0,1]
	v_add_co_u32_e32 v0, vcc, s16, v18
	v_mov_b32_e32 v1, s17
	v_addc_co_u32_e32 v1, vcc, v1, v19, vcc
	v_add_co_u32_e32 v0, vcc, v0, v80
	v_addc_co_u32_e32 v1, vcc, 0, v1, vcc
	v_pk_fma_f16 v28, v2, v98, v28 op_sel_hi:[1,0,1]
	v_pk_fma_f16 v29, v3, v98, v29 op_sel_hi:[1,0,1]
	global_load_dwordx4 v[0:3], v[0:1], off
	s_waitcnt vmcnt(0)
	ds_write_b128 v48, v[0:3]
	v_add_co_u32_e32 v0, vcc, s16, v20
	v_mov_b32_e32 v1, s17
	v_addc_co_u32_e32 v1, vcc, v1, v21, vcc
	v_add_co_u32_e32 v0, vcc, v0, v80
	v_addc_co_u32_e32 v1, vcc, 0, v1, vcc
	global_load_dwordx4 v[0:3], v[0:1], off
	s_waitcnt vmcnt(0)
	ds_write_b128 v49, v[0:3]
	v_add_co_u32_e32 v0, vcc, s16, v22
	v_mov_b32_e32 v1, s17
	v_addc_co_u32_e32 v1, vcc, v1, v23, vcc
	v_add_co_u32_e32 v0, vcc, v0, v80
	v_addc_co_u32_e32 v1, vcc, 0, v1, vcc
	;; [unrolled: 8-line block ×3, first 2 shown]
	global_load_dwordx4 v[0:3], v[0:1], off
	s_waitcnt vmcnt(0)
	ds_write_b128 v51, v[0:3]
	s_waitcnt lgkmcnt(0)
	s_barrier
	ds_read2_b64 v[0:3], v33 offset1:32
	ds_read_u16 v30, v54 offset:64
	ds_read_u16 v31, v54 offset:68
	;; [unrolled: 1-line block ×16, first 2 shown]
	s_waitcnt lgkmcnt(14)
	v_pk_fma_f16 v26, v0, v30, v26 op_sel_hi:[1,0,1]
	v_pk_fma_f16 v27, v1, v30, v27 op_sel_hi:[1,0,1]
	v_pk_fma_f16 v28, v2, v30, v28 op_sel_hi:[1,0,1]
	v_pk_fma_f16 v29, v3, v30, v29 op_sel_hi:[1,0,1]
	ds_read2_b64 v[0:3], v60 offset1:32
	s_waitcnt lgkmcnt(0)
	v_pk_fma_f16 v26, v0, v31, v26 op_sel_hi:[1,0,1]
	v_pk_fma_f16 v27, v1, v31, v27 op_sel_hi:[1,0,1]
	v_pk_fma_f16 v28, v2, v31, v28 op_sel_hi:[1,0,1]
	v_pk_fma_f16 v29, v3, v31, v29 op_sel_hi:[1,0,1]
	ds_read2_b64 v[0:3], v61 offset1:32
	;; [unrolled: 6-line block ×15, first 2 shown]
	s_waitcnt lgkmcnt(0)
	s_barrier
	s_load_dword s16, s[12:13], 0x4
	v_pk_fma_f16 v0, v0, v95, v26 op_sel_hi:[1,0,1]
	v_pk_fma_f16 v1, v1, v95, v27 op_sel_hi:[1,0,1]
	;; [unrolled: 1-line block ×4, first 2 shown]
	s_waitcnt lgkmcnt(0)
	s_lshl_b32 s16, s16, 6
	s_add_i32 s20, s16, s20
	s_cmp_lt_i32 s20, s21
	s_cbranch_scc0 .LBB73_20
; %bb.18:                               ;   in Loop: Header=BB73_8 Depth=1
	v_mov_b32_e32 v84, v68
	s_branch .LBB73_8
.LBB73_19:
	v_mov_b32_e32 v68, 0xfeffffff
	v_mov_b32_e32 v81, 0
	;; [unrolled: 1-line block ×5, first 2 shown]
.LBB73_20:
	v_lshlrev_b32_e32 v82, 7, v79
	s_cmp_gt_i32 s14, s20
	s_cbranch_scc1 .LBB73_22
; %bb.21:
	v_mbcnt_hi_u32_b32 v83, -1, v37
	v_and_b32_e32 v8, 0x60, v83
	v_add_u32_e32 v84, 32, v8
	v_xor_b32_e32 v85, 16, v83
	v_xor_b32_e32 v86, 8, v83
	;; [unrolled: 1-line block ×5, first 2 shown]
	v_and_b32_e32 v8, 1, v79
	s_cbranch_execz .LBB73_23
	s_branch .LBB73_35
.LBB73_22:
                                        ; implicit-def: $vgpr83
                                        ; implicit-def: $vgpr84
                                        ; implicit-def: $vgpr85
                                        ; implicit-def: $vgpr86
                                        ; implicit-def: $vgpr87
                                        ; implicit-def: $vgpr88
                                        ; implicit-def: $vgpr89
                                        ; implicit-def: $vgpr8
.LBB73_23:
	s_mul_hi_i32 s7, s20, s15
	s_mul_i32 s6, s20, s15
	v_lshl_add_u32 v16, v79, 1, v39
	s_sub_i32 s16, s14, s20
	s_lshl_b64 s[6:7], s[6:7], 2
	v_mul_lo_u32 v12, s15, v16
	s_add_u32 s14, s26, s6
	v_ashrrev_i32_e32 v13, 31, v12
	s_addc_u32 s17, s27, s7
	v_lshlrev_b64 v[8:9], 2, v[12:13]
	v_mov_b32_e32 v10, s17
	v_add_co_u32_e32 v8, vcc, s14, v8
	v_lshlrev_b32_e32 v6, 2, v6
	v_addc_co_u32_e32 v9, vcc, v10, v9, vcc
	v_add_co_u32_e32 v20, vcc, v8, v6
	s_mov_b64 s[6:7], src_private_base
	v_addc_co_u32_e32 v21, vcc, 0, v9, vcc
	v_mov_b32_e32 v22, 0
	v_mov_b32_e32 v23, s7
	v_cmp_gt_i32_e32 vcc, s16, v16
	v_mov_b32_e32 v24, 0
	buffer_store_dword v22, off, s[0:3], 0
	buffer_store_dword v22, off, s[0:3], 0 offset:8
	buffer_store_dword v22, off, s[0:3], 0 offset:4
	;; [unrolled: 1-line block ×3, first 2 shown]
	v_cndmask_b32_e32 v9, v23, v21, vcc
	v_cndmask_b32_e32 v8, v24, v20, vcc
	flat_load_dwordx4 v[8:11], v[8:9]
	s_lshl_b32 s15, s15, 4
	v_add_u32_e32 v12, s15, v12
	v_ashrrev_i32_e32 v13, 31, v12
	s_movk_i32 s6, 0x110
	v_lshlrev_b64 v[14:15], 2, v[12:13]
	v_mad_u32_u24 v25, v16, s6, v6
	v_mov_b32_e32 v18, s17
	v_add_co_u32_e64 v13, s[6:7], s14, v14
	v_addc_co_u32_e64 v14, s[6:7], v18, v15, s[6:7]
	v_add_co_u32_e64 v26, s[6:7], v13, v6
	v_add_u32_e32 v17, 16, v16
	v_addc_co_u32_e64 v27, s[6:7], 0, v14, s[6:7]
	v_cmp_gt_i32_e64 s[6:7], s16, v17
	buffer_store_dword v22, off, s[0:3], 0
	buffer_store_dword v22, off, s[0:3], 0 offset:8
	buffer_store_dword v22, off, s[0:3], 0 offset:4
	;; [unrolled: 1-line block ×3, first 2 shown]
	v_cndmask_b32_e64 v15, v23, v27, s[6:7]
	v_cndmask_b32_e64 v14, v24, v26, s[6:7]
	v_add_u32_e32 v12, s15, v12
	v_ashrrev_i32_e32 v13, 31, v12
	v_add_u32_e32 v17, 32, v16
	v_cmp_gt_i32_e64 s[12:13], s16, v17
	s_waitcnt vmcnt(0) lgkmcnt(0)
	ds_write_b128 v25, v[8:11]
	flat_load_dwordx4 v[8:11], v[14:15]
	v_lshlrev_b64 v[14:15], 2, v[12:13]
	v_add_co_u32_e64 v13, s[10:11], s14, v14
	v_addc_co_u32_e64 v14, s[10:11], v18, v15, s[10:11]
	v_add_co_u32_e64 v28, s[10:11], v13, v6
	v_addc_co_u32_e64 v29, s[10:11], 0, v14, s[10:11]
	v_cndmask_b32_e64 v15, v23, v29, s[12:13]
	v_cndmask_b32_e64 v14, v24, v28, s[12:13]
	buffer_store_dword v22, off, s[0:3], 0
	buffer_store_dword v22, off, s[0:3], 0 offset:8
	buffer_store_dword v22, off, s[0:3], 0 offset:4
	;; [unrolled: 1-line block ×3, first 2 shown]
	v_add_u32_e32 v12, s15, v12
	v_ashrrev_i32_e32 v13, 31, v12
	v_lshlrev_b64 v[12:13], 2, v[12:13]
	v_add_co_u32_e64 v12, s[10:11], s14, v12
	s_waitcnt vmcnt(0) lgkmcnt(0)
	ds_write_b128 v25, v[8:11] offset:4352
	flat_load_dwordx4 v[8:11], v[14:15]
	v_mov_b32_e32 v15, s17
	v_addc_co_u32_e64 v13, s[10:11], v15, v13, s[10:11]
	v_add_co_u32_e64 v30, s[10:11], v12, v6
	v_add_u32_e32 v14, 48, v16
	v_addc_co_u32_e64 v31, s[10:11], 0, v13, s[10:11]
	v_cmp_gt_i32_e64 s[10:11], s16, v14
	v_cndmask_b32_e64 v13, v23, v31, s[10:11]
	v_cndmask_b32_e64 v12, v24, v30, s[10:11]
	buffer_store_dword v22, off, s[0:3], 0
	buffer_store_dword v22, off, s[0:3], 0 offset:8
	buffer_store_dword v22, off, s[0:3], 0 offset:4
	;; [unrolled: 1-line block ×3, first 2 shown]
	v_and_b32_e32 v6, 32, v34
	v_add_u32_e32 v6, v6, v76
	s_movk_i32 s17, 0x100
	s_waitcnt vmcnt(0) lgkmcnt(0)
	ds_write_b128 v25, v[8:11] offset:8704
	flat_load_dwordx4 v[12:15], v[12:13]
	v_and_b32_e32 v8, 0xff80, v38
	v_mul_u32_u24_e32 v10, 0x110, v6
	v_lshlrev_b32_e32 v9, 2, v8
	v_mov_b32_e32 v8, 0
	v_add_co_u32_e64 v11, s[14:15], s17, v20
	v_addc_co_u32_e64 v21, s[14:15], 0, v21, s[14:15]
	v_cndmask_b32_e32 v20, v24, v11, vcc
	v_cndmask_b32_e32 v21, v23, v21, vcc
	v_add_co_u32_e32 v11, vcc, s17, v26
	s_waitcnt vmcnt(0) lgkmcnt(0)
	ds_write_b128 v25, v[12:15] offset:13056
	s_waitcnt lgkmcnt(0)
	s_barrier
	ds_read_b128 v[12:15], v10
	ds_read_b128 v[16:19], v9 offset:17408
	s_waitcnt lgkmcnt(0)
	;;#ASMSTART
	v_dot2_f32_f16 v8, v12, v16, v8
	;;#ASMEND
	;;#ASMSTART
	v_dot2_f32_f16 v8, v13, v17, v8
	;;#ASMEND
	;;#ASMSTART
	v_dot2_f32_f16 v8, v14, v18, v8
	;;#ASMEND
	;;#ASMSTART
	v_dot2_f32_f16 v8, v15, v19, v8
	;;#ASMEND
	ds_read_b128 v[12:15], v10 offset:16
	ds_read_b128 v[16:19], v9 offset:17424
	s_waitcnt lgkmcnt(0)
	;;#ASMSTART
	v_dot2_f32_f16 v8, v12, v16, v8
	;;#ASMEND
	;;#ASMSTART
	v_dot2_f32_f16 v8, v13, v17, v8
	;;#ASMEND
	;;#ASMSTART
	v_dot2_f32_f16 v8, v14, v18, v8
	;;#ASMEND
	;;#ASMSTART
	v_dot2_f32_f16 v8, v15, v19, v8
	;;#ASMEND
	ds_read_b128 v[12:15], v10 offset:32
	ds_read_b128 v[16:19], v9 offset:17440
	s_waitcnt lgkmcnt(0)
	;;#ASMSTART
	v_dot2_f32_f16 v8, v12, v16, v8
	;;#ASMEND
	;;#ASMSTART
	v_dot2_f32_f16 v8, v13, v17, v8
	;;#ASMEND
	;;#ASMSTART
	v_dot2_f32_f16 v8, v14, v18, v8
	;;#ASMEND
	;;#ASMSTART
	v_dot2_f32_f16 v8, v15, v19, v8
	;;#ASMEND
	ds_read_b128 v[12:15], v10 offset:48
	ds_read_b128 v[16:19], v9 offset:17456
	s_waitcnt lgkmcnt(0)
	;;#ASMSTART
	v_dot2_f32_f16 v8, v12, v16, v8
	;;#ASMEND
	;;#ASMSTART
	v_dot2_f32_f16 v8, v13, v17, v8
	;;#ASMEND
	;;#ASMSTART
	v_dot2_f32_f16 v8, v14, v18, v8
	;;#ASMEND
	;;#ASMSTART
	v_dot2_f32_f16 v8, v15, v19, v8
	;;#ASMEND
	ds_read_b128 v[12:15], v10 offset:64
	ds_read_b128 v[16:19], v9 offset:17472
	s_waitcnt lgkmcnt(0)
	;;#ASMSTART
	v_dot2_f32_f16 v8, v12, v16, v8
	;;#ASMEND
	;;#ASMSTART
	v_dot2_f32_f16 v8, v13, v17, v8
	;;#ASMEND
	;;#ASMSTART
	v_dot2_f32_f16 v8, v14, v18, v8
	;;#ASMEND
	;;#ASMSTART
	v_dot2_f32_f16 v8, v15, v19, v8
	;;#ASMEND
	ds_read_b128 v[12:15], v10 offset:80
	ds_read_b128 v[16:19], v9 offset:17488
	s_waitcnt lgkmcnt(0)
	;;#ASMSTART
	v_dot2_f32_f16 v8, v12, v16, v8
	;;#ASMEND
	;;#ASMSTART
	v_dot2_f32_f16 v8, v13, v17, v8
	;;#ASMEND
	;;#ASMSTART
	v_dot2_f32_f16 v8, v14, v18, v8
	;;#ASMEND
	;;#ASMSTART
	v_dot2_f32_f16 v8, v15, v19, v8
	;;#ASMEND
	ds_read_b128 v[12:15], v10 offset:96
	ds_read_b128 v[16:19], v9 offset:17504
	s_waitcnt lgkmcnt(0)
	;;#ASMSTART
	v_dot2_f32_f16 v8, v12, v16, v8
	;;#ASMEND
	;;#ASMSTART
	v_dot2_f32_f16 v8, v13, v17, v8
	;;#ASMEND
	;;#ASMSTART
	v_dot2_f32_f16 v8, v14, v18, v8
	;;#ASMEND
	;;#ASMSTART
	v_dot2_f32_f16 v8, v15, v19, v8
	;;#ASMEND
	ds_read_b128 v[12:15], v10 offset:112
	ds_read_b128 v[16:19], v9 offset:17520
	s_waitcnt lgkmcnt(0)
	;;#ASMSTART
	v_dot2_f32_f16 v8, v12, v16, v8
	;;#ASMEND
	;;#ASMSTART
	v_dot2_f32_f16 v8, v13, v17, v8
	;;#ASMEND
	;;#ASMSTART
	v_dot2_f32_f16 v8, v14, v18, v8
	;;#ASMEND
	;;#ASMSTART
	v_dot2_f32_f16 v8, v15, v19, v8
	;;#ASMEND
	ds_read_b128 v[12:15], v10 offset:128
	ds_read_b128 v[16:19], v9 offset:17536
	s_waitcnt lgkmcnt(0)
	;;#ASMSTART
	v_dot2_f32_f16 v8, v12, v16, v8
	;;#ASMEND
	;;#ASMSTART
	v_dot2_f32_f16 v8, v13, v17, v8
	;;#ASMEND
	;;#ASMSTART
	v_dot2_f32_f16 v8, v14, v18, v8
	;;#ASMEND
	;;#ASMSTART
	v_dot2_f32_f16 v8, v15, v19, v8
	;;#ASMEND
	ds_read_b128 v[12:15], v10 offset:144
	ds_read_b128 v[16:19], v9 offset:17552
	s_waitcnt lgkmcnt(0)
	;;#ASMSTART
	v_dot2_f32_f16 v8, v12, v16, v8
	;;#ASMEND
	;;#ASMSTART
	v_dot2_f32_f16 v8, v13, v17, v8
	;;#ASMEND
	;;#ASMSTART
	v_dot2_f32_f16 v8, v14, v18, v8
	;;#ASMEND
	;;#ASMSTART
	v_dot2_f32_f16 v8, v15, v19, v8
	;;#ASMEND
	ds_read_b128 v[12:15], v10 offset:160
	ds_read_b128 v[16:19], v9 offset:17568
	s_waitcnt lgkmcnt(0)
	;;#ASMSTART
	v_dot2_f32_f16 v8, v12, v16, v8
	;;#ASMEND
	;;#ASMSTART
	v_dot2_f32_f16 v8, v13, v17, v8
	;;#ASMEND
	;;#ASMSTART
	v_dot2_f32_f16 v8, v14, v18, v8
	;;#ASMEND
	;;#ASMSTART
	v_dot2_f32_f16 v8, v15, v19, v8
	;;#ASMEND
	ds_read_b128 v[12:15], v10 offset:176
	ds_read_b128 v[16:19], v9 offset:17584
	s_waitcnt lgkmcnt(0)
	;;#ASMSTART
	v_dot2_f32_f16 v8, v12, v16, v8
	;;#ASMEND
	;;#ASMSTART
	v_dot2_f32_f16 v8, v13, v17, v8
	;;#ASMEND
	;;#ASMSTART
	v_dot2_f32_f16 v8, v14, v18, v8
	;;#ASMEND
	;;#ASMSTART
	v_dot2_f32_f16 v8, v15, v19, v8
	;;#ASMEND
	ds_read_b128 v[12:15], v10 offset:192
	ds_read_b128 v[16:19], v9 offset:17600
	s_waitcnt lgkmcnt(0)
	;;#ASMSTART
	v_dot2_f32_f16 v8, v12, v16, v8
	;;#ASMEND
	;;#ASMSTART
	v_dot2_f32_f16 v8, v13, v17, v8
	;;#ASMEND
	;;#ASMSTART
	v_dot2_f32_f16 v8, v14, v18, v8
	;;#ASMEND
	;;#ASMSTART
	v_dot2_f32_f16 v8, v15, v19, v8
	;;#ASMEND
	ds_read_b128 v[12:15], v10 offset:208
	ds_read_b128 v[16:19], v9 offset:17616
	s_waitcnt lgkmcnt(0)
	;;#ASMSTART
	v_dot2_f32_f16 v8, v12, v16, v8
	;;#ASMEND
	;;#ASMSTART
	v_dot2_f32_f16 v8, v13, v17, v8
	;;#ASMEND
	;;#ASMSTART
	v_dot2_f32_f16 v8, v14, v18, v8
	;;#ASMEND
	;;#ASMSTART
	v_dot2_f32_f16 v8, v15, v19, v8
	;;#ASMEND
	ds_read_b128 v[12:15], v10 offset:224
	ds_read_b128 v[16:19], v9 offset:17632
	s_waitcnt lgkmcnt(0)
	;;#ASMSTART
	v_dot2_f32_f16 v8, v12, v16, v8
	;;#ASMEND
	;;#ASMSTART
	v_dot2_f32_f16 v8, v13, v17, v8
	;;#ASMEND
	;;#ASMSTART
	v_dot2_f32_f16 v8, v14, v18, v8
	;;#ASMEND
	;;#ASMSTART
	v_dot2_f32_f16 v8, v15, v19, v8
	;;#ASMEND
	ds_read_b128 v[12:15], v10 offset:240
	ds_read_b128 v[16:19], v9 offset:17648
	s_waitcnt lgkmcnt(0)
	;;#ASMSTART
	v_dot2_f32_f16 v8, v12, v16, v8
	;;#ASMEND
	;;#ASMSTART
	v_dot2_f32_f16 v8, v13, v17, v8
	;;#ASMEND
	;; [unrolled: 3-line block ×4, first 2 shown]
	s_barrier
	buffer_store_dword v22, off, s[0:3], 0
	buffer_store_dword v22, off, s[0:3], 0 offset:8
	buffer_store_dword v22, off, s[0:3], 0 offset:4
	;; [unrolled: 1-line block ×3, first 2 shown]
	flat_load_dwordx4 v[12:15], v[20:21]
	v_addc_co_u32_e32 v16, vcc, 0, v27, vcc
	v_cndmask_b32_e64 v17, v23, v16, s[6:7]
	v_cndmask_b32_e64 v16, v24, v11, s[6:7]
	buffer_store_dword v22, off, s[0:3], 0
	buffer_store_dword v22, off, s[0:3], 0 offset:8
	buffer_store_dword v22, off, s[0:3], 0 offset:4
	;; [unrolled: 1-line block ×3, first 2 shown]
	v_add_co_u32_e32 v11, vcc, s17, v28
	s_mov_b32 s6, 0x3f200000
	s_waitcnt vmcnt(0) lgkmcnt(0)
	ds_write_b128 v25, v[12:15]
	flat_load_dwordx4 v[12:15], v[16:17]
	v_addc_co_u32_e32 v16, vcc, 0, v29, vcc
	v_cndmask_b32_e64 v17, v23, v16, s[12:13]
	v_cndmask_b32_e64 v16, v24, v11, s[12:13]
	buffer_store_dword v22, off, s[0:3], 0
	buffer_store_dword v22, off, s[0:3], 0 offset:8
	buffer_store_dword v22, off, s[0:3], 0 offset:4
	;; [unrolled: 1-line block ×3, first 2 shown]
	v_add_co_u32_e32 v11, vcc, s17, v30
	s_waitcnt vmcnt(0) lgkmcnt(0)
	ds_write_b128 v25, v[12:15] offset:4352
	flat_load_dwordx4 v[12:15], v[16:17]
	v_addc_co_u32_e32 v16, vcc, 0, v31, vcc
	v_cndmask_b32_e64 v17, v23, v16, s[10:11]
	v_cndmask_b32_e64 v16, v24, v11, s[10:11]
	buffer_store_dword v22, off, s[0:3], 0
	buffer_store_dword v22, off, s[0:3], 0 offset:8
	buffer_store_dword v22, off, s[0:3], 0 offset:4
	;; [unrolled: 1-line block ×3, first 2 shown]
	s_waitcnt vmcnt(0) lgkmcnt(0)
	ds_write_b128 v25, v[12:15] offset:8704
	flat_load_dwordx4 v[12:15], v[16:17]
	s_waitcnt vmcnt(0) lgkmcnt(0)
	ds_write_b128 v25, v[12:15] offset:13056
	s_waitcnt lgkmcnt(0)
	s_barrier
	ds_read_b128 v[12:15], v10
	ds_read_b128 v[16:19], v9 offset:17664
	s_waitcnt lgkmcnt(0)
	;;#ASMSTART
	v_dot2_f32_f16 v8, v12, v16, v8
	;;#ASMEND
	;;#ASMSTART
	v_dot2_f32_f16 v8, v13, v17, v8
	;;#ASMEND
	;;#ASMSTART
	v_dot2_f32_f16 v8, v14, v18, v8
	;;#ASMEND
	;;#ASMSTART
	v_dot2_f32_f16 v8, v15, v19, v8
	;;#ASMEND
	ds_read_b128 v[12:15], v10 offset:16
	ds_read_b128 v[16:19], v9 offset:17680
	s_waitcnt lgkmcnt(0)
	;;#ASMSTART
	v_dot2_f32_f16 v8, v12, v16, v8
	;;#ASMEND
	;;#ASMSTART
	v_dot2_f32_f16 v8, v13, v17, v8
	;;#ASMEND
	;;#ASMSTART
	v_dot2_f32_f16 v8, v14, v18, v8
	;;#ASMEND
	;;#ASMSTART
	v_dot2_f32_f16 v8, v15, v19, v8
	;;#ASMEND
	ds_read_b128 v[12:15], v10 offset:32
	ds_read_b128 v[16:19], v9 offset:17696
	s_waitcnt lgkmcnt(0)
	;;#ASMSTART
	v_dot2_f32_f16 v8, v12, v16, v8
	;;#ASMEND
	;;#ASMSTART
	v_dot2_f32_f16 v8, v13, v17, v8
	;;#ASMEND
	;;#ASMSTART
	v_dot2_f32_f16 v8, v14, v18, v8
	;;#ASMEND
	;;#ASMSTART
	v_dot2_f32_f16 v8, v15, v19, v8
	;;#ASMEND
	ds_read_b128 v[12:15], v10 offset:48
	ds_read_b128 v[16:19], v9 offset:17712
	s_waitcnt lgkmcnt(0)
	;;#ASMSTART
	v_dot2_f32_f16 v8, v12, v16, v8
	;;#ASMEND
	;;#ASMSTART
	v_dot2_f32_f16 v8, v13, v17, v8
	;;#ASMEND
	;;#ASMSTART
	v_dot2_f32_f16 v8, v14, v18, v8
	;;#ASMEND
	;;#ASMSTART
	v_dot2_f32_f16 v8, v15, v19, v8
	;;#ASMEND
	ds_read_b128 v[12:15], v10 offset:64
	ds_read_b128 v[16:19], v9 offset:17728
	s_waitcnt lgkmcnt(0)
	;;#ASMSTART
	v_dot2_f32_f16 v8, v12, v16, v8
	;;#ASMEND
	;;#ASMSTART
	v_dot2_f32_f16 v8, v13, v17, v8
	;;#ASMEND
	;;#ASMSTART
	v_dot2_f32_f16 v8, v14, v18, v8
	;;#ASMEND
	;;#ASMSTART
	v_dot2_f32_f16 v8, v15, v19, v8
	;;#ASMEND
	ds_read_b128 v[12:15], v10 offset:80
	ds_read_b128 v[16:19], v9 offset:17744
	s_waitcnt lgkmcnt(0)
	;;#ASMSTART
	v_dot2_f32_f16 v8, v12, v16, v8
	;;#ASMEND
	;;#ASMSTART
	v_dot2_f32_f16 v8, v13, v17, v8
	;;#ASMEND
	;;#ASMSTART
	v_dot2_f32_f16 v8, v14, v18, v8
	;;#ASMEND
	;;#ASMSTART
	v_dot2_f32_f16 v8, v15, v19, v8
	;;#ASMEND
	ds_read_b128 v[12:15], v10 offset:96
	ds_read_b128 v[16:19], v9 offset:17760
	s_waitcnt lgkmcnt(0)
	;;#ASMSTART
	v_dot2_f32_f16 v8, v12, v16, v8
	;;#ASMEND
	;;#ASMSTART
	v_dot2_f32_f16 v8, v13, v17, v8
	;;#ASMEND
	;;#ASMSTART
	v_dot2_f32_f16 v8, v14, v18, v8
	;;#ASMEND
	;;#ASMSTART
	v_dot2_f32_f16 v8, v15, v19, v8
	;;#ASMEND
	ds_read_b128 v[12:15], v10 offset:112
	ds_read_b128 v[16:19], v9 offset:17776
	s_waitcnt lgkmcnt(0)
	;;#ASMSTART
	v_dot2_f32_f16 v8, v12, v16, v8
	;;#ASMEND
	;;#ASMSTART
	v_dot2_f32_f16 v8, v13, v17, v8
	;;#ASMEND
	;;#ASMSTART
	v_dot2_f32_f16 v8, v14, v18, v8
	;;#ASMEND
	;;#ASMSTART
	v_dot2_f32_f16 v8, v15, v19, v8
	;;#ASMEND
	ds_read_b128 v[12:15], v10 offset:128
	ds_read_b128 v[16:19], v9 offset:17792
	s_waitcnt lgkmcnt(0)
	;;#ASMSTART
	v_dot2_f32_f16 v8, v12, v16, v8
	;;#ASMEND
	;;#ASMSTART
	v_dot2_f32_f16 v8, v13, v17, v8
	;;#ASMEND
	;;#ASMSTART
	v_dot2_f32_f16 v8, v14, v18, v8
	;;#ASMEND
	;;#ASMSTART
	v_dot2_f32_f16 v8, v15, v19, v8
	;;#ASMEND
	ds_read_b128 v[12:15], v10 offset:144
	ds_read_b128 v[16:19], v9 offset:17808
	s_waitcnt lgkmcnt(0)
	;;#ASMSTART
	v_dot2_f32_f16 v8, v12, v16, v8
	;;#ASMEND
	;;#ASMSTART
	v_dot2_f32_f16 v8, v13, v17, v8
	;;#ASMEND
	;;#ASMSTART
	v_dot2_f32_f16 v8, v14, v18, v8
	;;#ASMEND
	;;#ASMSTART
	v_dot2_f32_f16 v8, v15, v19, v8
	;;#ASMEND
	ds_read_b128 v[12:15], v10 offset:160
	ds_read_b128 v[16:19], v9 offset:17824
	s_waitcnt lgkmcnt(0)
	;;#ASMSTART
	v_dot2_f32_f16 v8, v12, v16, v8
	;;#ASMEND
	;;#ASMSTART
	v_dot2_f32_f16 v8, v13, v17, v8
	;;#ASMEND
	;;#ASMSTART
	v_dot2_f32_f16 v8, v14, v18, v8
	;;#ASMEND
	;;#ASMSTART
	v_dot2_f32_f16 v8, v15, v19, v8
	;;#ASMEND
	ds_read_b128 v[12:15], v10 offset:176
	ds_read_b128 v[16:19], v9 offset:17840
	s_waitcnt lgkmcnt(0)
	;;#ASMSTART
	v_dot2_f32_f16 v8, v12, v16, v8
	;;#ASMEND
	;;#ASMSTART
	v_dot2_f32_f16 v8, v13, v17, v8
	;;#ASMEND
	;;#ASMSTART
	v_dot2_f32_f16 v8, v14, v18, v8
	;;#ASMEND
	;;#ASMSTART
	v_dot2_f32_f16 v8, v15, v19, v8
	;;#ASMEND
	ds_read_b128 v[12:15], v10 offset:192
	ds_read_b128 v[16:19], v9 offset:17856
	s_waitcnt lgkmcnt(0)
	;;#ASMSTART
	v_dot2_f32_f16 v8, v12, v16, v8
	;;#ASMEND
	;;#ASMSTART
	v_dot2_f32_f16 v8, v13, v17, v8
	;;#ASMEND
	;;#ASMSTART
	v_dot2_f32_f16 v8, v14, v18, v8
	;;#ASMEND
	;;#ASMSTART
	v_dot2_f32_f16 v8, v15, v19, v8
	;;#ASMEND
	ds_read_b128 v[12:15], v10 offset:208
	ds_read_b128 v[16:19], v9 offset:17872
	s_waitcnt lgkmcnt(0)
	;;#ASMSTART
	v_dot2_f32_f16 v8, v12, v16, v8
	;;#ASMEND
	;;#ASMSTART
	v_dot2_f32_f16 v8, v13, v17, v8
	;;#ASMEND
	;;#ASMSTART
	v_dot2_f32_f16 v8, v14, v18, v8
	;;#ASMEND
	;;#ASMSTART
	v_dot2_f32_f16 v8, v15, v19, v8
	;;#ASMEND
	ds_read_b128 v[12:15], v10 offset:224
	ds_read_b128 v[16:19], v9 offset:17888
	s_waitcnt lgkmcnt(0)
	;;#ASMSTART
	v_dot2_f32_f16 v8, v12, v16, v8
	;;#ASMEND
	;;#ASMSTART
	v_dot2_f32_f16 v8, v13, v17, v8
	;;#ASMEND
	;;#ASMSTART
	v_dot2_f32_f16 v8, v14, v18, v8
	;;#ASMEND
	;;#ASMSTART
	v_dot2_f32_f16 v8, v15, v19, v8
	;;#ASMEND
	ds_read_b128 v[10:13], v10 offset:240
	ds_read_b128 v[14:17], v9 offset:17904
	s_waitcnt lgkmcnt(0)
	;;#ASMSTART
	v_dot2_f32_f16 v8, v10, v14, v8
	;;#ASMEND
	;;#ASMSTART
	v_dot2_f32_f16 v8, v11, v15, v8
	;;#ASMEND
	;; [unrolled: 3-line block ×4, first 2 shown]
	v_cmp_nlt_f32_e64 s[6:7], |v8|, s6
                                        ; implicit-def: $vgpr9
	s_and_saveexec_b64 s[10:11], s[6:7]
	s_xor_b64 s[6:7], exec, s[10:11]
	s_cbranch_execz .LBB73_25
; %bb.24:
	v_add_f32_e64 v9, |v8|, |v8|
	v_mul_f32_e32 v10, 0x3fb8aa3b, v9
	s_mov_b32 s10, 0x3fb8aa3b
	v_rndne_f32_e32 v11, v10
	v_sub_f32_e32 v12, v10, v11
	v_fma_f32 v10, v9, s10, -v10
	v_fmac_f32_e32 v10, 0x32a5705f, v9
	v_add_f32_e32 v10, v12, v10
	v_exp_f32_e32 v10, v10
	v_cvt_i32_f32_e32 v11, v11
	s_mov_b32 s10, 0xc2ce8ed0
	v_cmp_ngt_f32_e32 vcc, s10, v9
	s_mov_b32 s10, 0x42b17218
	v_ldexp_f32 v10, v10, v11
	v_cndmask_b32_e32 v10, 0, v10, vcc
	v_mov_b32_e32 v11, 0x7f800000
	v_cmp_nlt_f32_e32 vcc, s10, v9
	v_cndmask_b32_e32 v9, v11, v10, vcc
	v_add_f32_e32 v9, 1.0, v9
	v_rcp_f32_e32 v9, v9
	v_fma_f32 v9, v9, -2.0, 1.0
.LBB73_25:
	s_andn2_saveexec_b64 s[6:7], s[6:7]
; %bb.26:
	v_mul_f32_e32 v9, v8, v8
	v_mov_b32_e32 v10, 0x3ca908c9
	v_fmac_f32_e32 v10, 0xbbbac73d, v9
	v_mov_b32_e32 v11, 0xbd5c1c4e
	v_fmac_f32_e32 v11, v9, v10
	;; [unrolled: 2-line block ×4, first 2 shown]
	v_mul_f32_e64 v10, |v8|, v11
	v_fma_f32 v9, v9, v10, |v8|
; %bb.27:
	s_or_b64 exec, exec, s[6:7]
	s_brev_b32 s6, -2
	v_bfi_b32 v8, s6, v9, v8
	v_mul_f32_e32 v8, s23, v8
	v_cmp_gt_i32_e32 vcc, s16, v6
	v_mov_b32_e32 v9, v68
	s_and_saveexec_b64 s[6:7], vcc
	s_cbranch_execz .LBB73_32
; %bb.28:
	s_cmp_eq_u64 s[44:45], 0
	s_cbranch_scc1 .LBB73_30
; %bb.29:
	v_mul_lo_u32 v9, v35, s22
	v_add3_u32 v10, v9, v6, s20
	v_ashrrev_i32_e32 v11, 31, v10
	v_lshlrev_b64 v[10:11], 1, v[10:11]
	v_mov_b32_e32 v9, s45
	v_add_co_u32_e32 v10, vcc, s44, v10
	v_addc_co_u32_e32 v11, vcc, v9, v11, vcc
	flat_load_ushort v9, v[10:11]
	s_waitcnt vmcnt(0) lgkmcnt(0)
	v_cvt_f32_f16_e32 v9, v9
	v_mul_f32_e32 v7, v7, v9
	s_branch .LBB73_31
.LBB73_30:
	v_mov_b32_e32 v7, 0
.LBB73_31:
	v_add_f32_e32 v8, v8, v7
	v_add_f32_e32 v7, 0x40051340, v8
	v_max_f32_e32 v9, v68, v68
	v_max_f32_e32 v9, v9, v7
.LBB73_32:
	s_or_b64 exec, exec, s[6:7]
	v_mbcnt_hi_u32_b32 v83, -1, v37
	v_and_b32_e32 v7, 0x60, v83
	v_add_u32_e32 v84, 32, v7
	v_xor_b32_e32 v85, 16, v83
	v_cmp_lt_i32_e32 vcc, v85, v84
	v_cndmask_b32_e32 v7, v83, v85, vcc
	v_lshlrev_b32_e32 v7, 2, v7
	ds_bpermute_b32 v7, v7, v9
	v_xor_b32_e32 v86, 8, v83
	v_max_f32_e32 v9, v9, v9
	v_cmp_lt_i32_e32 vcc, v86, v84
	v_xor_b32_e32 v87, 4, v83
	s_waitcnt lgkmcnt(0)
	v_max_f32_e32 v7, v7, v7
	v_max_f32_e32 v7, v9, v7
	v_cndmask_b32_e32 v9, v83, v86, vcc
	v_lshlrev_b32_e32 v9, 2, v9
	ds_bpermute_b32 v9, v9, v7
	v_cmp_lt_i32_e32 vcc, v87, v84
	v_xor_b32_e32 v88, 2, v83
	v_xor_b32_e32 v89, 1, v83
	s_waitcnt lgkmcnt(0)
	v_max_f32_e32 v9, v9, v9
	v_max_f32_e32 v7, v7, v9
	v_cndmask_b32_e32 v9, v83, v87, vcc
	v_lshlrev_b32_e32 v9, 2, v9
	ds_bpermute_b32 v9, v9, v7
	v_cmp_lt_i32_e32 vcc, v88, v84
	s_waitcnt lgkmcnt(0)
	v_max_f32_e32 v9, v9, v9
	v_max_f32_e32 v7, v7, v9
	v_cndmask_b32_e32 v9, v83, v88, vcc
	v_lshlrev_b32_e32 v9, 2, v9
	ds_bpermute_b32 v9, v9, v7
	v_cmp_lt_i32_e32 vcc, v89, v84
	s_waitcnt lgkmcnt(0)
	v_max_f32_e32 v9, v9, v9
	v_max_f32_e32 v7, v7, v9
	v_cndmask_b32_e32 v9, v83, v89, vcc
	v_lshlrev_b32_e32 v9, 2, v9
	ds_bpermute_b32 v9, v9, v7
	v_cmp_eq_u32_e32 vcc, 0, v76
	s_and_saveexec_b64 s[6:7], vcc
	s_cbranch_execz .LBB73_34
; %bb.33:
	s_waitcnt lgkmcnt(0)
	v_max_f32_e32 v9, v9, v9
	v_max_f32_e32 v7, v7, v7
	;; [unrolled: 1-line block ×3, first 2 shown]
	v_lshlrev_b32_e32 v9, 2, v79
	ds_write_b32 v9, v7 offset:20000
.LBB73_34:
	s_or_b64 exec, exec, s[6:7]
	s_movk_i32 s6, 0x3fe
	v_and_or_b32 v7, v79, s6, v36
	v_lshlrev_b32_e32 v7, 2, v7
	s_waitcnt lgkmcnt(0)
	s_barrier
	ds_read_b32 v7, v7 offset:20000
	v_and_b32_e32 v9, 0x7e, v83
	v_add_u32_e32 v9, 2, v9
	v_cmp_lt_i32_e32 vcc, v89, v9
	v_cndmask_b32_e32 v9, v83, v89, vcc
	v_lshlrev_b32_e32 v9, 2, v9
	s_waitcnt lgkmcnt(0)
	ds_bpermute_b32 v9, v9, v7
	v_max_f32_e32 v7, v7, v7
	s_mov_b32 s6, 0x3fb8aa3b
	s_mov_b32 s10, 0xc2ce8ed0
	;; [unrolled: 1-line block ×3, first 2 shown]
	s_waitcnt lgkmcnt(0)
	v_max_f32_e32 v9, v9, v9
	v_max_f32_e32 v90, v7, v9
	v_sub_f32_e32 v7, v8, v90
	v_mul_f32_e32 v8, 0x3fb8aa3b, v7
	v_fma_f32 v9, v7, s6, -v8
	v_rndne_f32_e32 v10, v8
	v_fmac_f32_e32 v9, 0x32a5705f, v7
	v_sub_f32_e32 v8, v8, v10
	v_add_f32_e32 v8, v8, v9
	v_exp_f32_e32 v8, v8
	v_cvt_i32_f32_e32 v9, v10
	v_cmp_ngt_f32_e32 vcc, s10, v7
	v_mov_b32_e32 v98, 0x7f800000
	s_mul_hi_i32 s15, s20, s8
	v_ldexp_f32 v8, v8, v9
	v_cndmask_b32_e32 v8, 0, v8, vcc
	v_cmp_nlt_f32_e32 vcc, s7, v7
	v_cndmask_b32_e32 v7, v98, v8, vcc
	v_cmp_gt_u32_e32 vcc, s16, v6
	v_cndmask_b32_e32 v91, 0, v7, vcc
	v_cvt_f16_f32_e32 v7, v91
	v_and_b32_e32 v8, 0x7fc0, v34
	v_mov_b32_e32 v9, 0x4c00
	s_mul_i32 s14, s20, s8
	v_lshl_add_u32 v14, v8, 1, v9
	s_mov_b64 s[12:13], src_private_base
	s_lshl_b32 s11, s8, 3
	s_lshl_b64 s[14:15], s[14:15], 2
	v_lshl_add_u32 v6, v6, 1, v14
	s_add_u32 s12, s18, s14
	ds_write_b16 v6, v7
	s_addc_u32 s14, s19, s15
	v_lshlrev_b64 v[6:7], 2, v[4:5]
	v_mov_b32_e32 v5, s14
	v_add_co_u32_e32 v8, vcc, s12, v6
	v_addc_co_u32_e32 v5, vcc, v5, v7, vcc
	v_add_co_u32_e32 v8, vcc, v8, v80
	v_addc_co_u32_e32 v5, vcc, 0, v5, vcc
	v_mov_b32_e32 v99, 0
	v_mov_b32_e32 v100, s13
	v_cmp_gt_i32_e32 vcc, s16, v79
	v_mov_b32_e32 v101, 0
	buffer_store_dword v99, off, s[0:3], 0
	buffer_store_dword v99, off, s[0:3], 0 offset:8
	buffer_store_dword v99, off, s[0:3], 0 offset:4
	;; [unrolled: 1-line block ×3, first 2 shown]
	v_cndmask_b32_e32 v9, v100, v5, vcc
	v_cndmask_b32_e32 v8, v101, v8, vcc
	flat_load_dwordx4 v[8:11], v[8:9]
	v_add_u32_e32 v4, s11, v4
	v_ashrrev_i32_e32 v5, 31, v4
	v_lshlrev_b64 v[70:71], 2, v[4:5]
	v_mov_b32_e32 v5, s14
	v_add_co_u32_e32 v12, vcc, s12, v70
	v_addc_co_u32_e32 v5, vcc, v5, v71, vcc
	v_add_co_u32_e32 v12, vcc, v12, v80
	v_add_u32_e32 v103, 8, v79
	v_addc_co_u32_e32 v5, vcc, 0, v5, vcc
	v_lshl_add_u32 v102, v79, 9, v80
	v_cmp_gt_i32_e32 vcc, s16, v103
	v_cndmask_b32_e32 v13, v100, v5, vcc
	v_cndmask_b32_e32 v12, v101, v12, vcc
	buffer_store_dword v99, off, s[0:3], 0
	buffer_store_dword v99, off, s[0:3], 0 offset:8
	buffer_store_dword v99, off, s[0:3], 0 offset:4
	;; [unrolled: 1-line block ×3, first 2 shown]
	v_add_u32_e32 v4, s11, v4
	v_ashrrev_i32_e32 v5, 31, v4
	v_lshlrev_b64 v[72:73], 2, v[4:5]
	v_mov_b32_e32 v5, s14
	v_add_u32_e32 v104, 16, v79
	v_lshl_add_u32 v105, v103, 9, v80
	v_add_u32_e32 v4, s11, v4
	v_add_u32_e32 v106, 24, v79
	v_lshl_add_u32 v107, v104, 9, v80
	s_or_b32 s11, s20, 32
	s_mul_hi_i32 s13, s11, s8
	v_lshl_add_u32 v108, v106, 9, v80
	v_lshl_or_b32 v93, v69, 1, v14
	v_sub_f32_e32 v68, v68, v90
	s_waitcnt vmcnt(0) lgkmcnt(0)
	ds_write_b128 v102, v[8:11]
	flat_load_dwordx4 v[8:11], v[12:13]
	v_add_co_u32_e32 v12, vcc, s12, v72
	v_addc_co_u32_e32 v5, vcc, v5, v73, vcc
	v_add_co_u32_e32 v12, vcc, v12, v80
	v_addc_co_u32_e32 v5, vcc, 0, v5, vcc
	v_cmp_gt_i32_e32 vcc, s16, v104
	v_cndmask_b32_e32 v13, v100, v5, vcc
	v_cndmask_b32_e32 v12, v101, v12, vcc
	buffer_store_dword v99, off, s[0:3], 0
	buffer_store_dword v99, off, s[0:3], 0 offset:8
	buffer_store_dword v99, off, s[0:3], 0 offset:4
	;; [unrolled: 1-line block ×3, first 2 shown]
	v_ashrrev_i32_e32 v5, 31, v4
	v_lshlrev_b64 v[74:75], 2, v[4:5]
	v_add_co_u32_e32 v4, vcc, s12, v74
	s_mul_i32 s12, s11, s8
	s_lshl_b64 s[12:13], s[12:13], 2
	s_add_u32 s8, s18, s12
	s_addc_u32 s11, s19, s13
	s_sub_i32 s12, s16, 32
	v_mov_b32_e32 v132, s11
	s_waitcnt vmcnt(0) lgkmcnt(0)
	ds_write_b128 v105, v[8:11]
	flat_load_dwordx4 v[8:11], v[12:13]
	v_mov_b32_e32 v12, s14
	v_addc_co_u32_e32 v5, vcc, v12, v75, vcc
	v_add_co_u32_e32 v4, vcc, v4, v80
	v_addc_co_u32_e32 v5, vcc, 0, v5, vcc
	v_cmp_gt_i32_e32 vcc, s16, v106
	v_cndmask_b32_e32 v5, v100, v5, vcc
	v_cndmask_b32_e32 v4, v101, v4, vcc
	buffer_store_dword v99, off, s[0:3], 0
	buffer_store_dword v99, off, s[0:3], 0 offset:8
	buffer_store_dword v99, off, s[0:3], 0 offset:4
	;; [unrolled: 1-line block ×3, first 2 shown]
	s_waitcnt vmcnt(0) lgkmcnt(0)
	ds_write_b128 v107, v[8:11]
	flat_load_dwordx4 v[8:11], v[4:5]
	v_lshlrev_b32_e32 v4, 9, v69
	v_lshl_add_u32 v92, v76, 3, v4
	v_mov_b32_e32 v4, s11
	v_add_co_u32_e32 v5, vcc, s8, v6
	v_addc_co_u32_e32 v4, vcc, v4, v7, vcc
	v_add_co_u32_e32 v5, vcc, v5, v80
	v_addc_co_u32_e32 v4, vcc, 0, v4, vcc
	v_cmp_gt_i32_e32 vcc, s12, v79
	v_add_u32_e32 v109, 0x800, v92
	v_add_u32_e32 v110, 0x1000, v92
	;; [unrolled: 1-line block ×7, first 2 shown]
	v_cndmask_b32_e32 v95, v100, v4, vcc
	v_cndmask_b32_e32 v94, v101, v5, vcc
	v_add_co_u32_e32 v70, vcc, s8, v70
	v_addc_co_u32_e32 v71, vcc, v132, v71, vcc
	v_add_co_u32_e32 v70, vcc, v70, v80
	v_addc_co_u32_e32 v71, vcc, 0, v71, vcc
	v_cmp_gt_i32_e32 vcc, s12, v103
	v_cndmask_b32_e32 v71, v100, v71, vcc
	v_cndmask_b32_e32 v70, v101, v70, vcc
	s_waitcnt vmcnt(0) lgkmcnt(0)
	ds_write_b128 v108, v[8:11]
	s_waitcnt lgkmcnt(0)
	s_barrier
	ds_read2_b64 v[48:51], v92 offset1:32
	ds_read_u16 v116, v93
	ds_read_u16 v117, v93 offset:4
	ds_read_u16 v118, v93 offset:8
	;; [unrolled: 1-line block ×15, first 2 shown]
	ds_read2_b64 v[64:67], v92 offset0:128 offset1:160
	ds_read2_b64 v[60:63], v109 offset1:32
	ds_read2_b64 v[56:59], v109 offset0:128 offset1:160
	ds_read2_b64 v[52:55], v110 offset1:32
	;; [unrolled: 2-line block ×7, first 2 shown]
	ds_read2_b64 v[4:7], v115 offset0:128 offset1:160
	s_waitcnt lgkmcnt(0)
	s_barrier
	buffer_store_dword v99, off, s[0:3], 0
	buffer_store_dword v99, off, s[0:3], 0 offset:8
	buffer_store_dword v99, off, s[0:3], 0 offset:4
	;; [unrolled: 1-line block ×3, first 2 shown]
	flat_load_dwordx4 v[94:97], v[94:95]
	s_nop 0
	buffer_store_dword v99, off, s[0:3], 0
	buffer_store_dword v99, off, s[0:3], 0 offset:8
	buffer_store_dword v99, off, s[0:3], 0 offset:4
	;; [unrolled: 1-line block ×3, first 2 shown]
	v_pk_mul_f16 v48, v48, v116 op_sel_hi:[1,0]
	v_pk_mul_f16 v49, v49, v116 op_sel_hi:[1,0]
	s_waitcnt vmcnt(0) lgkmcnt(0)
	ds_write_b128 v102, v[94:97]
	flat_load_dwordx4 v[94:97], v[70:71]
	v_mov_b32_e32 v70, s11
	v_add_co_u32_e32 v71, vcc, s8, v72
	v_addc_co_u32_e32 v70, vcc, v70, v73, vcc
	v_add_co_u32_e32 v72, vcc, v71, v80
	v_addc_co_u32_e32 v70, vcc, 0, v70, vcc
	v_cmp_gt_i32_e32 vcc, s12, v104
	v_cndmask_b32_e32 v71, v100, v70, vcc
	v_cndmask_b32_e32 v70, v101, v72, vcc
	buffer_store_dword v99, off, s[0:3], 0
	buffer_store_dword v99, off, s[0:3], 0 offset:8
	buffer_store_dword v99, off, s[0:3], 0 offset:4
	;; [unrolled: 1-line block ×3, first 2 shown]
	v_add_co_u32_e32 v74, vcc, s8, v74
	s_waitcnt vmcnt(0) lgkmcnt(0)
	ds_write_b128 v105, v[94:97]
	flat_load_dwordx4 v[70:73], v[70:71]
	v_mov_b32_e32 v94, s11
	v_addc_co_u32_e32 v75, vcc, v94, v75, vcc
	v_add_co_u32_e32 v74, vcc, v74, v80
	v_addc_co_u32_e32 v75, vcc, 0, v75, vcc
	v_cmp_gt_i32_e32 vcc, s12, v106
	v_cndmask_b32_e32 v75, v100, v75, vcc
	v_cndmask_b32_e32 v74, v101, v74, vcc
	buffer_store_dword v99, off, s[0:3], 0
	buffer_store_dword v99, off, s[0:3], 0 offset:8
	buffer_store_dword v99, off, s[0:3], 0 offset:4
	buffer_store_dword v99, off, s[0:3], 0 offset:12
	v_mul_f32_e32 v94, 0x3fb8aa3b, v68
	v_fma_f32 v95, v68, s6, -v94
	v_rndne_f32_e32 v96, v94
	v_fmac_f32_e32 v95, 0x32a5705f, v68
	v_sub_f32_e32 v94, v94, v96
	v_add_f32_e32 v94, v94, v95
	v_cvt_i32_f32_e32 v96, v96
	v_exp_f32_e32 v94, v94
	v_cmp_ngt_f32_e32 vcc, s10, v68
	s_waitcnt vmcnt(0) lgkmcnt(0)
	ds_write_b128 v107, v[70:73]
	flat_load_dwordx4 v[70:73], v[74:75]
	v_ldexp_f32 v74, v94, v96
	v_cndmask_b32_e32 v74, 0, v74, vcc
	v_cmp_nlt_f32_e32 vcc, s7, v68
	v_cndmask_b32_e32 v74, v98, v74, vcc
	v_cvt_f16_f32_e32 v75, v74
	v_mov_b32_e32 v68, v90
	v_fma_f32 v81, v81, v74, v91
	v_pk_mul_f16 v2, v2, v75 op_sel_hi:[1,0]
	v_pk_mul_f16 v3, v75, v3 op_sel_hi:[0,1]
	v_pk_fma_f16 v2, v50, v116, v2 op_sel_hi:[1,0,1]
	v_pk_fma_f16 v3, v51, v116, v3 op_sel_hi:[1,0,1]
	;; [unrolled: 1-line block ×64, first 2 shown]
	s_waitcnt vmcnt(0) lgkmcnt(0)
	ds_write_b128 v108, v[70:73]
	s_waitcnt lgkmcnt(0)
	s_barrier
	ds_read2_b64 v[0:3], v92 offset1:32
	ds_read_u16 v70, v93 offset:64
	ds_read_u16 v71, v93 offset:68
	;; [unrolled: 1-line block ×16, first 2 shown]
	ds_read2_b64 v[4:7], v92 offset0:128 offset1:160
	ds_read2_b64 v[8:11], v109 offset1:32
	ds_read2_b64 v[12:15], v109 offset0:128 offset1:160
	ds_read2_b64 v[16:19], v110 offset1:32
	;; [unrolled: 2-line block ×7, first 2 shown]
	ds_read2_b64 v[60:63], v115 offset0:128 offset1:160
	s_waitcnt lgkmcnt(14)
	v_pk_fma_f16 v0, v0, v70, v66 op_sel_hi:[1,0,1]
	v_pk_fma_f16 v1, v1, v70, v67 op_sel_hi:[1,0,1]
	;; [unrolled: 1-line block ×8, first 2 shown]
	s_waitcnt lgkmcnt(13)
	v_pk_fma_f16 v0, v8, v72, v0 op_sel_hi:[1,0,1]
	v_pk_fma_f16 v1, v9, v72, v1 op_sel_hi:[1,0,1]
	v_pk_fma_f16 v2, v10, v72, v2 op_sel_hi:[1,0,1]
	v_pk_fma_f16 v3, v11, v72, v3 op_sel_hi:[1,0,1]
	s_waitcnt lgkmcnt(12)
	v_pk_fma_f16 v0, v12, v73, v0 op_sel_hi:[1,0,1]
	v_pk_fma_f16 v1, v13, v73, v1 op_sel_hi:[1,0,1]
	v_pk_fma_f16 v2, v14, v73, v2 op_sel_hi:[1,0,1]
	v_pk_fma_f16 v3, v15, v73, v3 op_sel_hi:[1,0,1]
	;; [unrolled: 5-line block ×14, first 2 shown]
	v_mov_b32_e32 v8, v69
	s_barrier
.LBB73_35:
	v_cmp_lt_i32_e32 vcc, v85, v84
	v_cndmask_b32_e32 v4, v83, v85, vcc
	v_lshlrev_b32_e32 v4, 2, v4
	ds_bpermute_b32 v4, v4, v81
	v_cmp_lt_i32_e32 vcc, v86, v84
	v_cndmask_b32_e32 v5, v83, v86, vcc
	v_lshlrev_b32_e32 v5, 2, v5
	v_cmp_lt_i32_e32 vcc, v87, v84
	s_waitcnt lgkmcnt(0)
	v_add_f32_e32 v4, v81, v4
	ds_bpermute_b32 v5, v5, v4
	v_cndmask_b32_e32 v6, v83, v87, vcc
	v_lshlrev_b32_e32 v6, 2, v6
	v_cmp_lt_i32_e32 vcc, v88, v84
	v_cmp_ne_u32_e64 s[6:7], 0, v8
	s_waitcnt lgkmcnt(0)
	v_add_f32_e32 v4, v4, v5
	ds_bpermute_b32 v5, v6, v4
	v_cndmask_b32_e32 v6, v83, v88, vcc
	v_lshlrev_b32_e32 v6, 2, v6
	v_cmp_lt_i32_e32 vcc, v89, v84
	s_waitcnt lgkmcnt(0)
	v_add_f32_e32 v4, v4, v5
	ds_bpermute_b32 v5, v6, v4
	v_cndmask_b32_e32 v6, v83, v89, vcc
	v_lshlrev_b32_e32 v6, 2, v6
	v_cmp_eq_u32_e32 vcc, 0, v8
	s_waitcnt lgkmcnt(0)
	v_add_f32_e32 v4, v4, v5
	ds_bpermute_b32 v5, v6, v4
	s_waitcnt lgkmcnt(0)
	v_add_f32_e32 v69, v4, v5
	s_and_saveexec_b64 s[10:11], s[6:7]
	s_xor_b64 s[10:11], exec, s[10:11]
	s_cbranch_execnz .LBB73_39
; %bb.36:
	s_andn2_saveexec_b64 s[6:7], s[10:11]
	s_cbranch_execnz .LBB73_42
.LBB73_37:
	s_or_b64 exec, exec, s[6:7]
	s_and_saveexec_b64 s[6:7], vcc
	s_cbranch_execnz .LBB73_43
.LBB73_38:
	s_endpgm
.LBB73_39:
	v_lshl_add_u32 v4, v82, 2, v80
	v_cmp_eq_u32_e64 s[6:7], 0, v76
	ds_write_b128 v4, v[0:3]
	s_and_saveexec_b64 s[12:13], s[6:7]
	s_cbranch_execz .LBB73_41
; %bb.40:
	v_lshlrev_b32_e32 v4, 2, v79
	ds_write_b32 v4, v69 offset:17408
.LBB73_41:
	s_or_b64 exec, exec, s[12:13]
                                        ; implicit-def: $vgpr82
                                        ; implicit-def: $vgpr80
                                        ; implicit-def: $vgpr79
	s_andn2_saveexec_b64 s[6:7], s[10:11]
	s_cbranch_execz .LBB73_37
.LBB73_42:
	v_lshl_add_u32 v4, v82, 2, v80
	v_lshlrev_b32_e32 v8, 2, v79
	s_waitcnt lgkmcnt(0)
	s_barrier
	ds_read_b128 v[4:7], v4 offset:512
	ds_read_b32 v8, v8 offset:17412
	s_waitcnt lgkmcnt(1)
	v_pk_add_f16 v0, v4, v0
	v_pk_add_f16 v1, v5, v1
	;; [unrolled: 1-line block ×4, first 2 shown]
	s_waitcnt lgkmcnt(0)
	v_add_f32_e32 v69, v69, v8
	s_or_b64 exec, exec, s[6:7]
	s_and_saveexec_b64 s[6:7], vcc
	s_cbranch_execz .LBB73_38
.LBB73_43:
	s_cmp_eq_u64 s[24:25], 0
	s_cselect_b64 s[6:7], -1, 0
	s_cmp_lg_u32 s9, 0
	s_cselect_b64 s[10:11], -1, 0
	s_or_b64 s[6:7], s[10:11], s[6:7]
	s_and_b64 vcc, exec, s[6:7]
	s_cbranch_vccnz .LBB73_45
; %bb.44:
	s_lshl_b64 s[6:7], s[34:35], 2
	s_add_u32 s6, s24, s6
	s_addc_u32 s7, s25, s7
	v_mov_b32_e32 v4, 0
	global_load_dword v5, v4, s[6:7]
	v_max_f32_e32 v4, v68, v68
	s_mov_b32 s6, 0x3fb8aa3b
	s_mov_b32 s7, 0xc2ce8ed0
	s_waitcnt vmcnt(0)
	v_max_f32_e32 v6, v5, v5
	v_max_f32_e32 v4, v4, v6
	v_sub_f32_e32 v6, v68, v4
	v_sub_f32_e32 v5, v5, v4
	v_mul_f32_e32 v7, 0x3fb8aa3b, v6
	v_mul_f32_e32 v8, 0x3fb8aa3b, v5
	v_fma_f32 v9, v6, s6, -v7
	v_rndne_f32_e32 v10, v7
	v_fma_f32 v11, v5, s6, -v8
	v_rndne_f32_e32 v12, v8
	v_fmac_f32_e32 v9, 0x32a5705f, v6
	v_sub_f32_e32 v7, v7, v10
	v_fmac_f32_e32 v11, 0x32a5705f, v5
	v_sub_f32_e32 v8, v8, v12
	v_add_f32_e32 v7, v7, v9
	v_cvt_i32_f32_e32 v10, v10
	v_add_f32_e32 v8, v8, v11
	v_exp_f32_e32 v7, v7
	v_cvt_i32_f32_e32 v12, v12
	v_exp_f32_e32 v8, v8
	v_cmp_ngt_f32_e32 vcc, s7, v6
	v_ldexp_f32 v7, v7, v10
	s_mov_b32 s6, 0x42b17218
	v_ldexp_f32 v8, v8, v12
	v_cndmask_b32_e32 v7, 0, v7, vcc
	v_cmp_ngt_f32_e32 vcc, s7, v5
	v_mov_b32_e32 v9, 0x7f800000
	v_cndmask_b32_e32 v8, 0, v8, vcc
	v_cmp_nlt_f32_e32 vcc, s6, v6
	v_cndmask_b32_e32 v6, v9, v7, vcc
	v_cvt_f16_f32_e32 v7, v6
	v_cmp_nlt_f32_e32 vcc, s6, v5
	v_cndmask_b32_e32 v5, v9, v8, vcc
	v_fmac_f32_e32 v5, v69, v6
	v_pk_mul_f16 v0, v7, v0 op_sel_hi:[0,1]
	v_pk_mul_f16 v1, v7, v1 op_sel_hi:[0,1]
	v_pk_mul_f16 v2, v7, v2 op_sel_hi:[0,1]
	v_pk_mul_f16 v3, v7, v3 op_sel_hi:[0,1]
	v_pk_mov_b32 v[68:69], v[4:5], v[4:5] op_sel:[0,1]
	v_cmp_gt_i32_e32 vcc, s38, v77
	s_and_b64 exec, exec, vcc
	s_cbranch_execz .LBB73_38
	s_branch .LBB73_46
.LBB73_45:
	v_mov_b32_e32 v5, v69
	v_cmp_gt_i32_e32 vcc, s38, v77
	s_and_b64 exec, exec, vcc
	s_cbranch_execz .LBB73_38
.LBB73_46:
	s_load_dword s6, s[4:5], 0xd4
	v_div_scale_f32 v4, s[4:5], v5, v5, 1.0
	v_rcp_f32_e32 v6, v4
	s_mul_i32 s33, s33, s38
	s_waitcnt lgkmcnt(0)
	s_cmp_lg_u32 s6, 1
	s_cselect_b64 s[4:5], -1, 0
	v_fma_f32 v7, -v4, v6, 1.0
	v_fmac_f32_e32 v6, v7, v6
	v_div_scale_f32 v7, vcc, 1.0, v5, 1.0
	v_mul_f32_e32 v8, v7, v6
	v_fma_f32 v9, -v4, v8, v7
	v_fmac_f32_e32 v8, v9, v6
	v_fma_f32 v4, -v4, v8, v7
	v_div_fmas_f32 v4, v4, v6, v8
	v_div_fixup_f32 v4, v4, v5, 1.0
	v_cndmask_b32_e64 v10, v4, 1.0, s[4:5]
	v_add_u32_e32 v4, s33, v77
	v_mul_lo_u32 v4, v4, s39
	v_add_u32_e32 v4, s34, v4
	v_mul_lo_u32 v4, s6, v4
	v_add_u32_e32 v4, s9, v4
	v_cvt_f32_f16_sdwa v9, v0 dst_sel:DWORD dst_unused:UNUSED_PAD src0_sel:WORD_1
	v_cvt_f32_f16_e32 v8, v0
	v_cvt_f32_f16_sdwa v15, v1 dst_sel:DWORD dst_unused:UNUSED_PAD src0_sel:WORD_1
	v_cvt_f32_f16_e32 v14, v1
	v_lshl_add_u32 v12, v4, 8, v78
	v_mov_b32_e32 v13, 0
	v_lshlrev_b64 v[6:7], 2, v[12:13]
	v_mov_b32_e32 v5, s29
	v_add_co_u32_e32 v0, vcc, s28, v6
	v_addc_co_u32_e32 v1, vcc, v5, v7, vcc
	v_pk_mul_f32 v[6:7], v[10:11], v[8:9] op_sel_hi:[0,1]
	v_pk_mul_f32 v[8:9], v[10:11], v[14:15] op_sel_hi:[0,1]
	v_add_u32_e32 v12, 0x80, v12
	global_store_dwordx4 v[0:1], v[6:9], off
	v_lshlrev_b64 v[0:1], 2, v[12:13]
	v_cvt_f32_f16_sdwa v7, v2 dst_sel:DWORD dst_unused:UNUSED_PAD src0_sel:WORD_1
	v_cvt_f32_f16_e32 v6, v2
	v_cvt_f32_f16_sdwa v9, v3 dst_sel:DWORD dst_unused:UNUSED_PAD src0_sel:WORD_1
	v_cvt_f32_f16_e32 v8, v3
	v_add_co_u32_e32 v12, vcc, s28, v0
	v_addc_co_u32_e32 v13, vcc, v5, v1, vcc
	v_cmp_eq_u32_e32 vcc, 0, v76
	v_pk_mul_f32 v[0:1], v[10:11], v[6:7] op_sel_hi:[0,1]
	v_pk_mul_f32 v[2:3], v[10:11], v[8:9] op_sel_hi:[0,1]
	s_and_b64 s[4:5], vcc, s[4:5]
	global_store_dwordx4 v[12:13], v[0:3], off
	s_and_b64 exec, exec, s[4:5]
	s_cbranch_execz .LBB73_38
; %bb.47:
	v_ashrrev_i32_e32 v5, 31, v4
	v_lshlrev_b64 v[0:1], 3, v[4:5]
	v_mov_b32_e32 v2, s31
	v_add_co_u32_e32 v0, vcc, s30, v0
	v_addc_co_u32_e32 v1, vcc, v2, v1, vcc
	global_store_dwordx2 v[0:1], v[68:69], off
	s_endpgm
	.section	.rodata,"a",@progbits
	.p2align	6, 0x0
	.amdhsa_kernel _ZL15flash_attn_tileILi256ELi256ELi4ELi1ELb1EEvPKcS1_S1_S1_S1_PKiPfP15HIP_vector_typeIfLj2EEffffjfiS5_IjLj3EEiiiiiiiiiiiliiliiiiil
		.amdhsa_group_segment_fixed_size 20032
		.amdhsa_private_segment_fixed_size 32
		.amdhsa_kernarg_size 464
		.amdhsa_user_sgpr_count 8
		.amdhsa_user_sgpr_private_segment_buffer 1
		.amdhsa_user_sgpr_dispatch_ptr 0
		.amdhsa_user_sgpr_queue_ptr 0
		.amdhsa_user_sgpr_kernarg_segment_ptr 1
		.amdhsa_user_sgpr_dispatch_id 0
		.amdhsa_user_sgpr_flat_scratch_init 1
		.amdhsa_user_sgpr_kernarg_preload_length 0
		.amdhsa_user_sgpr_kernarg_preload_offset 0
		.amdhsa_user_sgpr_private_segment_size 0
		.amdhsa_uses_dynamic_stack 0
		.amdhsa_system_sgpr_private_segment_wavefront_offset 1
		.amdhsa_system_sgpr_workgroup_id_x 1
		.amdhsa_system_sgpr_workgroup_id_y 1
		.amdhsa_system_sgpr_workgroup_id_z 1
		.amdhsa_system_sgpr_workgroup_info 0
		.amdhsa_system_vgpr_workitem_id 1
		.amdhsa_next_free_vgpr 133
		.amdhsa_next_free_sgpr 56
		.amdhsa_accum_offset 136
		.amdhsa_reserve_vcc 1
		.amdhsa_reserve_flat_scratch 1
		.amdhsa_float_round_mode_32 0
		.amdhsa_float_round_mode_16_64 0
		.amdhsa_float_denorm_mode_32 3
		.amdhsa_float_denorm_mode_16_64 3
		.amdhsa_dx10_clamp 1
		.amdhsa_ieee_mode 1
		.amdhsa_fp16_overflow 0
		.amdhsa_tg_split 0
		.amdhsa_exception_fp_ieee_invalid_op 0
		.amdhsa_exception_fp_denorm_src 0
		.amdhsa_exception_fp_ieee_div_zero 0
		.amdhsa_exception_fp_ieee_overflow 0
		.amdhsa_exception_fp_ieee_underflow 0
		.amdhsa_exception_fp_ieee_inexact 0
		.amdhsa_exception_int_div_zero 0
	.end_amdhsa_kernel
	.section	.text._ZL15flash_attn_tileILi256ELi256ELi4ELi1ELb1EEvPKcS1_S1_S1_S1_PKiPfP15HIP_vector_typeIfLj2EEffffjfiS5_IjLj3EEiiiiiiiiiiiliiliiiiil,"axG",@progbits,_ZL15flash_attn_tileILi256ELi256ELi4ELi1ELb1EEvPKcS1_S1_S1_S1_PKiPfP15HIP_vector_typeIfLj2EEffffjfiS5_IjLj3EEiiiiiiiiiiiliiliiiiil,comdat
.Lfunc_end73:
	.size	_ZL15flash_attn_tileILi256ELi256ELi4ELi1ELb1EEvPKcS1_S1_S1_S1_PKiPfP15HIP_vector_typeIfLj2EEffffjfiS5_IjLj3EEiiiiiiiiiiiliiliiiiil, .Lfunc_end73-_ZL15flash_attn_tileILi256ELi256ELi4ELi1ELb1EEvPKcS1_S1_S1_S1_PKiPfP15HIP_vector_typeIfLj2EEffffjfiS5_IjLj3EEiiiiiiiiiiiliiliiiiil
                                        ; -- End function
	.section	.AMDGPU.csdata,"",@progbits
; Kernel info:
; codeLenInByte = 14872
; NumSgprs: 62
; NumVgprs: 133
; NumAgprs: 0
; TotalNumVgprs: 133
; ScratchSize: 32
; MemoryBound: 0
; FloatMode: 240
; IeeeMode: 1
; LDSByteSize: 20032 bytes/workgroup (compile time only)
; SGPRBlocks: 7
; VGPRBlocks: 16
; NumSGPRsForWavesPerEU: 62
; NumVGPRsForWavesPerEU: 133
; AccumOffset: 136
; Occupancy: 3
; WaveLimiterHint : 1
; COMPUTE_PGM_RSRC2:SCRATCH_EN: 1
; COMPUTE_PGM_RSRC2:USER_SGPR: 8
; COMPUTE_PGM_RSRC2:TRAP_HANDLER: 0
; COMPUTE_PGM_RSRC2:TGID_X_EN: 1
; COMPUTE_PGM_RSRC2:TGID_Y_EN: 1
; COMPUTE_PGM_RSRC2:TGID_Z_EN: 1
; COMPUTE_PGM_RSRC2:TIDIG_COMP_CNT: 1
; COMPUTE_PGM_RSRC3_GFX90A:ACCUM_OFFSET: 33
; COMPUTE_PGM_RSRC3_GFX90A:TG_SPLIT: 0
	.section	.text._ZL15flash_attn_tileILi256ELi256ELi2ELi1ELb1EEvPKcS1_S1_S1_S1_PKiPfP15HIP_vector_typeIfLj2EEffffjfiS5_IjLj3EEiiiiiiiiiiiliiliiiiil,"axG",@progbits,_ZL15flash_attn_tileILi256ELi256ELi2ELi1ELb1EEvPKcS1_S1_S1_S1_PKiPfP15HIP_vector_typeIfLj2EEffffjfiS5_IjLj3EEiiiiiiiiiiiliiliiiiil,comdat
	.globl	_ZL15flash_attn_tileILi256ELi256ELi2ELi1ELb1EEvPKcS1_S1_S1_S1_PKiPfP15HIP_vector_typeIfLj2EEffffjfiS5_IjLj3EEiiiiiiiiiiiliiliiiiil ; -- Begin function _ZL15flash_attn_tileILi256ELi256ELi2ELi1ELb1EEvPKcS1_S1_S1_S1_PKiPfP15HIP_vector_typeIfLj2EEffffjfiS5_IjLj3EEiiiiiiiiiiiliiliiiiil
	.p2align	8
	.type	_ZL15flash_attn_tileILi256ELi256ELi2ELi1ELb1EEvPKcS1_S1_S1_S1_PKiPfP15HIP_vector_typeIfLj2EEffffjfiS5_IjLj3EEiiiiiiiiiiiliiliiiiil,@function
_ZL15flash_attn_tileILi256ELi256ELi2ELi1ELb1EEvPKcS1_S1_S1_S1_PKiPfP15HIP_vector_typeIfLj2EEffffjfiS5_IjLj3EEiiiiiiiiiiiliiliiiiil: ; @_ZL15flash_attn_tileILi256ELi256ELi2ELi1ELb1EEvPKcS1_S1_S1_S1_PKiPfP15HIP_vector_typeIfLj2EEffffjfiS5_IjLj3EEiiiiiiiiiiiliiliiiiil
; %bb.0:
	s_load_dwordx4 s[36:39], s[4:5], 0x5c
	s_load_dwordx2 s[14:15], s[4:5], 0x80
	s_add_u32 flat_scratch_lo, s6, s11
	s_addc_u32 flat_scratch_hi, s7, 0
	s_add_u32 s0, s0, s11
	s_waitcnt lgkmcnt(0)
	v_cvt_f32_u32_e32 v1, s39
	s_addc_u32 s1, s1, 0
	s_sub_i32 s6, 0, s39
	s_load_dwordx16 s[16:31], s[4:5], 0x0
	v_rcp_iflag_f32_e32 v1, v1
	s_load_dwordx2 s[46:47], s[4:5], 0xb8
	s_mov_b64 s[44:45], 0
	v_mul_f32_e32 v1, 0x4f7ffffe, v1
	v_cvt_u32_f32_e32 v1, v1
	v_readfirstlane_b32 s7, v1
	s_mul_i32 s6, s6, s7
	s_mul_hi_u32 s6, s7, s6
	s_add_i32 s7, s7, s6
	s_mul_hi_u32 s6, s10, s7
	s_mul_i32 s7, s6, s39
	s_sub_i32 s7, s10, s7
	s_add_i32 s11, s6, 1
	s_sub_i32 s12, s7, s39
	s_cmp_ge_u32 s7, s39
	s_cselect_b32 s6, s11, s6
	s_cselect_b32 s7, s12, s7
	s_add_i32 s11, s6, 1
	s_cmp_ge_u32 s7, s39
	s_cselect_b32 s33, s11, s6
	s_abs_i32 s6, s15
	v_cvt_f32_u32_e32 v1, s6
	s_mul_i32 s12, s33, s39
	s_sub_i32 s13, 0, s6
	s_sub_i32 s34, s10, s12
	v_rcp_iflag_f32_e32 v1, v1
	s_abs_i32 s11, s39
	s_xor_b32 s7, s39, s15
	s_ashr_i32 s7, s7, 31
	v_mul_f32_e32 v1, 0x4f7ffffe, v1
	v_cvt_u32_f32_e32 v1, v1
	v_readfirstlane_b32 s10, v1
	s_mul_i32 s13, s13, s10
	s_mul_hi_u32 s12, s10, s13
	s_add_i32 s10, s10, s12
	s_mul_hi_u32 s10, s11, s10
	s_mul_i32 s12, s10, s6
	s_sub_i32 s11, s11, s12
	s_add_i32 s13, s10, 1
	s_sub_i32 s12, s11, s6
	s_cmp_ge_u32 s11, s6
	s_cselect_b32 s10, s13, s10
	s_cselect_b32 s11, s12, s11
	s_add_i32 s12, s10, 1
	s_cmp_ge_u32 s11, s6
	s_cselect_b32 s6, s12, s10
	s_xor_b32 s6, s6, s7
	s_sub_i32 s15, s6, s7
	s_abs_i32 s48, s15
	v_cvt_f32_u32_e32 v1, s48
	s_sub_i32 s6, 0, s48
	s_waitcnt lgkmcnt(0)
	s_cmp_eq_u64 s[22:23], 0
	v_rcp_iflag_f32_e32 v1, v1
	v_mul_f32_e32 v1, 0x4f7ffffe, v1
	v_cvt_u32_f32_e32 v1, v1
	v_readfirstlane_b32 s35, v1
	s_mul_i32 s6, s6, s35
	s_mul_hi_u32 s6, s35, s6
	s_cbranch_scc1 .LBB74_2
; %bb.1:
	s_abs_i32 s7, s46
	v_cvt_f32_u32_e32 v1, s7
	s_sub_i32 s40, 0, s7
	s_abs_i32 s13, s33
	s_ashr_i32 s12, s33, 31
	v_rcp_iflag_f32_e32 v1, v1
	s_load_dwordx2 s[10:11], s[4:5], 0xc8
	v_mul_f32_e32 v1, 0x4f7ffffe, v1
	v_cvt_u32_f32_e32 v1, v1
	v_readfirstlane_b32 s41, v1
	s_mul_i32 s40, s40, s41
	s_mul_hi_u32 s40, s41, s40
	s_add_i32 s41, s41, s40
	s_mul_hi_u32 s40, s13, s41
	s_mul_i32 s40, s40, s7
	s_sub_i32 s13, s13, s40
	s_sub_i32 s40, s13, s7
	s_cmp_ge_u32 s13, s7
	s_cselect_b32 s13, s40, s13
	s_sub_i32 s40, s13, s7
	s_cmp_ge_u32 s13, s7
	s_cselect_b32 s7, s40, s13
	s_xor_b32 s7, s7, s12
	s_sub_i32 s7, s7, s12
	s_ashr_i32 s12, s7, 31
	s_waitcnt lgkmcnt(0)
	s_mul_i32 s11, s7, s11
	s_mul_hi_u32 s13, s7, s10
	s_add_i32 s11, s13, s11
	s_mul_i32 s12, s12, s10
	s_add_i32 s11, s11, s12
	s_mul_i32 s7, s7, s10
	s_add_u32 s44, s22, s7
	s_addc_u32 s45, s23, s11
.LBB74_2:
	s_load_dwordx4 s[40:43], s[4:5], 0x40
	s_load_dwordx2 s[22:23], s[4:5], 0x50
	s_add_i32 s35, s35, s6
	s_abs_i32 s46, s34
	v_mov_b32_e32 v11, 1.0
	s_waitcnt lgkmcnt(0)
	v_cmp_le_f32_e64 s[6:7], s41, 0
	s_and_b64 vcc, exec, s[6:7]
	s_cbranch_vccnz .LBB74_4
; %bb.3:
	s_sub_i32 s6, s34, s22
	s_lshl_b32 s6, s6, 1
	s_add_i32 s10, s34, 1
	s_or_b32 s11, s6, 1
	s_cmp_lt_u32 s34, s22
	s_cselect_b64 vcc, -1, 0
	s_and_b64 s[6:7], vcc, exec
	v_mov_b32_e32 v1, s43
	v_mov_b32_e32 v2, s42
	s_cselect_b32 s6, s10, s11
	v_cndmask_b32_e32 v18, v1, v2, vcc
	v_cvt_f32_i32_e32 v1, s6
	v_cmp_neq_f32_e32 vcc, 1.0, v18
	s_mov_b32 s6, 0x3f2aaaab
	s_movk_i32 s10, 0x204
	v_cndmask_b32_e32 v19, 1.0, v1, vcc
	v_cmp_eq_f32_e32 vcc, 0, v19
	v_cndmask_b32_e64 v20, |v18|, 1.0, vcc
	v_frexp_mant_f32_e32 v1, v20
	v_cmp_gt_f32_e64 s[6:7], s6, v1
	v_cndmask_b32_e64 v2, 1.0, 2.0, s[6:7]
	v_mul_f32_e32 v1, v1, v2
	v_add_f32_e32 v2, 1.0, v1
	v_rcp_f32_e32 v10, v2
	v_add_f32_e32 v3, -1.0, v2
	v_sub_f32_e32 v5, v1, v3
	v_add_f32_e32 v3, -1.0, v1
	v_mul_f32_e32 v1, v3, v10
	v_mul_f32_e32 v4, v2, v1
	v_fma_f32 v6, v1, v2, -v4
	v_fmac_f32_e32 v6, v1, v5
	v_add_f32_e32 v2, v4, v6
	v_sub_f32_e32 v5, v3, v2
	v_pk_add_f32 v[8:9], v[2:3], v[4:5] neg_lo:[0,1] neg_hi:[0,1]
	v_mov_b32_e32 v7, v2
	v_pk_add_f32 v[2:3], v[8:9], v[6:7] neg_lo:[0,1] neg_hi:[0,1]
	v_add_f32_e32 v2, v2, v3
	v_add_f32_e32 v2, v5, v2
	v_mul_f32_e32 v3, v10, v2
	v_add_f32_e32 v2, v1, v3
	v_sub_f32_e32 v1, v2, v1
	v_sub_f32_e32 v1, v3, v1
	v_mul_f32_e32 v3, v2, v2
	v_fma_f32 v5, v2, v2, -v3
	v_add_f32_e32 v4, v1, v1
	v_fmac_f32_e32 v5, v2, v4
	v_add_f32_e32 v4, v3, v5
	v_mov_b32_e32 v6, 0x3e91f4c4
	v_fmac_f32_e32 v6, 0x3e76c4e1, v4
	v_mov_b32_e32 v7, 0x3ecccdef
	v_fmac_f32_e32 v7, v4, v6
	v_sub_f32_e32 v3, v4, v3
	v_sub_f32_e32 v12, v5, v3
	v_mul_f32_e32 v3, v4, v7
	v_fma_f32 v5, v4, v7, -v3
	v_fmac_f32_e32 v5, v12, v7
	v_add_f32_e32 v6, v3, v5
	v_add_f32_e32 v7, 0x3f2aaaaa, v6
	v_sub_f32_e32 v3, v6, v3
	v_sub_f32_e32 v3, v5, v3
	v_add_f32_e32 v5, 0xbf2aaaaa, v7
	v_add_f32_e32 v3, 0x31739010, v3
	v_sub_f32_e32 v5, v6, v5
	v_pk_mul_f32 v[8:9], v[2:3], v[4:5]
	v_fma_f32 v6, v4, v2, -v8
	v_pk_add_f32 v[10:11], v[2:3], v[4:5]
	v_fmac_f32_e32 v6, v4, v1
	v_mov_b32_e32 v9, v11
	v_fmac_f32_e32 v6, v12, v2
	v_pk_add_f32 v[4:5], v[8:9], v[6:7]
	v_sub_f32_e32 v3, v4, v8
	v_sub_f32_e32 v3, v6, v3
	;; [unrolled: 1-line block ×3, first 2 shown]
	v_add_f32_e32 v9, v11, v6
	v_mov_b32_e32 v6, v5
	v_pk_mul_f32 v[6:7], v[4:5], v[6:7]
	v_cvt_f64_f32_e32 v[10:11], v20
	v_frexp_exp_i32_f64_e32 v7, v[10:11]
	v_subbrev_co_u32_e64 v7, s[6:7], 0, v7, s[6:7]
	v_cvt_f32_i32_e32 v7, v7
	v_fma_f32 v8, v4, v5, -v6
	v_fmac_f32_e32 v8, v4, v9
	s_mov_b32 s6, 0x3f317218
	v_mul_f32_e32 v4, 0x3f317218, v7
	v_fmac_f32_e32 v8, v3, v5
	v_fma_f32 v10, v7, s6, -v4
	v_fmac_f32_e32 v10, 0xb102e308, v7
	v_ldexp_f32 v11, v2, 1
	v_add_f32_e32 v5, v6, v8
	v_pk_add_f32 v[2:3], v[4:5], v[10:11]
	v_mov_b32_e32 v12, v5
	v_mov_b32_e32 v13, v3
	;; [unrolled: 1-line block ×3, first 2 shown]
	v_pk_add_f32 v[6:7], v[12:13], v[6:7] neg_lo:[0,1] neg_hi:[0,1]
	v_mov_b32_e32 v9, v5
	v_ldexp_f32 v1, v1, 1
	v_pk_add_f32 v[6:7], v[8:9], v[6:7] neg_lo:[0,1] neg_hi:[0,1]
	v_add_f32_e32 v1, v1, v6
	v_add_f32_e32 v5, v1, v7
	v_pk_add_f32 v[6:7], v[2:3], v[4:5] neg_lo:[0,1] neg_hi:[0,1]
	v_pk_add_f32 v[8:9], v[2:3], v[4:5]
	v_mov_b32_e32 v12, v6
	v_mov_b32_e32 v13, v9
	;; [unrolled: 1-line block ×3, first 2 shown]
	v_pk_add_f32 v[12:13], v[10:11], v[12:13]
	v_mov_b32_e32 v4, v13
	v_pk_add_f32 v[14:15], v[4:5], v[2:3] neg_lo:[0,1] neg_hi:[0,1]
	v_mov_b32_e32 v1, v14
	v_mov_b32_e32 v12, v9
	;; [unrolled: 1-line block ×4, first 2 shown]
	v_pk_add_f32 v[6:7], v[10:11], v[6:7] neg_lo:[0,1] neg_hi:[0,1]
	v_pk_add_f32 v[16:17], v[8:9], v[0:1] neg_lo:[0,1] neg_hi:[0,1]
	;; [unrolled: 1-line block ×3, first 2 shown]
	v_mov_b32_e32 v10, v5
	v_pk_add_f32 v[2:3], v[10:11], v[2:3] neg_lo:[0,1] neg_hi:[0,1]
	v_mov_b32_e32 v16, v6
	v_pk_add_f32 v[8:9], v[16:17], v[2:3]
	v_mov_b32_e32 v10, v9
	v_pk_add_f32 v[10:11], v[8:9], v[10:11]
	v_pk_add_f32 v[4:5], v[4:5], v[10:11]
	v_mov_b32_e32 v7, v13
	v_mov_b32_e32 v9, v4
	v_pk_add_f32 v[12:13], v[8:9], v[6:7] neg_lo:[0,1] neg_hi:[0,1]
	v_mov_b32_e32 v3, v10
	v_sub_f32_e32 v1, v8, v12
	v_pk_add_f32 v[2:3], v[2:3], v[12:13] neg_lo:[0,1] neg_hi:[0,1]
	v_sub_f32_e32 v1, v6, v1
	v_add_f32_e32 v1, v2, v1
	v_add_f32_e32 v1, v1, v3
	;; [unrolled: 1-line block ×3, first 2 shown]
	v_sub_f32_e32 v3, v2, v4
	v_sub_f32_e32 v1, v1, v3
	v_mul_f32_e32 v3, v19, v2
	v_fma_f32 v2, v19, v2, -v3
	v_fmac_f32_e32 v2, v19, v1
	v_add_f32_e32 v1, v3, v2
	v_cmp_class_f32_e64 s[6:7], v3, s10
	v_sub_f32_e32 v4, v1, v3
	v_cndmask_b32_e64 v1, v1, v3, s[6:7]
	s_mov_b32 s12, 0x42b17218
	v_mov_b32_e32 v3, 0x37000000
	v_cmp_eq_f32_e64 s[6:7], s12, v1
	v_cndmask_b32_e64 v3, 0, v3, s[6:7]
	v_sub_f32_e32 v2, v2, v4
	v_sub_f32_e32 v4, v1, v3
	s_mov_b32 s6, 0x3fb8aa3b
	v_mul_f32_e32 v5, 0x3fb8aa3b, v4
	v_fma_f32 v6, v4, s6, -v5
	v_rndne_f32_e32 v7, v5
	v_fmac_f32_e32 v6, 0x32a5705f, v4
	v_sub_f32_e32 v5, v5, v7
	v_add_f32_e32 v5, v5, v6
	v_exp_f32_e32 v5, v5
	v_cvt_i32_f32_e32 v6, v7
	s_mov_b32 s11, 0x7f800000
	v_cmp_neq_f32_e64 s[6:7], |v1|, s11
	v_cndmask_b32_e64 v1, 0, v2, s[6:7]
	s_mov_b32 s6, 0xc2ce8ed0
	v_ldexp_f32 v2, v5, v6
	v_cmp_ngt_f32_e64 s[6:7], s6, v4
	v_add_f32_e32 v1, v3, v1
	v_cndmask_b32_e64 v2, 0, v2, s[6:7]
	v_mov_b32_e32 v3, 0x7f800000
	v_cmp_nlt_f32_e64 s[6:7], s12, v4
	v_cndmask_b32_e64 v2, v3, v2, s[6:7]
	v_fma_f32 v1, v2, v1, v2
	v_cmp_class_f32_e64 s[6:7], v2, s10
	v_trunc_f32_e32 v4, v19
	v_cndmask_b32_e64 v1, v1, v2, s[6:7]
	v_cndmask_b32_e64 v2, v18, 1.0, vcc
	v_cmp_eq_f32_e32 vcc, v4, v19
	v_mul_f32_e32 v4, 0.5, v19
	v_trunc_f32_e32 v6, v4
	v_cmp_neq_f32_e64 s[6:7], v6, v4
	s_and_b64 s[6:7], vcc, s[6:7]
	v_cndmask_b32_e64 v4, 1.0, v2, s[6:7]
	s_brev_b32 s22, -2
	v_mov_b32_e32 v5, 0x7fc00000
	v_bfi_b32 v1, s22, v1, v4
	v_cndmask_b32_e32 v4, v5, v1, vcc
	v_cmp_gt_f32_e32 vcc, 0, v2
	v_cndmask_b32_e32 v1, v1, v4, vcc
	v_cmp_eq_f32_e32 vcc, s11, v20
	v_cmp_eq_f32_e64 s[10:11], 0, v2
	v_cmp_gt_f32_e64 s[12:13], 0, v19
	s_xor_b64 s[12:13], s[12:13], s[10:11]
	v_cndmask_b32_e64 v3, v3, 0, s[12:13]
	v_cndmask_b32_e64 v4, 0, v2, s[6:7]
	v_bfi_b32 v3, s22, v3, v4
	s_or_b64 vcc, vcc, s[10:11]
	v_cndmask_b32_e32 v1, v1, v3, vcc
	v_cmp_o_f32_e32 vcc, v2, v2
	v_cndmask_b32_e32 v11, v5, v1, vcc
.LBB74_4:
	v_bfe_u32 v37, v0, 10, 10
	v_lshlrev_b32_e32 v38, 7, v37
	v_and_b32_e32 v5, 0x3ff, v0
	v_and_b32_e32 v2, 0x180, v38
	v_lshlrev_b32_e32 v4, 2, v5
	s_lshl_b32 s6, s8, 1
	v_lshrrev_b32_e32 v1, 2, v37
	v_add_u32_e32 v0, v2, v4
	s_movk_i32 s7, 0x100
	s_mul_hi_u32 s10, s46, s35
	v_cmp_gt_u32_e32 vcc, s7, v0
	v_add_u32_e32 v36, s6, v1
	v_lshlrev_b32_e32 v39, 2, v4
	s_and_saveexec_b64 s[6:7], vcc
	s_cbranch_execz .LBB74_6
; %bb.5:
	s_load_dwordx4 s[52:55], s[4:5], 0x70
	v_mul_hi_u32 v0, s36, v36
	v_add_u32_e32 v0, v36, v0
	v_lshrrev_b32_e32 v0, s37, v0
	v_mul_lo_u32 v0, v0, s38
	s_waitcnt lgkmcnt(0)
	s_mul_i32 s11, s33, s54
	s_ashr_i32 s13, s11, 31
	s_mul_i32 s12, s34, s53
	s_add_u32 s11, s16, s11
	s_addc_u32 s13, s17, s13
	s_ashr_i32 s16, s12, 31
	s_add_u32 s11, s11, s12
	s_addc_u32 s16, s13, s16
	v_sub_u32_e32 v3, v36, v0
	s_ashr_i32 s17, s52, 31
	v_mov_b32_e32 v0, s52
	v_alignbit_b32 v0, s17, v0, 2
	v_mad_u64_u32 v[6:7], s[12:13], v0, v3, 0
	v_mov_b32_e32 v0, v7
	s_lshr_b32 s12, s17, 2
	v_mad_u64_u32 v[8:9], s[12:13], s12, v3, v[0:1]
	v_mov_b32_e32 v7, v8
	v_lshlrev_b64 v[6:7], 2, v[6:7]
	v_mov_b32_e32 v0, s16
	v_add_co_u32_e32 v3, vcc, s11, v6
	v_addc_co_u32_e32 v0, vcc, v0, v7, vcc
	v_lshlrev_b32_e32 v2, 2, v2
	v_add_co_u32_e32 v2, vcc, v3, v2
	v_addc_co_u32_e32 v0, vcc, 0, v0, vcc
	v_add_co_u32_e32 v2, vcc, v2, v39
	v_addc_co_u32_e32 v3, vcc, 0, v0, vcc
	global_load_dwordx4 v[6:9], v[2:3], off
	v_lshlrev_b32_e32 v0, 6, v37
	v_lshlrev_b32_e32 v10, 7, v1
	v_and_b32_e32 v12, 0xc0, v0
	s_waitcnt vmcnt(0)
	v_pk_mul_f32 v[0:1], v[6:7], s[40:41] op_sel_hi:[1,0]
	v_pk_mul_f32 v[2:3], v[8:9], s[40:41] op_sel_hi:[1,0]
	v_cvt_f16_f32_e32 v6, v1
	v_cvt_f16_f32_e32 v1, v3
	;; [unrolled: 1-line block ×4, first 2 shown]
	v_lshl_add_u32 v3, v5, 1, v12
	v_add_lshl_u32 v3, v3, v10, 2
	v_pack_b32_f16 v1, v2, v1
	v_pack_b32_f16 v0, v0, v6
	ds_write_b64 v3, v[0:1] offset:18432
.LBB74_6:
	s_or_b64 exec, exec, s[6:7]
	s_ashr_i32 s35, s34, 31
	s_ashr_i32 s6, s15, 31
	s_cmp_eq_u64 s[26:27], 0
	s_waitcnt lgkmcnt(0)
	s_barrier
	s_cbranch_scc1 .LBB74_8
; %bb.7:
	s_load_dword s7, s[4:5], 0xd0
	s_mov_b32 s13, 0
	s_waitcnt lgkmcnt(0)
	s_mul_i32 s7, s7, s33
	s_add_i32 s12, s7, s8
	s_lshl_b64 s[12:13], s[12:13], 2
	s_add_u32 s12, s26, s12
	s_addc_u32 s13, s27, s13
	s_load_dword s14, s[12:13], 0x0
.LBB74_8:
	s_nop 0
	s_load_dwordx2 s[12:13], s[4:5], 0x8c
	s_load_dwordx4 s[40:43], s[4:5], 0x98
	s_load_dwordx2 s[16:17], s[4:5], 0xa8
	s_ashr_i32 s7, s33, 31
	s_ashr_i32 s22, s47, 1
	s_waitcnt lgkmcnt(0)
	s_ashr_i32 s15, s12, 2
	s_mul_i32 s11, s33, s41
	s_mul_hi_u32 s12, s33, s40
	s_add_i32 s11, s12, s11
	s_mul_i32 s12, s7, s40
	s_ashr_i32 s8, s42, 2
	s_add_i32 s11, s11, s12
	s_mul_i32 s12, s33, s40
	s_add_u32 s12, s18, s12
	s_mul_i32 s18, s10, s48
	s_addc_u32 s11, s19, s11
	s_sub_i32 s18, s46, s18
	s_xor_b32 s6, s35, s6
	s_add_i32 s19, s10, 1
	s_sub_i32 s26, s18, s48
	s_cmp_ge_u32 s18, s48
	s_cselect_b32 s10, s19, s10
	s_cselect_b32 s18, s26, s18
	s_add_i32 s19, s10, 1
	s_cmp_ge_u32 s18, s48
	s_cselect_b32 s10, s19, s10
	s_xor_b32 s10, s10, s6
	s_sub_i32 s6, s10, s6
	s_mul_i32 s10, s6, s13
	s_ashr_i32 s13, s10, 31
	s_add_u32 s26, s12, s10
	s_addc_u32 s27, s11, s13
	s_mul_i32 s10, s33, s17
	s_mul_hi_u32 s11, s33, s16
	s_add_i32 s10, s11, s10
	s_mul_i32 s7, s7, s16
	s_add_i32 s10, s10, s7
	s_mul_i32 s7, s33, s16
	s_add_u32 s7, s20, s7
	s_mul_i32 s6, s6, s43
	s_addc_u32 s10, s21, s10
	s_ashr_i32 s11, s6, 31
	s_add_u32 s18, s7, s6
	s_addc_u32 s19, s10, s11
	s_lshl_b32 s20, s9, 7
	s_add_i32 s21, s14, 0xffffff80
	v_mul_lo_u32 v6, s8, v37
	s_cmp_ge_i32 s20, s21
	v_mov_b32_e32 v3, 0
	v_lshlrev_b32_e32 v40, 2, v37
	v_lshrrev_b32_e32 v45, 3, v5
	v_and_b32_e32 v10, 28, v4
	v_lshlrev_b32_e32 v44, 5, v37
	v_and_b32_e32 v42, 3, v5
	v_ashrrev_i32_e32 v7, 31, v6
	v_and_b32_e32 v41, 3, v37
	v_mbcnt_lo_u32_b32 v43, -1, 0
	s_cbranch_scc1 .LBB74_21
; %bb.9:
	v_and_b32_e32 v15, 0x7f80, v44
	v_mov_b32_e32 v12, 0x4800
	v_lshl_add_u32 v51, v15, 2, v12
	v_mul_hi_u32 v12, s36, v36
	v_add_u32_e32 v0, v45, v40
	v_lshlrev_b32_e32 v2, 2, v10
	s_movk_i32 s6, 0x90
	v_add_u32_e32 v12, v36, v12
	v_mad_u32_u24 v46, v0, s6, v2
	v_mul_lo_u32 v2, s15, v0
	s_lshl_b32 s6, s15, 5
	v_lshrrev_b32_e32 v12, s37, v12
	v_add_u32_e32 v8, s6, v2
	v_and_b32_e32 v14, 0x60, v44
	v_mul_lo_u32 v12, v12, s38
	v_mov_b32_e32 v1, 0
	v_add_u32_e32 v18, s6, v8
	v_add_u32_e32 v0, v14, v5
	v_sub_u32_e32 v12, v36, v12
	v_add_u32_e32 v20, s6, v18
	v_mad_u64_u32 v[12:13], s[6:7], v12, s22, v[0:1]
	s_movk_i32 s12, 0x3fc
	v_mul_u32_u24_e32 v50, 0x90, v0
	v_and_or_b32 v0, v37, s12, v42
	v_mov_b32_e32 v13, 0x4e00
	s_cmp_lg_u64 s[44:45], 0
	v_lshl_add_u32 v53, v0, 2, v13
	v_mov_b32_e32 v0, 0x4c00
	s_cselect_b64 s[10:11], -1, 0
	v_lshl_add_u32 v0, v15, 1, v0
	s_lshl_b32 s12, s8, 3
	v_lshl_or_b32 v13, v14, 1, v0
	v_add_u32_e32 v24, s12, v6
	v_lshl_add_u32 v54, v5, 1, v13
	v_add_u32_e32 v26, s12, v24
	v_and_b32_e32 v13, 3, v37
	v_add_u32_e32 v28, s12, v26
	v_lshlrev_b32_e32 v60, 9, v13
	v_ashrrev_i32_e32 v3, 31, v2
	v_ashrrev_i32_e32 v9, 31, v8
	;; [unrolled: 1-line block ×4, first 2 shown]
	v_lshl_add_u32 v55, v37, 9, v39
	v_ashrrev_i32_e32 v25, 31, v24
	v_ashrrev_i32_e32 v27, 31, v26
	;; [unrolled: 1-line block ×3, first 2 shown]
	v_lshlrev_b32_e32 v59, 3, v5
	v_lshl_or_b32 v61, v13, 1, v0
	v_or_b32_e32 v0, 0x800, v60
	v_or_b32_e32 v13, 0x1000, v60
	;; [unrolled: 1-line block ×7, first 2 shown]
	s_add_u32 s12, s4, 0xd0
	v_add_u32_e32 v47, 0x1200, v46
	v_add_u32_e32 v48, 0x2400, v46
	;; [unrolled: 1-line block ×3, first 2 shown]
	v_cmp_eq_u32_e64 s[6:7], 0, v5
	v_add_u32_e32 v52, 0x4e00, v40
	v_add_u32_e32 v56, 0x1000, v55
	v_add_u32_e32 v57, 0x2000, v55
	v_add_u32_e32 v58, 0x3000, v55
	s_addc_u32 s13, s5, 0
	v_mov_b32_e32 v76, 0xfeffffff
	v_lshlrev_b64 v[14:15], 2, v[2:3]
	v_lshlrev_b32_e32 v62, 2, v10
	v_lshlrev_b64 v[16:17], 2, v[8:9]
	v_lshlrev_b64 v[18:19], 2, v[18:19]
	;; [unrolled: 1-line block ×3, first 2 shown]
	s_mov_b32 s40, 0x3f200000
	s_mov_b32 s41, 0x3fb8aa3b
	;; [unrolled: 1-line block ×4, first 2 shown]
	v_mov_b32_e32 v63, 0xbd5c1c4e
	v_mov_b32_e32 v64, 0x3e088382
	;; [unrolled: 1-line block ×3, first 2 shown]
	s_brev_b32 s46, -2
	v_mbcnt_hi_u32_b32 v66, -1, v43
	v_lshlrev_b64 v[22:23], 2, v[6:7]
	v_lshlrev_b32_e32 v67, 2, v4
	v_lshlrev_b64 v[24:25], 2, v[24:25]
	v_lshlrev_b64 v[26:27], 2, v[26:27]
	;; [unrolled: 1-line block ×3, first 2 shown]
	v_add_u32_e32 v68, v59, v0
	v_add_u32_e32 v69, v59, v13
	v_add_u32_e32 v70, v59, v30
	v_add_u32_e32 v71, v59, v31
	v_add_u32_e32 v72, v59, v32
	v_add_u32_e32 v73, v59, v33
	v_add_u32_e32 v74, v59, v34
	v_mov_b32_e32 v75, 0x7f800000
	v_mov_b32_e32 v0, v1
	;; [unrolled: 1-line block ×5, first 2 shown]
.LBB74_10:                              ; =>This Inner Loop Header: Depth=1
	s_mul_hi_i32 s17, s20, s15
	s_mul_i32 s16, s20, s15
	s_lshl_b64 s[16:17], s[16:17], 2
	s_add_u32 s16, s26, s16
	s_addc_u32 s17, s27, s17
	v_mov_b32_e32 v8, s17
	v_add_co_u32_e32 v9, vcc, s16, v14
	v_addc_co_u32_e32 v30, vcc, v8, v15, vcc
	v_add_co_u32_e32 v8, vcc, v9, v62
	v_addc_co_u32_e32 v9, vcc, 0, v30, vcc
	v_mov_b32_e32 v30, s17
	v_add_co_u32_e32 v31, vcc, s16, v16
	v_addc_co_u32_e32 v32, vcc, v30, v17, vcc
	v_add_co_u32_e32 v30, vcc, v31, v62
	v_addc_co_u32_e32 v31, vcc, 0, v32, vcc
	;; [unrolled: 5-line block ×3, first 2 shown]
	v_mov_b32_e32 v34, s17
	v_add_co_u32_e32 v35, vcc, s16, v20
	v_addc_co_u32_e32 v77, vcc, v34, v21, vcc
	v_add_co_u32_e32 v34, vcc, v35, v62
	global_load_dwordx4 v[78:81], v[8:9], off
	global_load_dwordx4 v[82:85], v[30:31], off
	v_addc_co_u32_e32 v35, vcc, 0, v77, vcc
	global_load_dwordx4 v[86:89], v[32:33], off
	global_load_dwordx4 v[90:93], v[34:35], off
	v_mov_b32_e32 v77, 0
	s_waitcnt vmcnt(3)
	ds_write_b128 v46, v[78:81]
	s_waitcnt vmcnt(2)
	ds_write_b128 v47, v[82:85]
	;; [unrolled: 2-line block ×4, first 2 shown]
	s_waitcnt lgkmcnt(0)
	s_barrier
	ds_read_b128 v[78:81], v50
	ds_read_b128 v[82:85], v51
	s_waitcnt lgkmcnt(0)
	;;#ASMSTART
	v_dot2_f32_f16 v77, v78, v82, v77
	;;#ASMEND
	;;#ASMSTART
	v_dot2_f32_f16 v77, v79, v83, v77
	;;#ASMEND
	;;#ASMSTART
	v_dot2_f32_f16 v77, v80, v84, v77
	;;#ASMEND
	;;#ASMSTART
	v_dot2_f32_f16 v77, v81, v85, v77
	;;#ASMEND
	ds_read_b128 v[78:81], v50 offset:16
	ds_read_b128 v[82:85], v51 offset:16
	s_waitcnt lgkmcnt(0)
	;;#ASMSTART
	v_dot2_f32_f16 v77, v78, v82, v77
	;;#ASMEND
	;;#ASMSTART
	v_dot2_f32_f16 v77, v79, v83, v77
	;;#ASMEND
	;;#ASMSTART
	v_dot2_f32_f16 v77, v80, v84, v77
	;;#ASMEND
	;;#ASMSTART
	v_dot2_f32_f16 v77, v81, v85, v77
	;;#ASMEND
	ds_read_b128 v[78:81], v50 offset:32
	ds_read_b128 v[82:85], v51 offset:32
	;; [unrolled: 15-line block ×7, first 2 shown]
	s_waitcnt lgkmcnt(0)
	;;#ASMSTART
	v_dot2_f32_f16 v77, v78, v82, v77
	;;#ASMEND
	;;#ASMSTART
	v_dot2_f32_f16 v77, v79, v83, v77
	;;#ASMEND
	;; [unrolled: 3-line block ×4, first 2 shown]
	s_barrier
	global_load_dwordx4 v[78:81], v[8:9], off offset:128
	global_load_dwordx4 v[82:85], v[30:31], off offset:128
	;; [unrolled: 1-line block ×4, first 2 shown]
	s_waitcnt vmcnt(3)
	ds_write_b128 v46, v[78:81]
	s_waitcnt vmcnt(2)
	ds_write_b128 v47, v[82:85]
	;; [unrolled: 2-line block ×4, first 2 shown]
	s_waitcnt lgkmcnt(0)
	s_barrier
	ds_read_b128 v[78:81], v50
	ds_read_b128 v[82:85], v51 offset:128
	s_waitcnt lgkmcnt(0)
	;;#ASMSTART
	v_dot2_f32_f16 v77, v78, v82, v77
	;;#ASMEND
	;;#ASMSTART
	v_dot2_f32_f16 v77, v79, v83, v77
	;;#ASMEND
	;;#ASMSTART
	v_dot2_f32_f16 v77, v80, v84, v77
	;;#ASMEND
	;;#ASMSTART
	v_dot2_f32_f16 v77, v81, v85, v77
	;;#ASMEND
	ds_read_b128 v[78:81], v50 offset:16
	ds_read_b128 v[82:85], v51 offset:144
	s_waitcnt lgkmcnt(0)
	;;#ASMSTART
	v_dot2_f32_f16 v77, v78, v82, v77
	;;#ASMEND
	;;#ASMSTART
	v_dot2_f32_f16 v77, v79, v83, v77
	;;#ASMEND
	;;#ASMSTART
	v_dot2_f32_f16 v77, v80, v84, v77
	;;#ASMEND
	;;#ASMSTART
	v_dot2_f32_f16 v77, v81, v85, v77
	;;#ASMEND
	ds_read_b128 v[78:81], v50 offset:32
	ds_read_b128 v[82:85], v51 offset:160
	s_waitcnt lgkmcnt(0)
	;;#ASMSTART
	v_dot2_f32_f16 v77, v78, v82, v77
	;;#ASMEND
	;;#ASMSTART
	v_dot2_f32_f16 v77, v79, v83, v77
	;;#ASMEND
	;;#ASMSTART
	v_dot2_f32_f16 v77, v80, v84, v77
	;;#ASMEND
	;;#ASMSTART
	v_dot2_f32_f16 v77, v81, v85, v77
	;;#ASMEND
	ds_read_b128 v[78:81], v50 offset:48
	ds_read_b128 v[82:85], v51 offset:176
	s_waitcnt lgkmcnt(0)
	;;#ASMSTART
	v_dot2_f32_f16 v77, v78, v82, v77
	;;#ASMEND
	;;#ASMSTART
	v_dot2_f32_f16 v77, v79, v83, v77
	;;#ASMEND
	;;#ASMSTART
	v_dot2_f32_f16 v77, v80, v84, v77
	;;#ASMEND
	;;#ASMSTART
	v_dot2_f32_f16 v77, v81, v85, v77
	;;#ASMEND
	ds_read_b128 v[78:81], v50 offset:64
	ds_read_b128 v[82:85], v51 offset:192
	s_waitcnt lgkmcnt(0)
	;;#ASMSTART
	v_dot2_f32_f16 v77, v78, v82, v77
	;;#ASMEND
	;;#ASMSTART
	v_dot2_f32_f16 v77, v79, v83, v77
	;;#ASMEND
	;;#ASMSTART
	v_dot2_f32_f16 v77, v80, v84, v77
	;;#ASMEND
	;;#ASMSTART
	v_dot2_f32_f16 v77, v81, v85, v77
	;;#ASMEND
	ds_read_b128 v[78:81], v50 offset:80
	ds_read_b128 v[82:85], v51 offset:208
	s_waitcnt lgkmcnt(0)
	;;#ASMSTART
	v_dot2_f32_f16 v77, v78, v82, v77
	;;#ASMEND
	;;#ASMSTART
	v_dot2_f32_f16 v77, v79, v83, v77
	;;#ASMEND
	;;#ASMSTART
	v_dot2_f32_f16 v77, v80, v84, v77
	;;#ASMEND
	;;#ASMSTART
	v_dot2_f32_f16 v77, v81, v85, v77
	;;#ASMEND
	ds_read_b128 v[78:81], v50 offset:96
	ds_read_b128 v[82:85], v51 offset:224
	s_waitcnt lgkmcnt(0)
	;;#ASMSTART
	v_dot2_f32_f16 v77, v78, v82, v77
	;;#ASMEND
	;;#ASMSTART
	v_dot2_f32_f16 v77, v79, v83, v77
	;;#ASMEND
	;;#ASMSTART
	v_dot2_f32_f16 v77, v80, v84, v77
	;;#ASMEND
	;;#ASMSTART
	v_dot2_f32_f16 v77, v81, v85, v77
	;;#ASMEND
	ds_read_b128 v[78:81], v50 offset:112
	ds_read_b128 v[82:85], v51 offset:240
	s_waitcnt lgkmcnt(0)
	;;#ASMSTART
	v_dot2_f32_f16 v77, v78, v82, v77
	;;#ASMEND
	;;#ASMSTART
	v_dot2_f32_f16 v77, v79, v83, v77
	;;#ASMEND
	;;#ASMSTART
	v_dot2_f32_f16 v77, v80, v84, v77
	;;#ASMEND
	;;#ASMSTART
	v_dot2_f32_f16 v77, v81, v85, v77
	;;#ASMEND
	s_barrier
	global_load_dwordx4 v[78:81], v[8:9], off offset:256
	global_load_dwordx4 v[82:85], v[30:31], off offset:256
	global_load_dwordx4 v[86:89], v[32:33], off offset:256
	global_load_dwordx4 v[90:93], v[34:35], off offset:256
	s_waitcnt vmcnt(3)
	ds_write_b128 v46, v[78:81]
	s_waitcnt vmcnt(2)
	ds_write_b128 v47, v[82:85]
	;; [unrolled: 2-line block ×4, first 2 shown]
	s_waitcnt lgkmcnt(0)
	s_barrier
	ds_read_b128 v[78:81], v50
	ds_read_b128 v[82:85], v51 offset:256
	s_waitcnt lgkmcnt(0)
	;;#ASMSTART
	v_dot2_f32_f16 v77, v78, v82, v77
	;;#ASMEND
	;;#ASMSTART
	v_dot2_f32_f16 v77, v79, v83, v77
	;;#ASMEND
	;;#ASMSTART
	v_dot2_f32_f16 v77, v80, v84, v77
	;;#ASMEND
	;;#ASMSTART
	v_dot2_f32_f16 v77, v81, v85, v77
	;;#ASMEND
	ds_read_b128 v[78:81], v50 offset:16
	ds_read_b128 v[82:85], v51 offset:272
	s_waitcnt lgkmcnt(0)
	;;#ASMSTART
	v_dot2_f32_f16 v77, v78, v82, v77
	;;#ASMEND
	;;#ASMSTART
	v_dot2_f32_f16 v77, v79, v83, v77
	;;#ASMEND
	;;#ASMSTART
	v_dot2_f32_f16 v77, v80, v84, v77
	;;#ASMEND
	;;#ASMSTART
	v_dot2_f32_f16 v77, v81, v85, v77
	;;#ASMEND
	ds_read_b128 v[78:81], v50 offset:32
	;; [unrolled: 15-line block ×7, first 2 shown]
	ds_read_b128 v[82:85], v51 offset:368
	s_waitcnt lgkmcnt(0)
	;;#ASMSTART
	v_dot2_f32_f16 v77, v78, v82, v77
	;;#ASMEND
	;;#ASMSTART
	v_dot2_f32_f16 v77, v79, v83, v77
	;;#ASMEND
	;; [unrolled: 3-line block ×4, first 2 shown]
	s_barrier
	global_load_dwordx4 v[78:81], v[8:9], off offset:384
	global_load_dwordx4 v[82:85], v[30:31], off offset:384
	global_load_dwordx4 v[86:89], v[32:33], off offset:384
	global_load_dwordx4 v[90:93], v[34:35], off offset:384
                                        ; implicit-def: $vgpr8
	s_waitcnt vmcnt(3)
	ds_write_b128 v46, v[78:81]
	s_waitcnt vmcnt(2)
	ds_write_b128 v47, v[82:85]
	;; [unrolled: 2-line block ×4, first 2 shown]
	s_waitcnt lgkmcnt(0)
	s_barrier
	ds_read_b128 v[30:33], v50
	ds_read_b128 v[78:81], v51 offset:384
	s_waitcnt lgkmcnt(0)
	;;#ASMSTART
	v_dot2_f32_f16 v77, v30, v78, v77
	;;#ASMEND
	;;#ASMSTART
	v_dot2_f32_f16 v77, v31, v79, v77
	;;#ASMEND
	;;#ASMSTART
	v_dot2_f32_f16 v77, v32, v80, v77
	;;#ASMEND
	;;#ASMSTART
	v_dot2_f32_f16 v77, v33, v81, v77
	;;#ASMEND
	ds_read_b128 v[30:33], v50 offset:16
	ds_read_b128 v[78:81], v51 offset:400
	s_waitcnt lgkmcnt(0)
	;;#ASMSTART
	v_dot2_f32_f16 v77, v30, v78, v77
	;;#ASMEND
	;;#ASMSTART
	v_dot2_f32_f16 v77, v31, v79, v77
	;;#ASMEND
	;;#ASMSTART
	v_dot2_f32_f16 v77, v32, v80, v77
	;;#ASMEND
	;;#ASMSTART
	v_dot2_f32_f16 v77, v33, v81, v77
	;;#ASMEND
	ds_read_b128 v[30:33], v50 offset:32
	;; [unrolled: 15-line block ×7, first 2 shown]
	ds_read_b128 v[78:81], v51 offset:496
	s_waitcnt lgkmcnt(0)
	;;#ASMSTART
	v_dot2_f32_f16 v77, v30, v78, v77
	;;#ASMEND
	;;#ASMSTART
	v_dot2_f32_f16 v77, v31, v79, v77
	;;#ASMEND
	;; [unrolled: 3-line block ×4, first 2 shown]
	v_cmp_nlt_f32_e64 s[16:17], |v77|, s40
	s_and_saveexec_b64 s[48:49], s[16:17]
	s_xor_b64 s[16:17], exec, s[48:49]
	s_cbranch_execnz .LBB74_14
; %bb.11:                               ;   in Loop: Header=BB74_10 Depth=1
	s_andn2_saveexec_b64 s[16:17], s[16:17]
	s_cbranch_execnz .LBB74_15
.LBB74_12:                              ;   in Loop: Header=BB74_10 Depth=1
	s_or_b64 exec, exec, s[16:17]
	s_andn2_b64 vcc, exec, s[10:11]
	s_cbranch_vccnz .LBB74_16
.LBB74_13:                              ;   in Loop: Header=BB74_10 Depth=1
	v_add_u32_e32 v30, s20, v12
	v_ashrrev_i32_e32 v31, 31, v30
	v_lshlrev_b64 v[30:31], 1, v[30:31]
	v_mov_b32_e32 v9, s45
	v_add_co_u32_e32 v30, vcc, s44, v30
	v_addc_co_u32_e32 v31, vcc, v9, v31, vcc
	flat_load_ushort v9, v[30:31]
	s_waitcnt vmcnt(0) lgkmcnt(0)
	v_cvt_f32_f16_e32 v9, v9
	v_mul_f32_e32 v9, v11, v9
	s_branch .LBB74_17
.LBB74_14:                              ;   in Loop: Header=BB74_10 Depth=1
	v_add_f32_e64 v8, |v77|, |v77|
	v_mul_f32_e32 v9, 0x3fb8aa3b, v8
	v_rndne_f32_e32 v30, v9
	v_sub_f32_e32 v31, v9, v30
	v_fma_f32 v9, v8, s41, -v9
	v_fmac_f32_e32 v9, 0x32a5705f, v8
	v_add_f32_e32 v9, v31, v9
	v_cvt_i32_f32_e32 v30, v30
	v_exp_f32_e32 v9, v9
	v_cmp_ngt_f32_e32 vcc, s42, v8
	v_ldexp_f32 v9, v9, v30
	v_cndmask_b32_e32 v9, 0, v9, vcc
	v_cmp_nlt_f32_e32 vcc, s43, v8
	v_cndmask_b32_e32 v8, v75, v9, vcc
	v_add_f32_e32 v8, 1.0, v8
	v_rcp_f32_e32 v8, v8
	v_fma_f32 v8, v8, -2.0, 1.0
	s_andn2_saveexec_b64 s[16:17], s[16:17]
	s_cbranch_execz .LBB74_12
.LBB74_15:                              ;   in Loop: Header=BB74_10 Depth=1
	v_mul_f32_e32 v8, v77, v77
	v_mov_b32_e32 v9, 0x3ca908c9
	v_fmac_f32_e32 v9, 0xbbbac73d, v8
	v_fma_f32 v9, v8, v9, v63
	v_fma_f32 v9, v8, v9, v64
	;; [unrolled: 1-line block ×3, first 2 shown]
	v_mul_f32_e64 v9, |v77|, v9
	v_fma_f32 v8, v8, v9, |v77|
	s_or_b64 exec, exec, s[16:17]
	s_andn2_b64 vcc, exec, s[10:11]
	s_cbranch_vccz .LBB74_13
.LBB74_16:                              ;   in Loop: Header=BB74_10 Depth=1
	v_mov_b32_e32 v9, 0
.LBB74_17:                              ;   in Loop: Header=BB74_10 Depth=1
	v_bfi_b32 v8, s46, v8, v77
	v_fmac_f32_e32 v9, s23, v8
	v_add_f32_e32 v8, 0x40051340, v9
	v_max_f32_e32 v30, v76, v76
	v_max_f32_e32 v8, v30, v8
	v_and_b32_e32 v30, 0x60, v66
	v_add_u32_e32 v32, 32, v30
	v_xor_b32_e32 v30, 16, v66
	v_cmp_lt_i32_e32 vcc, v30, v32
	v_cndmask_b32_e32 v30, v66, v30, vcc
	v_lshlrev_b32_e32 v30, 2, v30
	ds_bpermute_b32 v30, v30, v8
	s_waitcnt lgkmcnt(0)
	v_max_f32_e32 v30, v30, v30
	v_max_f32_e32 v8, v8, v30
	v_xor_b32_e32 v30, 8, v66
	v_cmp_lt_i32_e32 vcc, v30, v32
	v_cndmask_b32_e32 v30, v66, v30, vcc
	v_lshlrev_b32_e32 v30, 2, v30
	ds_bpermute_b32 v30, v30, v8
	s_waitcnt lgkmcnt(0)
	v_max_f32_e32 v30, v30, v30
	v_max_f32_e32 v8, v8, v30
	;; [unrolled: 8-line block ×4, first 2 shown]
	v_xor_b32_e32 v30, 1, v66
	v_cmp_lt_i32_e32 vcc, v30, v32
	v_cndmask_b32_e32 v32, v66, v30, vcc
	v_lshlrev_b32_e32 v32, 2, v32
	ds_bpermute_b32 v32, v32, v31
	s_and_saveexec_b64 s[16:17], s[6:7]
	s_cbranch_execz .LBB74_19
; %bb.18:                               ;   in Loop: Header=BB74_10 Depth=1
	s_waitcnt lgkmcnt(0)
	v_max_f32_e32 v32, v32, v32
	v_max_f32_e32 v31, v31, v31
	;; [unrolled: 1-line block ×3, first 2 shown]
	ds_write_b32 v52, v31
.LBB74_19:                              ;   in Loop: Header=BB74_10 Depth=1
	s_or_b64 exec, exec, s[16:17]
	s_waitcnt lgkmcnt(0)
	s_barrier
	ds_read_b32 v31, v53
	v_and_b32_e32 v32, 0x7c, v66
	v_add_u32_e32 v32, 4, v32
	v_cmp_lt_i32_e32 vcc, v8, v32
	v_cndmask_b32_e32 v8, v66, v8, vcc
	v_lshlrev_b32_e32 v8, 2, v8
	s_waitcnt lgkmcnt(0)
	ds_bpermute_b32 v8, v8, v31
	v_cmp_lt_i32_e32 vcc, v30, v32
	v_max_f32_e32 v31, v31, v31
	v_cndmask_b32_e32 v30, v66, v30, vcc
	v_lshlrev_b32_e32 v30, 2, v30
	s_waitcnt lgkmcnt(0)
	v_max_f32_e32 v8, v8, v8
	v_max_f32_e32 v8, v31, v8
	ds_bpermute_b32 v30, v30, v8
	s_mul_hi_i32 s17, s20, s8
	s_mul_i32 s16, s20, s8
	s_lshl_b64 s[16:17], s[16:17], 2
	s_add_u32 s16, s18, s16
	s_waitcnt lgkmcnt(0)
	v_max_f32_e32 v30, v30, v30
	v_max_f32_e32 v8, v8, v30
	v_sub_f32_e32 v30, v76, v8
	v_mul_f32_e32 v31, 0x3fb8aa3b, v30
	v_fma_f32 v32, v30, s41, -v31
	v_rndne_f32_e32 v33, v31
	v_fmac_f32_e32 v32, 0x32a5705f, v30
	v_sub_f32_e32 v31, v31, v33
	v_add_f32_e32 v31, v31, v32
	v_exp_f32_e32 v31, v31
	v_cvt_i32_f32_e32 v32, v33
	v_cmp_ngt_f32_e32 vcc, s42, v30
	v_sub_f32_e32 v9, v9, v8
	s_addc_u32 s17, s19, s17
	v_ldexp_f32 v31, v31, v32
	v_cndmask_b32_e32 v31, 0, v31, vcc
	v_cmp_nlt_f32_e32 vcc, s43, v30
	v_cndmask_b32_e32 v30, v75, v31, vcc
	v_mul_f32_e32 v31, 0x3fb8aa3b, v9
	v_fma_f32 v32, v9, s41, -v31
	v_rndne_f32_e32 v33, v31
	v_fmac_f32_e32 v32, 0x32a5705f, v9
	v_sub_f32_e32 v31, v31, v33
	v_add_f32_e32 v31, v31, v32
	v_exp_f32_e32 v31, v31
	v_cvt_i32_f32_e32 v32, v33
	v_cvt_f16_f32_e32 v34, v30
	v_cmp_ngt_f32_e32 vcc, s42, v9
	v_ldexp_f32 v31, v31, v32
	v_cndmask_b32_e32 v31, 0, v31, vcc
	v_cmp_nlt_f32_e32 vcc, s43, v9
	v_cndmask_b32_e32 v9, v75, v31, vcc
	v_pk_mul_f16 v35, v2, v34 op_sel_hi:[1,0]
	v_cvt_f16_f32_e32 v2, v9
	v_pk_mul_f16 v76, v34, v3 op_sel_hi:[0,1]
	v_mov_b32_e32 v3, s17
	v_fma_f32 v13, v13, v30, v9
	ds_write_b16 v54, v2
	v_add_co_u32_e32 v2, vcc, s16, v22
	v_addc_co_u32_e32 v3, vcc, v3, v23, vcc
	v_add_co_u32_e32 v2, vcc, v2, v67
	v_addc_co_u32_e32 v3, vcc, 0, v3, vcc
	global_load_dwordx4 v[30:33], v[2:3], off
	v_add_co_u32_e32 v2, vcc, s16, v24
	v_mov_b32_e32 v3, s17
	v_addc_co_u32_e32 v3, vcc, v3, v25, vcc
	v_add_co_u32_e32 v2, vcc, v2, v67
	v_addc_co_u32_e32 v3, vcc, 0, v3, vcc
	s_waitcnt vmcnt(0)
	ds_write_b128 v55, v[30:33]
	global_load_dwordx4 v[30:33], v[2:3], off
	v_add_co_u32_e32 v2, vcc, s16, v26
	v_mov_b32_e32 v3, s17
	v_addc_co_u32_e32 v3, vcc, v3, v27, vcc
	v_add_co_u32_e32 v2, vcc, v2, v67
	v_addc_co_u32_e32 v3, vcc, 0, v3, vcc
	s_waitcnt vmcnt(0)
	ds_write_b128 v56, v[30:33]
	global_load_dwordx4 v[30:33], v[2:3], off
	v_add_co_u32_e32 v2, vcc, s16, v28
	v_mov_b32_e32 v3, s17
	v_addc_co_u32_e32 v3, vcc, v3, v29, vcc
	v_add_co_u32_e32 v2, vcc, v2, v67
	v_addc_co_u32_e32 v3, vcc, 0, v3, vcc
	s_or_b32 s16, s20, 32
	s_mul_hi_i32 s17, s16, s8
	s_mul_i32 s16, s16, s8
	s_lshl_b64 s[16:17], s[16:17], 2
	s_add_u32 s16, s18, s16
	s_addc_u32 s17, s19, s17
	s_waitcnt vmcnt(0)
	ds_write_b128 v57, v[30:33]
	global_load_dwordx4 v[30:33], v[2:3], off
	v_add_u32_e32 v2, v59, v60
	s_waitcnt vmcnt(0)
	ds_write_b128 v58, v[30:33]
	s_waitcnt lgkmcnt(0)
	s_barrier
	ds_read2_b64 v[30:33], v2 offset1:32
	ds_read_u16 v3, v61
	ds_read_u16 v9, v61 offset:8
	ds_read_u16 v77, v61 offset:16
	;; [unrolled: 1-line block ×7, first 2 shown]
	s_waitcnt lgkmcnt(7)
	v_pk_mul_f16 v30, v30, v3 op_sel_hi:[1,0]
	v_pk_fma_f16 v0, v0, v34, v30 op_sel_hi:[1,0,1]
	v_pk_mul_f16 v30, v31, v3 op_sel_hi:[1,0]
	v_pk_fma_f16 v1, v1, v34, v30 op_sel_hi:[1,0,1]
	v_pk_fma_f16 v34, v32, v3, v35 op_sel_hi:[1,0,1]
	v_pk_fma_f16 v3, v33, v3, v76 op_sel_hi:[1,0,1]
	ds_read2_b64 v[30:33], v68 offset1:32
	s_waitcnt lgkmcnt(0)
	v_pk_fma_f16 v0, v30, v9, v0 op_sel_hi:[1,0,1]
	v_pk_fma_f16 v1, v31, v9, v1 op_sel_hi:[1,0,1]
	v_pk_fma_f16 v34, v32, v9, v34 op_sel_hi:[1,0,1]
	v_pk_fma_f16 v3, v33, v9, v3 op_sel_hi:[1,0,1]
	ds_read2_b64 v[30:33], v69 offset1:32
	s_waitcnt lgkmcnt(0)
	v_pk_fma_f16 v0, v30, v77, v0 op_sel_hi:[1,0,1]
	;; [unrolled: 6-line block ×6, first 2 shown]
	v_pk_fma_f16 v1, v31, v81, v1 op_sel_hi:[1,0,1]
	v_pk_fma_f16 v9, v32, v81, v9 op_sel_hi:[1,0,1]
	;; [unrolled: 1-line block ×3, first 2 shown]
	ds_read2_b64 v[30:33], v74 offset1:32
	s_waitcnt lgkmcnt(0)
	s_barrier
	v_pk_fma_f16 v34, v30, v82, v0 op_sel_hi:[1,0,1]
	v_pk_fma_f16 v35, v31, v82, v1 op_sel_hi:[1,0,1]
	v_add_co_u32_e32 v0, vcc, s16, v22
	v_mov_b32_e32 v1, s17
	v_addc_co_u32_e32 v1, vcc, v1, v23, vcc
	v_add_co_u32_e32 v0, vcc, v0, v67
	v_addc_co_u32_e32 v1, vcc, 0, v1, vcc
	v_pk_fma_f16 v9, v32, v82, v9 op_sel_hi:[1,0,1]
	v_pk_fma_f16 v3, v33, v82, v3 op_sel_hi:[1,0,1]
	global_load_dwordx4 v[30:33], v[0:1], off
	v_add_co_u32_e32 v0, vcc, s16, v24
	v_mov_b32_e32 v1, s17
	v_addc_co_u32_e32 v1, vcc, v1, v25, vcc
	v_add_co_u32_e32 v0, vcc, v0, v67
	v_addc_co_u32_e32 v1, vcc, 0, v1, vcc
	s_waitcnt vmcnt(0)
	ds_write_b128 v55, v[30:33]
	global_load_dwordx4 v[30:33], v[0:1], off
	v_add_co_u32_e32 v0, vcc, s16, v26
	v_mov_b32_e32 v1, s17
	v_addc_co_u32_e32 v1, vcc, v1, v27, vcc
	v_add_co_u32_e32 v0, vcc, v0, v67
	v_addc_co_u32_e32 v1, vcc, 0, v1, vcc
	s_waitcnt vmcnt(0)
	ds_write_b128 v56, v[30:33]
	global_load_dwordx4 v[30:33], v[0:1], off
	v_add_co_u32_e32 v0, vcc, s16, v28
	v_mov_b32_e32 v1, s17
	v_addc_co_u32_e32 v1, vcc, v1, v29, vcc
	v_add_co_u32_e32 v0, vcc, v0, v67
	v_addc_co_u32_e32 v1, vcc, 0, v1, vcc
	s_or_b32 s16, s20, 64
	s_mul_hi_i32 s17, s16, s8
	s_mul_i32 s16, s16, s8
	s_lshl_b64 s[16:17], s[16:17], 2
	s_add_u32 s16, s18, s16
	s_addc_u32 s17, s19, s17
	s_waitcnt vmcnt(0)
	ds_write_b128 v57, v[30:33]
	global_load_dwordx4 v[30:33], v[0:1], off
	s_waitcnt vmcnt(0)
	ds_write_b128 v58, v[30:33]
	s_waitcnt lgkmcnt(0)
	s_barrier
	ds_read2_b64 v[30:33], v2 offset1:32
	ds_read_u16 v0, v61 offset:64
	ds_read_u16 v1, v61 offset:72
	;; [unrolled: 1-line block ×8, first 2 shown]
	s_waitcnt lgkmcnt(7)
	v_pk_fma_f16 v34, v30, v0, v34 op_sel_hi:[1,0,1]
	v_pk_fma_f16 v35, v31, v0, v35 op_sel_hi:[1,0,1]
	v_pk_fma_f16 v9, v32, v0, v9 op_sel_hi:[1,0,1]
	v_pk_fma_f16 v0, v33, v0, v3 op_sel_hi:[1,0,1]
	ds_read2_b64 v[30:33], v68 offset1:32
	s_waitcnt lgkmcnt(0)
	v_pk_fma_f16 v3, v30, v1, v34 op_sel_hi:[1,0,1]
	v_pk_fma_f16 v34, v31, v1, v35 op_sel_hi:[1,0,1]
	v_pk_fma_f16 v9, v32, v1, v9 op_sel_hi:[1,0,1]
	v_pk_fma_f16 v0, v33, v1, v0 op_sel_hi:[1,0,1]
	ds_read2_b64 v[30:33], v69 offset1:32
	;; [unrolled: 6-line block ×7, first 2 shown]
	s_waitcnt lgkmcnt(0)
	s_barrier
	v_pk_fma_f16 v34, v30, v81, v1 op_sel_hi:[1,0,1]
	v_pk_fma_f16 v35, v33, v81, v0 op_sel_hi:[1,0,1]
	v_add_co_u32_e32 v0, vcc, s16, v22
	v_mov_b32_e32 v1, s17
	v_addc_co_u32_e32 v1, vcc, v1, v23, vcc
	v_add_co_u32_e32 v0, vcc, v0, v67
	v_addc_co_u32_e32 v1, vcc, 0, v1, vcc
	v_pk_fma_f16 v3, v31, v81, v3 op_sel_hi:[1,0,1]
	v_pk_fma_f16 v9, v32, v81, v9 op_sel_hi:[1,0,1]
	global_load_dwordx4 v[30:33], v[0:1], off
	v_add_co_u32_e32 v0, vcc, s16, v24
	v_mov_b32_e32 v1, s17
	v_addc_co_u32_e32 v1, vcc, v1, v25, vcc
	v_add_co_u32_e32 v0, vcc, v0, v67
	v_addc_co_u32_e32 v1, vcc, 0, v1, vcc
	s_waitcnt vmcnt(0)
	ds_write_b128 v55, v[30:33]
	global_load_dwordx4 v[30:33], v[0:1], off
	v_add_co_u32_e32 v0, vcc, s16, v26
	v_mov_b32_e32 v1, s17
	v_addc_co_u32_e32 v1, vcc, v1, v27, vcc
	v_add_co_u32_e32 v0, vcc, v0, v67
	v_addc_co_u32_e32 v1, vcc, 0, v1, vcc
	s_waitcnt vmcnt(0)
	ds_write_b128 v56, v[30:33]
	global_load_dwordx4 v[30:33], v[0:1], off
	v_add_co_u32_e32 v0, vcc, s16, v28
	v_mov_b32_e32 v1, s17
	v_addc_co_u32_e32 v1, vcc, v1, v29, vcc
	v_add_co_u32_e32 v0, vcc, v0, v67
	v_addc_co_u32_e32 v1, vcc, 0, v1, vcc
	s_or_b32 s16, s20, 0x60
	s_mul_hi_i32 s17, s16, s8
	s_mul_i32 s16, s16, s8
	s_lshl_b64 s[16:17], s[16:17], 2
	s_add_u32 s16, s18, s16
	s_addc_u32 s17, s19, s17
	s_waitcnt vmcnt(0)
	ds_write_b128 v57, v[30:33]
	global_load_dwordx4 v[30:33], v[0:1], off
	s_waitcnt vmcnt(0)
	ds_write_b128 v58, v[30:33]
	s_waitcnt lgkmcnt(0)
	s_barrier
	ds_read2_b64 v[30:33], v2 offset1:32
	ds_read_u16 v0, v61 offset:128
	ds_read_u16 v1, v61 offset:136
	;; [unrolled: 1-line block ×8, first 2 shown]
	s_waitcnt lgkmcnt(7)
	v_pk_fma_f16 v34, v30, v0, v34 op_sel_hi:[1,0,1]
	v_pk_fma_f16 v3, v31, v0, v3 op_sel_hi:[1,0,1]
	v_pk_fma_f16 v9, v32, v0, v9 op_sel_hi:[1,0,1]
	v_pk_fma_f16 v0, v33, v0, v35 op_sel_hi:[1,0,1]
	ds_read2_b64 v[30:33], v68 offset1:32
	s_waitcnt lgkmcnt(0)
	v_pk_fma_f16 v34, v30, v1, v34 op_sel_hi:[1,0,1]
	v_pk_fma_f16 v3, v31, v1, v3 op_sel_hi:[1,0,1]
	v_pk_fma_f16 v9, v32, v1, v9 op_sel_hi:[1,0,1]
	v_pk_fma_f16 v0, v33, v1, v0 op_sel_hi:[1,0,1]
	ds_read2_b64 v[30:33], v69 offset1:32
	;; [unrolled: 6-line block ×7, first 2 shown]
	s_waitcnt lgkmcnt(0)
	s_barrier
	v_pk_fma_f16 v34, v30, v81, v1 op_sel_hi:[1,0,1]
	v_pk_fma_f16 v76, v33, v81, v0 op_sel_hi:[1,0,1]
	v_add_co_u32_e32 v0, vcc, s16, v22
	v_mov_b32_e32 v1, s17
	v_addc_co_u32_e32 v1, vcc, v1, v23, vcc
	v_add_co_u32_e32 v0, vcc, v0, v67
	v_addc_co_u32_e32 v1, vcc, 0, v1, vcc
	v_pk_fma_f16 v35, v31, v81, v3 op_sel_hi:[1,0,1]
	v_pk_fma_f16 v9, v32, v81, v9 op_sel_hi:[1,0,1]
	global_load_dwordx4 v[30:33], v[0:1], off
	v_add_co_u32_e32 v0, vcc, s16, v24
	v_mov_b32_e32 v1, s17
	v_addc_co_u32_e32 v1, vcc, v1, v25, vcc
	v_add_co_u32_e32 v0, vcc, v0, v67
	v_addc_co_u32_e32 v1, vcc, 0, v1, vcc
	s_waitcnt vmcnt(0)
	ds_write_b128 v55, v[30:33]
	global_load_dwordx4 v[30:33], v[0:1], off
	v_add_co_u32_e32 v0, vcc, s16, v26
	v_mov_b32_e32 v1, s17
	v_addc_co_u32_e32 v1, vcc, v1, v27, vcc
	v_add_co_u32_e32 v0, vcc, v0, v67
	v_addc_co_u32_e32 v1, vcc, 0, v1, vcc
	s_waitcnt vmcnt(0)
	ds_write_b128 v56, v[30:33]
	;; [unrolled: 8-line block ×3, first 2 shown]
	global_load_dwordx4 v[30:33], v[0:1], off
	s_waitcnt vmcnt(0)
	ds_write_b128 v58, v[30:33]
	s_waitcnt lgkmcnt(0)
	s_barrier
	ds_read2_b64 v[0:3], v2 offset1:32
	ds_read_u16 v30, v61 offset:192
	ds_read_u16 v31, v61 offset:200
	;; [unrolled: 1-line block ×8, first 2 shown]
	s_waitcnt lgkmcnt(7)
	v_pk_fma_f16 v34, v0, v30, v34 op_sel_hi:[1,0,1]
	v_pk_fma_f16 v35, v1, v30, v35 op_sel_hi:[1,0,1]
	v_pk_fma_f16 v9, v2, v30, v9 op_sel_hi:[1,0,1]
	v_pk_fma_f16 v30, v3, v30, v76 op_sel_hi:[1,0,1]
	ds_read2_b64 v[0:3], v68 offset1:32
	s_waitcnt lgkmcnt(0)
	v_pk_fma_f16 v34, v0, v31, v34 op_sel_hi:[1,0,1]
	v_pk_fma_f16 v35, v1, v31, v35 op_sel_hi:[1,0,1]
	v_pk_fma_f16 v9, v2, v31, v9 op_sel_hi:[1,0,1]
	v_pk_fma_f16 v30, v3, v31, v30 op_sel_hi:[1,0,1]
	ds_read2_b64 v[0:3], v69 offset1:32
	;; [unrolled: 6-line block ×7, first 2 shown]
	s_waitcnt lgkmcnt(0)
	s_barrier
	s_load_dword s16, s[12:13], 0x4
	v_pk_fma_f16 v0, v0, v80, v31 op_sel_hi:[1,0,1]
	v_pk_fma_f16 v1, v1, v80, v32 op_sel_hi:[1,0,1]
	;; [unrolled: 1-line block ×4, first 2 shown]
	s_waitcnt lgkmcnt(0)
	s_lshl_b32 s16, s16, 7
	s_add_i32 s20, s16, s20
	s_cmp_lt_i32 s20, s21
	s_cbranch_scc0 .LBB74_22
; %bb.20:                               ;   in Loop: Header=BB74_10 Depth=1
	v_mov_b32_e32 v76, v8
	s_branch .LBB74_10
.LBB74_21:
	v_mov_b32_e32 v8, 0xfeffffff
	v_mov_b32_e32 v13, 0
	;; [unrolled: 1-line block ×5, first 2 shown]
.LBB74_22:
	s_cmp_gt_i32 s14, s20
	s_cbranch_scc1 .LBB74_24
; %bb.23:
	v_mbcnt_hi_u32_b32 v12, -1, v43
	v_and_b32_e32 v9, 0x60, v12
	v_add_u32_e32 v14, 32, v9
	v_xor_b32_e32 v15, 16, v12
	v_xor_b32_e32 v16, 8, v12
	;; [unrolled: 1-line block ×5, first 2 shown]
	v_and_b32_e32 v20, 3, v37
	s_cbranch_execz .LBB74_25
	s_branch .LBB74_37
.LBB74_24:
                                        ; implicit-def: $vgpr12
                                        ; implicit-def: $vgpr14
                                        ; implicit-def: $vgpr15
                                        ; implicit-def: $vgpr16
                                        ; implicit-def: $vgpr17
                                        ; implicit-def: $vgpr18
                                        ; implicit-def: $vgpr19
                                        ; implicit-def: $vgpr20
.LBB74_25:
	s_mul_hi_i32 s7, s20, s15
	s_mul_i32 s6, s20, s15
	v_lshl_add_u32 v9, v37, 2, v45
	s_sub_i32 s16, s14, s20
	s_lshl_b64 s[6:7], s[6:7], 2
	v_mul_lo_u32 v14, s15, v9
	s_add_u32 s14, s26, s6
	v_ashrrev_i32_e32 v15, 31, v14
	s_addc_u32 s17, s27, s7
	v_lshlrev_b64 v[18:19], 2, v[14:15]
	v_mov_b32_e32 v12, s17
	v_add_co_u32_e32 v15, vcc, s14, v18
	v_lshlrev_b32_e32 v10, 2, v10
	v_addc_co_u32_e32 v12, vcc, v12, v19, vcc
	v_add_co_u32_e32 v20, vcc, v15, v10
	s_mov_b64 s[6:7], src_private_base
	v_addc_co_u32_e32 v21, vcc, 0, v12, vcc
	v_mov_b32_e32 v16, 0
	v_mov_b32_e32 v18, s7
	v_cmp_gt_i32_e32 vcc, s16, v9
	v_mov_b32_e32 v19, 0
	buffer_store_dword v16, off, s[0:3], 0
	buffer_store_dword v16, off, s[0:3], 0 offset:8
	buffer_store_dword v16, off, s[0:3], 0 offset:4
	;; [unrolled: 1-line block ×3, first 2 shown]
	v_cndmask_b32_e32 v23, v18, v21, vcc
	v_cndmask_b32_e32 v22, v19, v20, vcc
	flat_load_dwordx4 v[24:27], v[22:23]
	s_lshl_b32 s15, s15, 5
	v_add_u32_e32 v14, s15, v14
	v_ashrrev_i32_e32 v15, 31, v14
	s_movk_i32 s6, 0x90
	v_lshlrev_b64 v[22:23], 2, v[14:15]
	v_mad_u32_u24 v17, v9, s6, v10
	v_mov_b32_e32 v28, s17
	v_add_co_u32_e64 v15, s[6:7], s14, v22
	v_addc_co_u32_e64 v23, s[6:7], v28, v23, s[6:7]
	v_add_co_u32_e64 v22, s[6:7], v15, v10
	v_add_u32_e32 v12, 32, v9
	v_addc_co_u32_e64 v23, s[6:7], 0, v23, s[6:7]
	v_cmp_gt_i32_e64 s[6:7], s16, v12
	buffer_store_dword v16, off, s[0:3], 0
	buffer_store_dword v16, off, s[0:3], 0 offset:8
	buffer_store_dword v16, off, s[0:3], 0 offset:4
	;; [unrolled: 1-line block ×3, first 2 shown]
	v_cndmask_b32_e64 v29, v18, v23, s[6:7]
	v_cndmask_b32_e64 v28, v19, v22, s[6:7]
	v_add_u32_e32 v14, s15, v14
	v_ashrrev_i32_e32 v15, 31, v14
	v_mov_b32_e32 v30, s17
	v_add_u32_e32 v12, 64, v9
	v_cmp_gt_i32_e64 s[12:13], s16, v12
	v_mov_b32_e32 v12, s17
	v_add_u32_e32 v9, 0x60, v9
	s_movk_i32 s17, 0x80
	s_waitcnt vmcnt(0) lgkmcnt(0)
	ds_write_b128 v17, v[24:27]
	flat_load_dwordx4 v[26:29], v[28:29]
	v_lshlrev_b64 v[24:25], 2, v[14:15]
	v_add_co_u32_e64 v15, s[10:11], s14, v24
	v_addc_co_u32_e64 v25, s[10:11], v30, v25, s[10:11]
	v_add_co_u32_e64 v24, s[10:11], v15, v10
	v_addc_co_u32_e64 v25, s[10:11], 0, v25, s[10:11]
	v_cndmask_b32_e64 v31, v18, v25, s[12:13]
	v_cndmask_b32_e64 v30, v19, v24, s[12:13]
	buffer_store_dword v16, off, s[0:3], 0
	buffer_store_dword v16, off, s[0:3], 0 offset:8
	buffer_store_dword v16, off, s[0:3], 0 offset:4
	;; [unrolled: 1-line block ×3, first 2 shown]
	v_add_u32_e32 v14, s15, v14
	v_ashrrev_i32_e32 v15, 31, v14
	v_lshlrev_b64 v[14:15], 2, v[14:15]
	v_add_co_u32_e64 v14, s[10:11], s14, v14
	v_addc_co_u32_e64 v12, s[10:11], v12, v15, s[10:11]
	s_waitcnt vmcnt(0) lgkmcnt(0)
	ds_write_b128 v17, v[26:29] offset:4608
	flat_load_dwordx4 v[28:31], v[30:31]
	v_add_co_u32_e64 v26, s[10:11], v14, v10
	v_addc_co_u32_e64 v27, s[10:11], 0, v12, s[10:11]
	v_cmp_gt_i32_e64 s[10:11], s16, v9
	v_cndmask_b32_e64 v15, v18, v27, s[10:11]
	v_cndmask_b32_e64 v14, v19, v26, s[10:11]
	buffer_store_dword v16, off, s[0:3], 0
	buffer_store_dword v16, off, s[0:3], 0 offset:8
	buffer_store_dword v16, off, s[0:3], 0 offset:4
	;; [unrolled: 1-line block ×3, first 2 shown]
	v_and_b32_e32 v9, 0x60, v44
	v_add_u32_e32 v9, v9, v5
	v_and_b32_e32 v10, 0x7f80, v44
	v_mov_b32_e32 v12, 0
	v_add_co_u32_e64 v44, s[14:15], s17, v20
	v_addc_co_u32_e64 v45, s[14:15], 0, v21, s[14:15]
	v_cndmask_b32_e32 v44, v19, v44, vcc
	v_cndmask_b32_e32 v45, v18, v45, vcc
	s_waitcnt vmcnt(0) lgkmcnt(0)
	ds_write_b128 v17, v[28:31] offset:9216
	flat_load_dwordx4 v[28:31], v[14:15]
	v_mul_u32_u24_e32 v15, 0x90, v9
	v_lshlrev_b32_e32 v14, 2, v10
	s_waitcnt vmcnt(0) lgkmcnt(0)
	ds_write_b128 v17, v[28:31] offset:13824
	s_waitcnt lgkmcnt(0)
	s_barrier
	ds_read_b128 v[28:31], v15
	ds_read_b128 v[32:35], v14 offset:18432
	s_waitcnt lgkmcnt(0)
	;;#ASMSTART
	v_dot2_f32_f16 v12, v28, v32, v12
	;;#ASMEND
	;;#ASMSTART
	v_dot2_f32_f16 v12, v29, v33, v12
	;;#ASMEND
	;;#ASMSTART
	v_dot2_f32_f16 v12, v30, v34, v12
	;;#ASMEND
	;;#ASMSTART
	v_dot2_f32_f16 v12, v31, v35, v12
	;;#ASMEND
	ds_read_b128 v[28:31], v15 offset:16
	ds_read_b128 v[32:35], v14 offset:18448
	s_waitcnt lgkmcnt(0)
	;;#ASMSTART
	v_dot2_f32_f16 v12, v28, v32, v12
	;;#ASMEND
	;;#ASMSTART
	v_dot2_f32_f16 v12, v29, v33, v12
	;;#ASMEND
	;;#ASMSTART
	v_dot2_f32_f16 v12, v30, v34, v12
	;;#ASMEND
	;;#ASMSTART
	v_dot2_f32_f16 v12, v31, v35, v12
	;;#ASMEND
	ds_read_b128 v[28:31], v15 offset:32
	;; [unrolled: 15-line block ×7, first 2 shown]
	ds_read_b128 v[32:35], v14 offset:18544
	s_waitcnt lgkmcnt(0)
	;;#ASMSTART
	v_dot2_f32_f16 v12, v28, v32, v12
	;;#ASMEND
	;;#ASMSTART
	v_dot2_f32_f16 v12, v29, v33, v12
	;;#ASMEND
	;; [unrolled: 3-line block ×4, first 2 shown]
	s_barrier
	buffer_store_dword v16, off, s[0:3], 0
	buffer_store_dword v16, off, s[0:3], 0 offset:8
	buffer_store_dword v16, off, s[0:3], 0 offset:4
	;; [unrolled: 1-line block ×3, first 2 shown]
	flat_load_dwordx4 v[28:31], v[44:45]
	v_add_co_u32_e64 v32, s[14:15], s17, v22
	v_addc_co_u32_e64 v33, s[14:15], 0, v23, s[14:15]
	v_cndmask_b32_e64 v33, v18, v33, s[6:7]
	v_cndmask_b32_e64 v32, v19, v32, s[6:7]
	buffer_store_dword v16, off, s[0:3], 0
	buffer_store_dword v16, off, s[0:3], 0 offset:8
	buffer_store_dword v16, off, s[0:3], 0 offset:4
	;; [unrolled: 1-line block ×3, first 2 shown]
	s_waitcnt vmcnt(0) lgkmcnt(0)
	ds_write_b128 v17, v[28:31]
	flat_load_dwordx4 v[28:31], v[32:33]
	v_add_co_u32_e64 v32, s[14:15], s17, v24
	v_addc_co_u32_e64 v33, s[14:15], 0, v25, s[14:15]
	v_cndmask_b32_e64 v33, v18, v33, s[12:13]
	v_cndmask_b32_e64 v32, v19, v32, s[12:13]
	buffer_store_dword v16, off, s[0:3], 0
	buffer_store_dword v16, off, s[0:3], 0 offset:8
	buffer_store_dword v16, off, s[0:3], 0 offset:4
	;; [unrolled: 1-line block ×3, first 2 shown]
	s_waitcnt vmcnt(0) lgkmcnt(0)
	ds_write_b128 v17, v[28:31] offset:4608
	flat_load_dwordx4 v[28:31], v[32:33]
	v_add_co_u32_e64 v32, s[14:15], s17, v26
	v_addc_co_u32_e64 v33, s[14:15], 0, v27, s[14:15]
	v_cndmask_b32_e64 v33, v18, v33, s[10:11]
	v_cndmask_b32_e64 v32, v19, v32, s[10:11]
	buffer_store_dword v16, off, s[0:3], 0
	buffer_store_dword v16, off, s[0:3], 0 offset:8
	buffer_store_dword v16, off, s[0:3], 0 offset:4
	;; [unrolled: 1-line block ×3, first 2 shown]
	s_movk_i32 s17, 0x100
	v_add_co_u32_e64 v44, s[14:15], s17, v20
	v_addc_co_u32_e64 v45, s[14:15], 0, v21, s[14:15]
	v_cndmask_b32_e32 v44, v19, v44, vcc
	v_cndmask_b32_e32 v45, v18, v45, vcc
	s_waitcnt vmcnt(0) lgkmcnt(0)
	ds_write_b128 v17, v[28:31] offset:9216
	flat_load_dwordx4 v[28:31], v[32:33]
	s_waitcnt vmcnt(0) lgkmcnt(0)
	ds_write_b128 v17, v[28:31] offset:13824
	s_waitcnt lgkmcnt(0)
	s_barrier
	ds_read_b128 v[28:31], v15
	ds_read_b128 v[32:35], v14 offset:18560
	s_waitcnt lgkmcnt(0)
	;;#ASMSTART
	v_dot2_f32_f16 v12, v28, v32, v12
	;;#ASMEND
	;;#ASMSTART
	v_dot2_f32_f16 v12, v29, v33, v12
	;;#ASMEND
	;;#ASMSTART
	v_dot2_f32_f16 v12, v30, v34, v12
	;;#ASMEND
	;;#ASMSTART
	v_dot2_f32_f16 v12, v31, v35, v12
	;;#ASMEND
	ds_read_b128 v[28:31], v15 offset:16
	ds_read_b128 v[32:35], v14 offset:18576
	s_waitcnt lgkmcnt(0)
	;;#ASMSTART
	v_dot2_f32_f16 v12, v28, v32, v12
	;;#ASMEND
	;;#ASMSTART
	v_dot2_f32_f16 v12, v29, v33, v12
	;;#ASMEND
	;;#ASMSTART
	v_dot2_f32_f16 v12, v30, v34, v12
	;;#ASMEND
	;;#ASMSTART
	v_dot2_f32_f16 v12, v31, v35, v12
	;;#ASMEND
	ds_read_b128 v[28:31], v15 offset:32
	;; [unrolled: 15-line block ×7, first 2 shown]
	ds_read_b128 v[32:35], v14 offset:18672
	s_waitcnt lgkmcnt(0)
	;;#ASMSTART
	v_dot2_f32_f16 v12, v28, v32, v12
	;;#ASMEND
	;;#ASMSTART
	v_dot2_f32_f16 v12, v29, v33, v12
	;;#ASMEND
	;; [unrolled: 3-line block ×4, first 2 shown]
	s_barrier
	buffer_store_dword v16, off, s[0:3], 0
	buffer_store_dword v16, off, s[0:3], 0 offset:8
	buffer_store_dword v16, off, s[0:3], 0 offset:4
	;; [unrolled: 1-line block ×3, first 2 shown]
	flat_load_dwordx4 v[28:31], v[44:45]
	v_add_co_u32_e64 v32, s[14:15], s17, v22
	v_addc_co_u32_e64 v33, s[14:15], 0, v23, s[14:15]
	v_cndmask_b32_e64 v33, v18, v33, s[6:7]
	v_cndmask_b32_e64 v32, v19, v32, s[6:7]
	buffer_store_dword v16, off, s[0:3], 0
	buffer_store_dword v16, off, s[0:3], 0 offset:8
	buffer_store_dword v16, off, s[0:3], 0 offset:4
	;; [unrolled: 1-line block ×3, first 2 shown]
	s_waitcnt vmcnt(0) lgkmcnt(0)
	ds_write_b128 v17, v[28:31]
	flat_load_dwordx4 v[28:31], v[32:33]
	v_add_co_u32_e64 v32, s[14:15], s17, v24
	v_addc_co_u32_e64 v33, s[14:15], 0, v25, s[14:15]
	v_cndmask_b32_e64 v33, v18, v33, s[12:13]
	v_cndmask_b32_e64 v32, v19, v32, s[12:13]
	buffer_store_dword v16, off, s[0:3], 0
	buffer_store_dword v16, off, s[0:3], 0 offset:8
	buffer_store_dword v16, off, s[0:3], 0 offset:4
	;; [unrolled: 1-line block ×3, first 2 shown]
	s_waitcnt vmcnt(0) lgkmcnt(0)
	ds_write_b128 v17, v[28:31] offset:4608
	flat_load_dwordx4 v[28:31], v[32:33]
	v_add_co_u32_e64 v32, s[14:15], s17, v26
	v_addc_co_u32_e64 v33, s[14:15], 0, v27, s[14:15]
	v_cndmask_b32_e64 v33, v18, v33, s[10:11]
	v_cndmask_b32_e64 v32, v19, v32, s[10:11]
	buffer_store_dword v16, off, s[0:3], 0
	buffer_store_dword v16, off, s[0:3], 0 offset:8
	buffer_store_dword v16, off, s[0:3], 0 offset:4
	buffer_store_dword v16, off, s[0:3], 0 offset:12
	s_movk_i32 s17, 0x180
	v_add_co_u32_e64 v20, s[14:15], s17, v20
	v_addc_co_u32_e64 v21, s[14:15], 0, v21, s[14:15]
	v_cndmask_b32_e32 v20, v19, v20, vcc
	v_cndmask_b32_e32 v21, v18, v21, vcc
	s_waitcnt vmcnt(0) lgkmcnt(0)
	ds_write_b128 v17, v[28:31] offset:9216
	flat_load_dwordx4 v[28:31], v[32:33]
	s_waitcnt vmcnt(0) lgkmcnt(0)
	ds_write_b128 v17, v[28:31] offset:13824
	s_waitcnt lgkmcnt(0)
	s_barrier
	ds_read_b128 v[28:31], v15
	ds_read_b128 v[32:35], v14 offset:18688
	s_waitcnt lgkmcnt(0)
	;;#ASMSTART
	v_dot2_f32_f16 v12, v28, v32, v12
	;;#ASMEND
	;;#ASMSTART
	v_dot2_f32_f16 v12, v29, v33, v12
	;;#ASMEND
	;;#ASMSTART
	v_dot2_f32_f16 v12, v30, v34, v12
	;;#ASMEND
	;;#ASMSTART
	v_dot2_f32_f16 v12, v31, v35, v12
	;;#ASMEND
	ds_read_b128 v[28:31], v15 offset:16
	ds_read_b128 v[32:35], v14 offset:18704
	s_waitcnt lgkmcnt(0)
	;;#ASMSTART
	v_dot2_f32_f16 v12, v28, v32, v12
	;;#ASMEND
	;;#ASMSTART
	v_dot2_f32_f16 v12, v29, v33, v12
	;;#ASMEND
	;;#ASMSTART
	v_dot2_f32_f16 v12, v30, v34, v12
	;;#ASMEND
	;;#ASMSTART
	v_dot2_f32_f16 v12, v31, v35, v12
	;;#ASMEND
	ds_read_b128 v[28:31], v15 offset:32
	;; [unrolled: 15-line block ×7, first 2 shown]
	ds_read_b128 v[32:35], v14 offset:18800
	s_waitcnt lgkmcnt(0)
	;;#ASMSTART
	v_dot2_f32_f16 v12, v28, v32, v12
	;;#ASMEND
	;;#ASMSTART
	v_dot2_f32_f16 v12, v29, v33, v12
	;;#ASMEND
	;; [unrolled: 3-line block ×4, first 2 shown]
	s_barrier
	buffer_store_dword v16, off, s[0:3], 0
	buffer_store_dword v16, off, s[0:3], 0 offset:8
	buffer_store_dword v16, off, s[0:3], 0 offset:4
	;; [unrolled: 1-line block ×3, first 2 shown]
	flat_load_dwordx4 v[28:31], v[20:21]
	v_add_co_u32_e32 v20, vcc, s17, v22
	v_addc_co_u32_e32 v21, vcc, 0, v23, vcc
	v_cndmask_b32_e64 v21, v18, v21, s[6:7]
	v_cndmask_b32_e64 v20, v19, v20, s[6:7]
	buffer_store_dword v16, off, s[0:3], 0
	buffer_store_dword v16, off, s[0:3], 0 offset:8
	buffer_store_dword v16, off, s[0:3], 0 offset:4
	;; [unrolled: 1-line block ×3, first 2 shown]
	v_add_co_u32_e32 v24, vcc, s17, v24
	v_addc_co_u32_e32 v25, vcc, 0, v25, vcc
	v_cndmask_b32_e64 v25, v18, v25, s[12:13]
	v_cndmask_b32_e64 v24, v19, v24, s[12:13]
	s_mov_b32 s6, 0x3f200000
	s_waitcnt vmcnt(0) lgkmcnt(0)
	ds_write_b128 v17, v[28:31]
	flat_load_dwordx4 v[20:23], v[20:21]
	s_nop 0
	buffer_store_dword v16, off, s[0:3], 0
	buffer_store_dword v16, off, s[0:3], 0 offset:8
	buffer_store_dword v16, off, s[0:3], 0 offset:4
	buffer_store_dword v16, off, s[0:3], 0 offset:12
	s_waitcnt vmcnt(0) lgkmcnt(0)
	ds_write_b128 v17, v[20:23] offset:4608
	flat_load_dwordx4 v[20:23], v[24:25]
	v_add_co_u32_e32 v24, vcc, s17, v26
	v_addc_co_u32_e32 v25, vcc, 0, v27, vcc
	v_cndmask_b32_e64 v25, v18, v25, s[10:11]
	v_cndmask_b32_e64 v24, v19, v24, s[10:11]
	buffer_store_dword v16, off, s[0:3], 0
	buffer_store_dword v16, off, s[0:3], 0 offset:8
	buffer_store_dword v16, off, s[0:3], 0 offset:4
	buffer_store_dword v16, off, s[0:3], 0 offset:12
	s_waitcnt vmcnt(0) lgkmcnt(0)
	ds_write_b128 v17, v[20:23] offset:9216
	flat_load_dwordx4 v[18:21], v[24:25]
	s_waitcnt vmcnt(0) lgkmcnt(0)
	ds_write_b128 v17, v[18:21] offset:13824
	s_waitcnt lgkmcnt(0)
	s_barrier
	ds_read_b128 v[16:19], v15
	ds_read_b128 v[20:23], v14 offset:18816
	s_waitcnt lgkmcnt(0)
	;;#ASMSTART
	v_dot2_f32_f16 v12, v16, v20, v12
	;;#ASMEND
	;;#ASMSTART
	v_dot2_f32_f16 v12, v17, v21, v12
	;;#ASMEND
	;;#ASMSTART
	v_dot2_f32_f16 v12, v18, v22, v12
	;;#ASMEND
	;;#ASMSTART
	v_dot2_f32_f16 v12, v19, v23, v12
	;;#ASMEND
	ds_read_b128 v[16:19], v15 offset:16
	ds_read_b128 v[20:23], v14 offset:18832
	s_waitcnt lgkmcnt(0)
	;;#ASMSTART
	v_dot2_f32_f16 v12, v16, v20, v12
	;;#ASMEND
	;;#ASMSTART
	v_dot2_f32_f16 v12, v17, v21, v12
	;;#ASMEND
	;;#ASMSTART
	v_dot2_f32_f16 v12, v18, v22, v12
	;;#ASMEND
	;;#ASMSTART
	v_dot2_f32_f16 v12, v19, v23, v12
	;;#ASMEND
	ds_read_b128 v[16:19], v15 offset:32
	;; [unrolled: 15-line block ×7, first 2 shown]
	ds_read_b128 v[20:23], v14 offset:18928
	s_waitcnt lgkmcnt(0)
	;;#ASMSTART
	v_dot2_f32_f16 v12, v16, v20, v12
	;;#ASMEND
	;;#ASMSTART
	v_dot2_f32_f16 v12, v17, v21, v12
	;;#ASMEND
	;; [unrolled: 3-line block ×4, first 2 shown]
	v_cmp_nlt_f32_e64 s[6:7], |v12|, s6
                                        ; implicit-def: $vgpr14
	s_and_saveexec_b64 s[10:11], s[6:7]
	s_xor_b64 s[6:7], exec, s[10:11]
	s_cbranch_execz .LBB74_27
; %bb.26:
	v_add_f32_e64 v14, |v12|, |v12|
	v_mul_f32_e32 v15, 0x3fb8aa3b, v14
	s_mov_b32 s10, 0x3fb8aa3b
	v_rndne_f32_e32 v16, v15
	v_sub_f32_e32 v17, v15, v16
	v_fma_f32 v15, v14, s10, -v15
	v_fmac_f32_e32 v15, 0x32a5705f, v14
	v_add_f32_e32 v15, v17, v15
	v_exp_f32_e32 v15, v15
	v_cvt_i32_f32_e32 v16, v16
	s_mov_b32 s10, 0xc2ce8ed0
	v_cmp_ngt_f32_e32 vcc, s10, v14
	s_mov_b32 s10, 0x42b17218
	v_ldexp_f32 v15, v15, v16
	v_cndmask_b32_e32 v15, 0, v15, vcc
	v_mov_b32_e32 v16, 0x7f800000
	v_cmp_nlt_f32_e32 vcc, s10, v14
	v_cndmask_b32_e32 v14, v16, v15, vcc
	v_add_f32_e32 v14, 1.0, v14
	v_rcp_f32_e32 v14, v14
	v_fma_f32 v14, v14, -2.0, 1.0
.LBB74_27:
	s_andn2_saveexec_b64 s[6:7], s[6:7]
; %bb.28:
	v_mul_f32_e32 v14, v12, v12
	v_mov_b32_e32 v15, 0x3ca908c9
	v_fmac_f32_e32 v15, 0xbbbac73d, v14
	v_mov_b32_e32 v16, 0xbd5c1c4e
	v_fmac_f32_e32 v16, v14, v15
	;; [unrolled: 2-line block ×4, first 2 shown]
	v_mul_f32_e64 v15, |v12|, v16
	v_fma_f32 v14, v14, v15, |v12|
; %bb.29:
	s_or_b64 exec, exec, s[6:7]
	s_brev_b32 s6, -2
	v_bfi_b32 v12, s6, v14, v12
	v_mul_f32_e32 v21, s23, v12
	v_cmp_gt_i32_e32 vcc, s16, v9
	v_mov_b32_e32 v16, v8
	s_and_saveexec_b64 s[6:7], vcc
	s_cbranch_execz .LBB74_34
; %bb.30:
	s_cmp_eq_u64 s[44:45], 0
	s_cbranch_scc1 .LBB74_32
; %bb.31:
	v_mul_hi_u32 v12, s36, v36
	v_add_u32_e32 v12, v36, v12
	v_lshrrev_b32_e32 v12, s37, v12
	v_mul_lo_u32 v12, v12, s38
	v_sub_u32_e32 v12, v36, v12
	v_mul_lo_u32 v12, v12, s22
	v_add3_u32 v14, v12, v9, s20
	v_ashrrev_i32_e32 v15, 31, v14
	v_lshlrev_b64 v[14:15], 1, v[14:15]
	v_mov_b32_e32 v12, s45
	v_add_co_u32_e32 v14, vcc, s44, v14
	v_addc_co_u32_e32 v15, vcc, v12, v15, vcc
	flat_load_ushort v12, v[14:15]
	s_waitcnt vmcnt(0) lgkmcnt(0)
	v_cvt_f32_f16_e32 v12, v12
	v_mul_f32_e32 v11, v11, v12
	s_branch .LBB74_33
.LBB74_32:
	v_mov_b32_e32 v11, 0
.LBB74_33:
	v_add_f32_e32 v21, v21, v11
	v_add_f32_e32 v11, 0x40051340, v21
	v_max_f32_e32 v12, v8, v8
	v_max_f32_e32 v16, v12, v11
.LBB74_34:
	s_or_b64 exec, exec, s[6:7]
	v_mbcnt_hi_u32_b32 v12, -1, v43
	v_and_b32_e32 v11, 0x60, v12
	v_add_u32_e32 v14, 32, v11
	v_xor_b32_e32 v15, 16, v12
	v_cmp_lt_i32_e32 vcc, v15, v14
	v_cndmask_b32_e32 v11, v12, v15, vcc
	v_lshlrev_b32_e32 v11, 2, v11
	ds_bpermute_b32 v11, v11, v16
	v_max_f32_e32 v17, v16, v16
	v_xor_b32_e32 v16, 8, v12
	v_cmp_lt_i32_e32 vcc, v16, v14
	s_waitcnt lgkmcnt(0)
	v_max_f32_e32 v11, v11, v11
	v_max_f32_e32 v11, v17, v11
	v_cndmask_b32_e32 v17, v12, v16, vcc
	v_lshlrev_b32_e32 v17, 2, v17
	ds_bpermute_b32 v18, v17, v11
	v_xor_b32_e32 v17, 4, v12
	v_cmp_lt_i32_e32 vcc, v17, v14
	s_waitcnt lgkmcnt(0)
	v_max_f32_e32 v18, v18, v18
	v_max_f32_e32 v11, v11, v18
	v_cndmask_b32_e32 v18, v12, v17, vcc
	v_lshlrev_b32_e32 v18, 2, v18
	ds_bpermute_b32 v19, v18, v11
	;; [unrolled: 8-line block ×4, first 2 shown]
	v_cmp_eq_u32_e32 vcc, 0, v5
	s_and_saveexec_b64 s[6:7], vcc
	s_cbranch_execz .LBB74_36
; %bb.35:
	s_waitcnt lgkmcnt(0)
	v_max_f32_e32 v20, v20, v20
	v_max_f32_e32 v11, v11, v11
	;; [unrolled: 1-line block ×3, first 2 shown]
	ds_write_b32 v40, v11 offset:20000
.LBB74_36:
	s_or_b64 exec, exec, s[6:7]
	s_movk_i32 s6, 0x3fc
	v_and_or_b32 v11, v37, s6, v42
	v_lshlrev_b32_e32 v11, 2, v11
	s_waitcnt lgkmcnt(0)
	s_barrier
	ds_read_b32 v11, v11 offset:20000
	v_and_b32_e32 v20, 0x7c, v12
	v_add_u32_e32 v20, 4, v20
	v_cmp_lt_i32_e32 vcc, v18, v20
	v_cndmask_b32_e32 v22, v12, v18, vcc
	v_lshlrev_b32_e32 v22, 2, v22
	s_waitcnt lgkmcnt(0)
	ds_bpermute_b32 v22, v22, v11
	v_cmp_lt_i32_e32 vcc, v19, v20
	v_max_f32_e32 v11, v11, v11
	v_cndmask_b32_e32 v20, v12, v19, vcc
	v_lshlrev_b32_e32 v20, 2, v20
	s_waitcnt lgkmcnt(0)
	v_max_f32_e32 v22, v22, v22
	v_max_f32_e32 v11, v11, v22
	ds_bpermute_b32 v20, v20, v11
	s_mov_b32 s6, 0x3fb8aa3b
	s_mov_b32 s7, 0xc2ce8ed0
	s_mov_b32 s10, 0x42b17218
	v_mov_b32_e32 v28, 0
	s_waitcnt lgkmcnt(0)
	v_max_f32_e32 v20, v20, v20
	v_max_f32_e32 v20, v11, v20
	v_sub_f32_e32 v8, v8, v20
	v_mul_f32_e32 v11, 0x3fb8aa3b, v8
	v_fma_f32 v22, v8, s6, -v11
	v_rndne_f32_e32 v23, v11
	v_fmac_f32_e32 v22, 0x32a5705f, v8
	v_sub_f32_e32 v11, v11, v23
	v_add_f32_e32 v11, v11, v22
	v_exp_f32_e32 v11, v11
	v_cvt_i32_f32_e32 v22, v23
	v_sub_f32_e32 v21, v21, v20
	v_cmp_ngt_f32_e32 vcc, s7, v8
	v_lshl_add_u32 v30, v37, 9, v39
	v_ldexp_f32 v11, v11, v22
	v_mul_f32_e32 v22, 0x3fb8aa3b, v21
	v_fma_f32 v23, v21, s6, -v22
	v_rndne_f32_e32 v24, v22
	v_fmac_f32_e32 v23, 0x32a5705f, v21
	v_sub_f32_e32 v22, v22, v24
	v_add_f32_e32 v22, v22, v23
	v_exp_f32_e32 v22, v22
	v_cvt_i32_f32_e32 v23, v24
	v_cndmask_b32_e32 v11, 0, v11, vcc
	v_cmp_nlt_f32_e32 vcc, s10, v8
	v_mov_b32_e32 v8, 0x7f800000
	v_cndmask_b32_e32 v11, v8, v11, vcc
	v_ldexp_f32 v22, v22, v23
	v_cmp_ngt_f32_e64 s[6:7], s7, v21
	v_cvt_f16_f32_e32 v46, v11
	v_cndmask_b32_e64 v22, 0, v22, s[6:7]
	v_cmp_nlt_f32_e64 s[6:7], s10, v21
	v_cmp_gt_u32_e32 vcc, s16, v9
	v_cndmask_b32_e64 v8, v8, v22, s[6:7]
	v_cndmask_b32_e32 v8, 0, v8, vcc
	v_pk_mul_f16 v47, v2, v46 op_sel_hi:[1,0]
	v_cvt_f16_f32_e32 v2, v8
	v_pk_mul_f16 v48, v46, v3 op_sel_hi:[0,1]
	v_mov_b32_e32 v3, 0x4c00
	v_lshl_add_u32 v31, v10, 1, v3
	v_lshl_add_u32 v3, v9, 1, v31
	s_lshl_b32 s6, s8, 3
	ds_write_b16 v3, v2
	v_add_u32_e32 v2, s6, v6
	v_add_u32_e32 v32, s6, v2
	;; [unrolled: 1-line block ×3, first 2 shown]
	s_mul_hi_i32 s7, s20, s8
	s_mul_i32 s6, s20, s8
	s_mov_b64 s[10:11], src_private_base
	s_lshl_b64 s[6:7], s[6:7], 2
	s_add_u32 s10, s18, s6
	v_fma_f32 v13, v13, v11, v8
	s_addc_u32 s12, s19, s7
	v_lshlrev_b64 v[10:11], 2, v[6:7]
	v_add_co_u32_e64 v6, s[6:7], s10, v10
	v_mov_b32_e32 v7, s12
	v_addc_co_u32_e64 v7, s[6:7], v7, v11, s[6:7]
	v_add_co_u32_e64 v6, s[6:7], v6, v39
	v_cmp_gt_i32_e32 vcc, s16, v37
	v_addc_co_u32_e64 v7, s[6:7], 0, v7, s[6:7]
	v_mov_b32_e32 v25, s11
	v_mov_b32_e32 v24, 0
	buffer_store_dword v28, off, s[0:3], 0
	buffer_store_dword v28, off, s[0:3], 0 offset:8
	buffer_store_dword v28, off, s[0:3], 0 offset:4
	;; [unrolled: 1-line block ×3, first 2 shown]
	v_cndmask_b32_e32 v7, v25, v7, vcc
	v_cndmask_b32_e32 v6, v24, v6, vcc
	flat_load_dwordx4 v[6:9], v[6:7]
	v_ashrrev_i32_e32 v3, 31, v2
	v_lshlrev_b64 v[2:3], 2, v[2:3]
	v_add_u32_e32 v29, 8, v37
	v_cmp_gt_i32_e32 vcc, s16, v29
	v_lshl_add_u32 v26, v29, 9, v39
	v_ashrrev_i32_e32 v33, 31, v32
	v_add_u32_e32 v27, 16, v37
	v_ashrrev_i32_e32 v43, 31, v42
	v_lshl_add_u32 v23, v27, 9, v39
	v_add_u32_e32 v22, 24, v37
	v_lshl_add_u32 v21, v22, 9, v39
	v_lshl_add_u32 v31, v41, 1, v31
	s_waitcnt vmcnt(0) lgkmcnt(0)
	ds_write_b128 v30, v[6:9]
	v_add_co_u32_e64 v6, s[6:7], s10, v2
	v_mov_b32_e32 v7, s12
	v_addc_co_u32_e64 v7, s[6:7], v7, v3, s[6:7]
	v_add_co_u32_e64 v6, s[6:7], v6, v39
	v_addc_co_u32_e64 v7, s[6:7], 0, v7, s[6:7]
	buffer_store_dword v28, off, s[0:3], 0
	buffer_store_dword v28, off, s[0:3], 0 offset:8
	buffer_store_dword v28, off, s[0:3], 0 offset:4
	;; [unrolled: 1-line block ×3, first 2 shown]
	v_cndmask_b32_e32 v7, v25, v7, vcc
	v_cndmask_b32_e32 v6, v24, v6, vcc
	flat_load_dwordx4 v[6:9], v[6:7]
	v_cmp_gt_i32_e32 vcc, s16, v27
	s_waitcnt vmcnt(0) lgkmcnt(0)
	ds_write_b128 v26, v[6:9]
	v_lshlrev_b64 v[8:9], 2, v[32:33]
	v_add_co_u32_e64 v6, s[6:7], s10, v8
	v_mov_b32_e32 v7, s12
	v_addc_co_u32_e64 v7, s[6:7], v7, v9, s[6:7]
	v_add_co_u32_e64 v6, s[6:7], v6, v39
	v_addc_co_u32_e64 v7, s[6:7], 0, v7, s[6:7]
	buffer_store_dword v28, off, s[0:3], 0
	buffer_store_dword v28, off, s[0:3], 0 offset:8
	buffer_store_dword v28, off, s[0:3], 0 offset:4
	buffer_store_dword v28, off, s[0:3], 0 offset:12
	v_cndmask_b32_e32 v7, v25, v7, vcc
	v_cndmask_b32_e32 v6, v24, v6, vcc
	flat_load_dwordx4 v[32:35], v[6:7]
	v_lshlrev_b64 v[6:7], 2, v[42:43]
	v_cmp_gt_i32_e32 vcc, s16, v22
	s_waitcnt vmcnt(0) lgkmcnt(0)
	ds_write_b128 v23, v[32:35]
	v_add_co_u32_e64 v32, s[6:7], s10, v6
	v_mov_b32_e32 v33, s12
	v_addc_co_u32_e64 v33, s[6:7], v33, v7, s[6:7]
	v_add_co_u32_e64 v32, s[6:7], v32, v39
	v_addc_co_u32_e64 v33, s[6:7], 0, v33, s[6:7]
	buffer_store_dword v28, off, s[0:3], 0
	buffer_store_dword v28, off, s[0:3], 0 offset:8
	buffer_store_dword v28, off, s[0:3], 0 offset:4
	;; [unrolled: 1-line block ×3, first 2 shown]
	v_cndmask_b32_e32 v33, v25, v33, vcc
	v_cndmask_b32_e32 v32, v24, v32, vcc
	flat_load_dwordx4 v[32:35], v[32:33]
	s_or_b32 s6, s20, 32
	s_mul_hi_i32 s7, s6, s8
	s_mul_i32 s6, s6, s8
	s_lshl_b64 s[6:7], s[6:7], 2
	s_add_u32 s10, s18, s6
	s_addc_u32 s11, s19, s7
	s_sub_i32 s12, s16, 32
	v_cmp_gt_i32_e32 vcc, s12, v37
	s_waitcnt vmcnt(0) lgkmcnt(0)
	ds_write_b128 v21, v[32:35]
	v_lshlrev_b32_e32 v32, 9, v41
	v_lshl_add_u32 v32, v5, 3, v32
	s_waitcnt lgkmcnt(0)
	s_barrier
	ds_read2_b64 v[42:45], v32 offset1:32
	ds_read_u16 v33, v31
	ds_read_u16 v34, v31 offset:8
	ds_read_u16 v35, v31 offset:16
	;; [unrolled: 1-line block ×7, first 2 shown]
	s_waitcnt lgkmcnt(7)
	v_pk_mul_f16 v42, v42, v33 op_sel_hi:[1,0]
	v_pk_fma_f16 v54, v46, v0, v42 op_sel_hi:[0,1,1]
	v_pk_mul_f16 v0, v43, v33 op_sel_hi:[1,0]
	v_pk_fma_f16 v1, v1, v46, v0 op_sel_hi:[1,0,1]
	v_add_u32_e32 v0, 0x800, v32
	v_pk_fma_f16 v46, v44, v33, v47 op_sel_hi:[1,0,1]
	v_pk_fma_f16 v33, v45, v33, v48 op_sel_hi:[1,0,1]
	ds_read2_b64 v[42:45], v0 offset1:32
	s_waitcnt lgkmcnt(0)
	v_pk_fma_f16 v48, v43, v34, v1 op_sel_hi:[1,0,1]
	v_add_u32_e32 v1, 0x1000, v32
	v_pk_fma_f16 v47, v42, v34, v54 op_sel_hi:[1,0,1]
	v_pk_fma_f16 v46, v44, v34, v46 op_sel_hi:[1,0,1]
	v_pk_fma_f16 v33, v45, v34, v33 op_sel_hi:[1,0,1]
	ds_read2_b64 v[42:45], v1 offset1:32
	s_waitcnt lgkmcnt(0)
	v_pk_fma_f16 v34, v42, v35, v47 op_sel_hi:[1,0,1]
	v_pk_fma_f16 v47, v43, v35, v48 op_sel_hi:[1,0,1]
	;; [unrolled: 1-line block ×4, first 2 shown]
	v_add_u32_e32 v33, 0x1800, v32
	ds_read2_b64 v[42:45], v33 offset1:32
	s_waitcnt lgkmcnt(0)
	v_pk_fma_f16 v48, v42, v49, v34 op_sel_hi:[1,0,1]
	v_add_u32_e32 v34, 0x2000, v32
	v_pk_fma_f16 v47, v43, v49, v47 op_sel_hi:[1,0,1]
	v_pk_fma_f16 v46, v44, v49, v46 op_sel_hi:[1,0,1]
	v_pk_fma_f16 v35, v45, v49, v35 op_sel_hi:[1,0,1]
	ds_read2_b64 v[42:45], v34 offset1:32
	s_waitcnt lgkmcnt(0)
	v_pk_fma_f16 v49, v45, v50, v35 op_sel_hi:[1,0,1]
	v_add_u32_e32 v35, 0x2800, v32
	v_pk_fma_f16 v48, v42, v50, v48 op_sel_hi:[1,0,1]
	v_pk_fma_f16 v47, v43, v50, v47 op_sel_hi:[1,0,1]
	v_pk_fma_f16 v46, v44, v50, v46 op_sel_hi:[1,0,1]
	;; [unrolled: 7-line block ×4, first 2 shown]
	ds_read2_b64 v[44:47], v43 offset1:32
	s_waitcnt lgkmcnt(0)
	s_barrier
	buffer_store_dword v28, off, s[0:3], 0
	buffer_store_dword v28, off, s[0:3], 0 offset:8
	buffer_store_dword v28, off, s[0:3], 0 offset:4
	;; [unrolled: 1-line block ×3, first 2 shown]
	v_pk_fma_f16 v48, v44, v53, v48 op_sel_hi:[1,0,1]
	v_pk_fma_f16 v51, v45, v53, v51 op_sel_hi:[1,0,1]
	v_add_co_u32_e64 v44, s[6:7], s10, v10
	v_mov_b32_e32 v45, s11
	v_addc_co_u32_e64 v45, s[6:7], v45, v11, s[6:7]
	v_add_co_u32_e64 v44, s[6:7], v44, v39
	v_addc_co_u32_e64 v45, s[6:7], 0, v45, s[6:7]
	v_cndmask_b32_e32 v45, v25, v45, vcc
	v_cndmask_b32_e32 v44, v24, v44, vcc
	v_pk_fma_f16 v50, v46, v53, v50 op_sel_hi:[1,0,1]
	v_pk_fma_f16 v49, v47, v53, v49 op_sel_hi:[1,0,1]
	flat_load_dwordx4 v[44:47], v[44:45]
	v_cmp_gt_i32_e32 vcc, s12, v29
	s_waitcnt vmcnt(0) lgkmcnt(0)
	ds_write_b128 v30, v[44:47]
	v_add_co_u32_e64 v44, s[6:7], s10, v2
	v_mov_b32_e32 v45, s11
	v_addc_co_u32_e64 v45, s[6:7], v45, v3, s[6:7]
	v_add_co_u32_e64 v44, s[6:7], v44, v39
	v_addc_co_u32_e64 v45, s[6:7], 0, v45, s[6:7]
	buffer_store_dword v28, off, s[0:3], 0
	buffer_store_dword v28, off, s[0:3], 0 offset:8
	buffer_store_dword v28, off, s[0:3], 0 offset:4
	buffer_store_dword v28, off, s[0:3], 0 offset:12
	v_cndmask_b32_e32 v45, v25, v45, vcc
	v_cndmask_b32_e32 v44, v24, v44, vcc
	flat_load_dwordx4 v[44:47], v[44:45]
	v_cmp_gt_i32_e32 vcc, s12, v27
	s_waitcnt vmcnt(0) lgkmcnt(0)
	ds_write_b128 v26, v[44:47]
	v_add_co_u32_e64 v44, s[6:7], s10, v8
	v_mov_b32_e32 v45, s11
	v_addc_co_u32_e64 v45, s[6:7], v45, v9, s[6:7]
	v_add_co_u32_e64 v44, s[6:7], v44, v39
	v_addc_co_u32_e64 v45, s[6:7], 0, v45, s[6:7]
	buffer_store_dword v28, off, s[0:3], 0
	buffer_store_dword v28, off, s[0:3], 0 offset:8
	buffer_store_dword v28, off, s[0:3], 0 offset:4
	buffer_store_dword v28, off, s[0:3], 0 offset:12
	v_cndmask_b32_e32 v45, v25, v45, vcc
	v_cndmask_b32_e32 v44, v24, v44, vcc
	;; [unrolled: 15-line block ×3, first 2 shown]
	flat_load_dwordx4 v[44:47], v[44:45]
	s_or_b32 s6, s20, 64
	s_mul_hi_i32 s7, s6, s8
	s_mul_i32 s6, s6, s8
	s_lshl_b64 s[6:7], s[6:7], 2
	s_add_u32 s10, s18, s6
	s_addc_u32 s11, s19, s7
	s_sub_i32 s12, s16, 64
	v_cmp_gt_i32_e32 vcc, s12, v37
	s_waitcnt vmcnt(0) lgkmcnt(0)
	ds_write_b128 v21, v[44:47]
	s_waitcnt lgkmcnt(0)
	s_barrier
	ds_read2_b64 v[44:47], v32 offset1:32
	ds_read_u16 v52, v31 offset:64
	ds_read_u16 v53, v31 offset:72
	;; [unrolled: 1-line block ×8, first 2 shown]
	s_waitcnt lgkmcnt(7)
	v_pk_fma_f16 v48, v44, v52, v48 op_sel_hi:[1,0,1]
	v_pk_fma_f16 v51, v45, v52, v51 op_sel_hi:[1,0,1]
	v_pk_fma_f16 v50, v46, v52, v50 op_sel_hi:[1,0,1]
	v_pk_fma_f16 v49, v47, v52, v49 op_sel_hi:[1,0,1]
	ds_read2_b64 v[44:47], v0 offset1:32
	s_waitcnt lgkmcnt(0)
	v_pk_fma_f16 v48, v44, v53, v48 op_sel_hi:[1,0,1]
	v_pk_fma_f16 v51, v45, v53, v51 op_sel_hi:[1,0,1]
	v_pk_fma_f16 v50, v46, v53, v50 op_sel_hi:[1,0,1]
	v_pk_fma_f16 v49, v47, v53, v49 op_sel_hi:[1,0,1]
	ds_read2_b64 v[44:47], v1 offset1:32
	;; [unrolled: 6-line block ×7, first 2 shown]
	s_waitcnt lgkmcnt(0)
	s_barrier
	buffer_store_dword v28, off, s[0:3], 0
	buffer_store_dword v28, off, s[0:3], 0 offset:8
	buffer_store_dword v28, off, s[0:3], 0 offset:4
	buffer_store_dword v28, off, s[0:3], 0 offset:12
	v_pk_fma_f16 v48, v44, v59, v48 op_sel_hi:[1,0,1]
	v_pk_fma_f16 v51, v45, v59, v51 op_sel_hi:[1,0,1]
	v_add_co_u32_e64 v44, s[6:7], s10, v10
	v_mov_b32_e32 v45, s11
	v_addc_co_u32_e64 v45, s[6:7], v45, v11, s[6:7]
	v_add_co_u32_e64 v44, s[6:7], v44, v39
	v_addc_co_u32_e64 v45, s[6:7], 0, v45, s[6:7]
	v_cndmask_b32_e32 v45, v25, v45, vcc
	v_cndmask_b32_e32 v44, v24, v44, vcc
	v_pk_fma_f16 v50, v46, v59, v50 op_sel_hi:[1,0,1]
	v_pk_fma_f16 v49, v47, v59, v49 op_sel_hi:[1,0,1]
	flat_load_dwordx4 v[44:47], v[44:45]
	v_cmp_gt_i32_e32 vcc, s12, v29
	s_waitcnt vmcnt(0) lgkmcnt(0)
	ds_write_b128 v30, v[44:47]
	v_add_co_u32_e64 v44, s[6:7], s10, v2
	v_mov_b32_e32 v45, s11
	v_addc_co_u32_e64 v45, s[6:7], v45, v3, s[6:7]
	v_add_co_u32_e64 v44, s[6:7], v44, v39
	v_addc_co_u32_e64 v45, s[6:7], 0, v45, s[6:7]
	buffer_store_dword v28, off, s[0:3], 0
	buffer_store_dword v28, off, s[0:3], 0 offset:8
	buffer_store_dword v28, off, s[0:3], 0 offset:4
	buffer_store_dword v28, off, s[0:3], 0 offset:12
	v_cndmask_b32_e32 v45, v25, v45, vcc
	v_cndmask_b32_e32 v44, v24, v44, vcc
	flat_load_dwordx4 v[44:47], v[44:45]
	v_cmp_gt_i32_e32 vcc, s12, v27
	s_waitcnt vmcnt(0) lgkmcnt(0)
	ds_write_b128 v26, v[44:47]
	v_add_co_u32_e64 v44, s[6:7], s10, v8
	v_mov_b32_e32 v45, s11
	v_addc_co_u32_e64 v45, s[6:7], v45, v9, s[6:7]
	v_add_co_u32_e64 v44, s[6:7], v44, v39
	v_addc_co_u32_e64 v45, s[6:7], 0, v45, s[6:7]
	buffer_store_dword v28, off, s[0:3], 0
	buffer_store_dword v28, off, s[0:3], 0 offset:8
	buffer_store_dword v28, off, s[0:3], 0 offset:4
	buffer_store_dword v28, off, s[0:3], 0 offset:12
	v_cndmask_b32_e32 v45, v25, v45, vcc
	v_cndmask_b32_e32 v44, v24, v44, vcc
	;; [unrolled: 15-line block ×3, first 2 shown]
	flat_load_dwordx4 v[44:47], v[44:45]
	s_or_b32 s6, s20, 0x60
	s_mul_hi_i32 s7, s6, s8
	s_mul_i32 s6, s6, s8
	s_lshl_b64 s[6:7], s[6:7], 2
	s_add_u32 s8, s18, s6
	s_addc_u32 s10, s19, s7
	v_add_co_u32_e64 v10, s[6:7], s8, v10
	s_addk_i32 s16, 0xffa0
	v_cmp_gt_i32_e32 vcc, s16, v37
	s_waitcnt vmcnt(0) lgkmcnt(0)
	ds_write_b128 v21, v[44:47]
	s_waitcnt lgkmcnt(0)
	s_barrier
	ds_read2_b64 v[44:47], v32 offset1:32
	ds_read_u16 v52, v31 offset:128
	ds_read_u16 v53, v31 offset:136
	;; [unrolled: 1-line block ×8, first 2 shown]
	s_waitcnt lgkmcnt(7)
	v_pk_fma_f16 v48, v44, v52, v48 op_sel_hi:[1,0,1]
	v_pk_fma_f16 v51, v45, v52, v51 op_sel_hi:[1,0,1]
	v_pk_fma_f16 v50, v46, v52, v50 op_sel_hi:[1,0,1]
	v_pk_fma_f16 v49, v47, v52, v49 op_sel_hi:[1,0,1]
	ds_read2_b64 v[44:47], v0 offset1:32
	s_waitcnt lgkmcnt(0)
	v_pk_fma_f16 v48, v44, v53, v48 op_sel_hi:[1,0,1]
	v_pk_fma_f16 v51, v45, v53, v51 op_sel_hi:[1,0,1]
	v_pk_fma_f16 v50, v46, v53, v50 op_sel_hi:[1,0,1]
	v_pk_fma_f16 v49, v47, v53, v49 op_sel_hi:[1,0,1]
	ds_read2_b64 v[44:47], v1 offset1:32
	;; [unrolled: 6-line block ×7, first 2 shown]
	s_waitcnt lgkmcnt(0)
	s_barrier
	buffer_store_dword v28, off, s[0:3], 0
	buffer_store_dword v28, off, s[0:3], 0 offset:8
	buffer_store_dword v28, off, s[0:3], 0 offset:4
	buffer_store_dword v28, off, s[0:3], 0 offset:12
	v_pk_fma_f16 v48, v44, v59, v48 op_sel_hi:[1,0,1]
	v_mov_b32_e32 v44, s10
	v_addc_co_u32_e64 v11, s[6:7], v44, v11, s[6:7]
	v_add_co_u32_e64 v10, s[6:7], v10, v39
	v_addc_co_u32_e64 v11, s[6:7], 0, v11, s[6:7]
	v_cndmask_b32_e32 v11, v25, v11, vcc
	v_cndmask_b32_e32 v10, v24, v10, vcc
	v_pk_fma_f16 v51, v45, v59, v51 op_sel_hi:[1,0,1]
	v_pk_fma_f16 v50, v46, v59, v50 op_sel_hi:[1,0,1]
	;; [unrolled: 1-line block ×3, first 2 shown]
	flat_load_dwordx4 v[44:47], v[10:11]
	v_add_co_u32_e64 v2, s[6:7], s8, v2
	v_mov_b32_e32 v10, s10
	v_addc_co_u32_e64 v3, s[6:7], v10, v3, s[6:7]
	v_add_co_u32_e64 v2, s[6:7], v2, v39
	v_cmp_gt_i32_e32 vcc, s16, v29
	v_addc_co_u32_e64 v3, s[6:7], 0, v3, s[6:7]
	v_cndmask_b32_e32 v3, v25, v3, vcc
	v_cndmask_b32_e32 v2, v24, v2, vcc
	v_cmp_gt_i32_e32 vcc, s16, v27
	s_waitcnt vmcnt(0) lgkmcnt(0)
	ds_write_b128 v30, v[44:47]
	buffer_store_dword v28, off, s[0:3], 0
	buffer_store_dword v28, off, s[0:3], 0 offset:8
	buffer_store_dword v28, off, s[0:3], 0 offset:4
	buffer_store_dword v28, off, s[0:3], 0 offset:12
	flat_load_dwordx4 v[44:47], v[2:3]
	v_add_co_u32_e64 v2, s[6:7], s8, v8
	v_mov_b32_e32 v3, s10
	v_addc_co_u32_e64 v3, s[6:7], v3, v9, s[6:7]
	v_add_co_u32_e64 v2, s[6:7], v2, v39
	v_addc_co_u32_e64 v3, s[6:7], 0, v3, s[6:7]
	v_cndmask_b32_e32 v3, v25, v3, vcc
	v_cndmask_b32_e32 v2, v24, v2, vcc
	v_cmp_gt_i32_e32 vcc, s16, v22
	s_waitcnt vmcnt(0) lgkmcnt(0)
	ds_write_b128 v26, v[44:47]
	buffer_store_dword v28, off, s[0:3], 0
	buffer_store_dword v28, off, s[0:3], 0 offset:8
	buffer_store_dword v28, off, s[0:3], 0 offset:4
	;; [unrolled: 1-line block ×3, first 2 shown]
	flat_load_dwordx4 v[8:11], v[2:3]
	v_add_co_u32_e64 v2, s[6:7], s8, v6
	v_mov_b32_e32 v3, s10
	v_addc_co_u32_e64 v3, s[6:7], v3, v7, s[6:7]
	v_add_co_u32_e64 v2, s[6:7], v2, v39
	v_addc_co_u32_e64 v3, s[6:7], 0, v3, s[6:7]
	v_cndmask_b32_e32 v3, v25, v3, vcc
	v_cndmask_b32_e32 v2, v24, v2, vcc
	s_waitcnt vmcnt(0) lgkmcnt(0)
	ds_write_b128 v23, v[8:11]
	buffer_store_dword v28, off, s[0:3], 0
	buffer_store_dword v28, off, s[0:3], 0 offset:8
	buffer_store_dword v28, off, s[0:3], 0 offset:4
	;; [unrolled: 1-line block ×3, first 2 shown]
	flat_load_dwordx4 v[6:9], v[2:3]
	s_waitcnt vmcnt(0) lgkmcnt(0)
	ds_write_b128 v21, v[6:9]
	s_waitcnt lgkmcnt(0)
	s_barrier
	ds_read2_b64 v[6:9], v32 offset1:32
	ds_read_u16 v2, v31 offset:192
	ds_read_u16 v3, v31 offset:200
	ds_read_u16 v10, v31 offset:208
	ds_read_u16 v11, v31 offset:216
	ds_read_u16 v21, v31 offset:224
	ds_read_u16 v22, v31 offset:232
	ds_read_u16 v23, v31 offset:240
	ds_read_u16 v24, v31 offset:248
	s_waitcnt lgkmcnt(7)
	v_pk_fma_f16 v25, v6, v2, v48 op_sel_hi:[1,0,1]
	v_pk_fma_f16 v26, v7, v2, v51 op_sel_hi:[1,0,1]
	v_pk_fma_f16 v27, v8, v2, v50 op_sel_hi:[1,0,1]
	v_pk_fma_f16 v2, v9, v2, v49 op_sel_hi:[1,0,1]
	ds_read2_b64 v[6:9], v0 offset1:32
	s_waitcnt lgkmcnt(0)
	v_pk_fma_f16 v6, v6, v3, v25 op_sel_hi:[1,0,1]
	v_pk_fma_f16 v7, v7, v3, v26 op_sel_hi:[1,0,1]
	v_pk_fma_f16 v8, v8, v3, v27 op_sel_hi:[1,0,1]
	v_pk_fma_f16 v9, v9, v3, v2 op_sel_hi:[1,0,1]
	ds_read2_b64 v[0:3], v1 offset1:32
	;; [unrolled: 6-line block ×7, first 2 shown]
	s_waitcnt lgkmcnt(0)
	s_barrier
	v_pk_fma_f16 v0, v0, v24, v6 op_sel_hi:[1,0,1]
	v_pk_fma_f16 v1, v1, v24, v7 op_sel_hi:[1,0,1]
	;; [unrolled: 1-line block ×4, first 2 shown]
	v_mov_b32_e32 v8, v20
	v_mov_b32_e32 v20, v41
.LBB74_37:
	v_cmp_lt_i32_e32 vcc, v15, v14
	v_cndmask_b32_e32 v6, v12, v15, vcc
	v_lshlrev_b32_e32 v6, 2, v6
	ds_bpermute_b32 v6, v6, v13
	v_cmp_lt_i32_e32 vcc, v16, v14
	v_cndmask_b32_e32 v7, v12, v16, vcc
	v_lshlrev_b32_e32 v7, 2, v7
	v_cmp_lt_i32_e32 vcc, v17, v14
	s_waitcnt lgkmcnt(0)
	v_add_f32_e32 v6, v13, v6
	ds_bpermute_b32 v7, v7, v6
	v_cndmask_b32_e32 v9, v12, v17, vcc
	v_lshlrev_b32_e32 v9, 2, v9
	v_cmp_lt_i32_e32 vcc, v18, v14
	v_cmp_ne_u32_e64 s[6:7], 0, v20
	s_waitcnt lgkmcnt(0)
	v_add_f32_e32 v6, v6, v7
	ds_bpermute_b32 v7, v9, v6
	v_cndmask_b32_e32 v9, v12, v18, vcc
	v_lshlrev_b32_e32 v9, 2, v9
	v_cmp_lt_i32_e32 vcc, v19, v14
	s_waitcnt lgkmcnt(0)
	v_add_f32_e32 v6, v6, v7
	ds_bpermute_b32 v7, v9, v6
	v_cndmask_b32_e32 v9, v12, v19, vcc
	v_lshlrev_b32_e32 v9, 2, v9
	v_cmp_eq_u32_e32 vcc, 0, v20
	s_waitcnt lgkmcnt(0)
	v_add_f32_e32 v6, v6, v7
	ds_bpermute_b32 v7, v9, v6
	s_waitcnt lgkmcnt(0)
	v_add_f32_e32 v9, v6, v7
	s_and_saveexec_b64 s[10:11], s[6:7]
	s_xor_b64 s[10:11], exec, s[10:11]
	s_cbranch_execnz .LBB74_41
; %bb.38:
	s_andn2_saveexec_b64 s[6:7], s[10:11]
	s_cbranch_execnz .LBB74_44
.LBB74_39:
	s_or_b64 exec, exec, s[6:7]
	s_and_saveexec_b64 s[6:7], vcc
	s_cbranch_execnz .LBB74_45
.LBB74_40:
	s_endpgm
.LBB74_41:
	v_lshl_add_u32 v6, v38, 2, v39
	v_cmp_eq_u32_e64 s[6:7], 0, v5
	ds_write_b128 v6, v[0:3]
	s_and_saveexec_b64 s[12:13], s[6:7]
	s_cbranch_execz .LBB74_43
; %bb.42:
	ds_write_b32 v40, v9 offset:18432
.LBB74_43:
	s_or_b64 exec, exec, s[12:13]
                                        ; implicit-def: $vgpr37
                                        ; implicit-def: $vgpr40
	s_andn2_saveexec_b64 s[6:7], s[10:11]
	s_cbranch_execz .LBB74_39
.LBB74_44:
	v_lshlrev_b32_e32 v6, 9, v37
	v_lshl_add_u32 v18, v4, 2, v6
	s_waitcnt lgkmcnt(0)
	s_barrier
	ds_read_b128 v[10:13], v18 offset:512
	ds_read_b128 v[14:17], v18 offset:1024
	s_waitcnt lgkmcnt(1)
	v_pk_add_f16 v10, v10, v0
	v_add_u32_e32 v0, 0x4804, v40
	ds_read2_b32 v[6:7], v0 offset1:1
	v_pk_add_f16 v11, v11, v1
	v_pk_add_f16 v12, v12, v2
	v_pk_add_f16 v13, v13, v3
	ds_read_b128 v[0:3], v18 offset:1536
	s_waitcnt lgkmcnt(1)
	v_add_f32_e32 v6, v9, v6
	v_add_f32_e32 v6, v6, v7
	ds_read_b32 v7, v40 offset:18444
	v_pk_add_f16 v9, v14, v10
	v_pk_add_f16 v10, v15, v11
	;; [unrolled: 1-line block ×4, first 2 shown]
	s_waitcnt lgkmcnt(1)
	v_pk_add_f16 v0, v0, v9
	v_pk_add_f16 v1, v1, v10
	;; [unrolled: 1-line block ×4, first 2 shown]
	s_waitcnt lgkmcnt(0)
	v_add_f32_e32 v9, v6, v7
	s_or_b64 exec, exec, s[6:7]
	s_and_saveexec_b64 s[6:7], vcc
	s_cbranch_execz .LBB74_40
.LBB74_45:
	s_cmp_eq_u64 s[24:25], 0
	s_cselect_b64 s[6:7], -1, 0
	s_cmp_lg_u32 s9, 0
	s_cselect_b64 s[10:11], -1, 0
	s_or_b64 s[6:7], s[10:11], s[6:7]
	s_and_b64 vcc, exec, s[6:7]
	s_cbranch_vccnz .LBB74_47
; %bb.46:
	s_lshl_b64 s[6:7], s[34:35], 2
	s_add_u32 s6, s24, s6
	s_addc_u32 s7, s25, s7
	v_mov_b32_e32 v6, 0
	global_load_dword v7, v6, s[6:7]
	v_max_f32_e32 v6, v8, v8
	s_mov_b32 s6, 0x3fb8aa3b
	s_mov_b32 s7, 0xc2ce8ed0
	s_waitcnt vmcnt(0)
	v_max_f32_e32 v10, v7, v7
	v_max_f32_e32 v6, v6, v10
	v_sub_f32_e32 v8, v8, v6
	v_sub_f32_e32 v7, v7, v6
	v_mul_f32_e32 v10, 0x3fb8aa3b, v8
	v_mul_f32_e32 v11, 0x3fb8aa3b, v7
	v_fma_f32 v12, v8, s6, -v10
	v_rndne_f32_e32 v13, v10
	v_fma_f32 v14, v7, s6, -v11
	v_rndne_f32_e32 v15, v11
	v_fmac_f32_e32 v12, 0x32a5705f, v8
	v_sub_f32_e32 v10, v10, v13
	v_fmac_f32_e32 v14, 0x32a5705f, v7
	v_sub_f32_e32 v11, v11, v15
	v_add_f32_e32 v10, v10, v12
	v_cvt_i32_f32_e32 v13, v13
	v_add_f32_e32 v11, v11, v14
	v_exp_f32_e32 v10, v10
	v_cvt_i32_f32_e32 v15, v15
	v_exp_f32_e32 v11, v11
	v_cmp_ngt_f32_e32 vcc, s7, v8
	v_ldexp_f32 v10, v10, v13
	s_mov_b32 s6, 0x42b17218
	v_ldexp_f32 v11, v11, v15
	v_cndmask_b32_e32 v10, 0, v10, vcc
	v_cmp_ngt_f32_e32 vcc, s7, v7
	v_mov_b32_e32 v12, 0x7f800000
	v_cndmask_b32_e32 v11, 0, v11, vcc
	v_cmp_nlt_f32_e32 vcc, s6, v8
	v_cndmask_b32_e32 v8, v12, v10, vcc
	v_cvt_f16_f32_e32 v10, v8
	v_cmp_nlt_f32_e32 vcc, s6, v7
	v_cndmask_b32_e32 v7, v12, v11, vcc
	v_fmac_f32_e32 v7, v9, v8
	v_pk_mul_f16 v0, v10, v0 op_sel_hi:[0,1]
	v_pk_mul_f16 v1, v10, v1 op_sel_hi:[0,1]
	v_pk_mul_f16 v2, v10, v2 op_sel_hi:[0,1]
	v_pk_mul_f16 v3, v10, v3 op_sel_hi:[0,1]
	v_pk_mov_b32 v[8:9], v[6:7], v[6:7] op_sel:[0,1]
	v_cmp_gt_i32_e32 vcc, s38, v36
	s_and_b64 exec, exec, vcc
	s_cbranch_execz .LBB74_40
	s_branch .LBB74_48
.LBB74_47:
	v_mov_b32_e32 v7, v9
	v_cmp_gt_i32_e32 vcc, s38, v36
	s_and_b64 exec, exec, vcc
	s_cbranch_execz .LBB74_40
.LBB74_48:
	s_load_dword s6, s[4:5], 0xd4
	v_div_scale_f32 v6, s[4:5], v7, v7, 1.0
	v_rcp_f32_e32 v10, v6
	s_mul_i32 s33, s33, s38
	s_waitcnt lgkmcnt(0)
	s_cmp_lg_u32 s6, 1
	s_cselect_b64 s[4:5], -1, 0
	v_fma_f32 v11, -v6, v10, 1.0
	v_fmac_f32_e32 v10, v11, v10
	v_div_scale_f32 v11, vcc, 1.0, v7, 1.0
	v_mul_f32_e32 v12, v11, v10
	v_fma_f32 v13, -v6, v12, v11
	v_fmac_f32_e32 v12, v13, v10
	v_fma_f32 v6, -v6, v12, v11
	v_div_fmas_f32 v6, v6, v10, v12
	v_div_fixup_f32 v6, v6, v7, 1.0
	v_cndmask_b32_e64 v14, v6, 1.0, s[4:5]
	v_add_u32_e32 v6, s33, v36
	v_mul_lo_u32 v6, v6, s39
	v_add_u32_e32 v6, s34, v6
	v_mul_lo_u32 v6, s6, v6
	v_add_u32_e32 v6, s9, v6
	v_cvt_f32_f16_sdwa v13, v0 dst_sel:DWORD dst_unused:UNUSED_PAD src0_sel:WORD_1
	v_cvt_f32_f16_e32 v12, v0
	v_cvt_f32_f16_sdwa v19, v1 dst_sel:DWORD dst_unused:UNUSED_PAD src0_sel:WORD_1
	v_cvt_f32_f16_e32 v18, v1
	v_lshl_add_u32 v16, v6, 8, v4
	v_mov_b32_e32 v17, 0
	v_lshlrev_b64 v[10:11], 2, v[16:17]
	v_mov_b32_e32 v4, s29
	v_add_co_u32_e32 v0, vcc, s28, v10
	v_addc_co_u32_e32 v1, vcc, v4, v11, vcc
	v_pk_mul_f32 v[10:11], v[14:15], v[12:13] op_sel_hi:[0,1]
	v_pk_mul_f32 v[12:13], v[14:15], v[18:19] op_sel_hi:[0,1]
	v_add_u32_e32 v16, 0x80, v16
	global_store_dwordx4 v[0:1], v[10:13], off
	v_lshlrev_b64 v[0:1], 2, v[16:17]
	v_cvt_f32_f16_sdwa v11, v2 dst_sel:DWORD dst_unused:UNUSED_PAD src0_sel:WORD_1
	v_cvt_f32_f16_e32 v10, v2
	v_cvt_f32_f16_sdwa v13, v3 dst_sel:DWORD dst_unused:UNUSED_PAD src0_sel:WORD_1
	v_cvt_f32_f16_e32 v12, v3
	v_add_co_u32_e32 v16, vcc, s28, v0
	v_addc_co_u32_e32 v17, vcc, v4, v1, vcc
	v_cmp_eq_u32_e32 vcc, 0, v5
	v_pk_mul_f32 v[0:1], v[14:15], v[10:11] op_sel_hi:[0,1]
	v_pk_mul_f32 v[2:3], v[14:15], v[12:13] op_sel_hi:[0,1]
	s_and_b64 s[4:5], vcc, s[4:5]
	global_store_dwordx4 v[16:17], v[0:3], off
	s_and_b64 exec, exec, s[4:5]
	s_cbranch_execz .LBB74_40
; %bb.49:
	v_ashrrev_i32_e32 v7, 31, v6
	v_lshlrev_b64 v[0:1], 3, v[6:7]
	v_mov_b32_e32 v2, s31
	v_add_co_u32_e32 v0, vcc, s30, v0
	v_addc_co_u32_e32 v1, vcc, v2, v1, vcc
	global_store_dwordx2 v[0:1], v[8:9], off
	s_endpgm
	.section	.rodata,"a",@progbits
	.p2align	6, 0x0
	.amdhsa_kernel _ZL15flash_attn_tileILi256ELi256ELi2ELi1ELb1EEvPKcS1_S1_S1_S1_PKiPfP15HIP_vector_typeIfLj2EEffffjfiS5_IjLj3EEiiiiiiiiiiiliiliiiiil
		.amdhsa_group_segment_fixed_size 20032
		.amdhsa_private_segment_fixed_size 32
		.amdhsa_kernarg_size 464
		.amdhsa_user_sgpr_count 8
		.amdhsa_user_sgpr_private_segment_buffer 1
		.amdhsa_user_sgpr_dispatch_ptr 0
		.amdhsa_user_sgpr_queue_ptr 0
		.amdhsa_user_sgpr_kernarg_segment_ptr 1
		.amdhsa_user_sgpr_dispatch_id 0
		.amdhsa_user_sgpr_flat_scratch_init 1
		.amdhsa_user_sgpr_kernarg_preload_length 0
		.amdhsa_user_sgpr_kernarg_preload_offset 0
		.amdhsa_user_sgpr_private_segment_size 0
		.amdhsa_uses_dynamic_stack 0
		.amdhsa_system_sgpr_private_segment_wavefront_offset 1
		.amdhsa_system_sgpr_workgroup_id_x 1
		.amdhsa_system_sgpr_workgroup_id_y 1
		.amdhsa_system_sgpr_workgroup_id_z 1
		.amdhsa_system_sgpr_workgroup_info 0
		.amdhsa_system_vgpr_workitem_id 1
		.amdhsa_next_free_vgpr 94
		.amdhsa_next_free_sgpr 56
		.amdhsa_accum_offset 96
		.amdhsa_reserve_vcc 1
		.amdhsa_reserve_flat_scratch 1
		.amdhsa_float_round_mode_32 0
		.amdhsa_float_round_mode_16_64 0
		.amdhsa_float_denorm_mode_32 3
		.amdhsa_float_denorm_mode_16_64 3
		.amdhsa_dx10_clamp 1
		.amdhsa_ieee_mode 1
		.amdhsa_fp16_overflow 0
		.amdhsa_tg_split 0
		.amdhsa_exception_fp_ieee_invalid_op 0
		.amdhsa_exception_fp_denorm_src 0
		.amdhsa_exception_fp_ieee_div_zero 0
		.amdhsa_exception_fp_ieee_overflow 0
		.amdhsa_exception_fp_ieee_underflow 0
		.amdhsa_exception_fp_ieee_inexact 0
		.amdhsa_exception_int_div_zero 0
	.end_amdhsa_kernel
	.section	.text._ZL15flash_attn_tileILi256ELi256ELi2ELi1ELb1EEvPKcS1_S1_S1_S1_PKiPfP15HIP_vector_typeIfLj2EEffffjfiS5_IjLj3EEiiiiiiiiiiiliiliiiiil,"axG",@progbits,_ZL15flash_attn_tileILi256ELi256ELi2ELi1ELb1EEvPKcS1_S1_S1_S1_PKiPfP15HIP_vector_typeIfLj2EEffffjfiS5_IjLj3EEiiiiiiiiiiiliiliiiiil,comdat
.Lfunc_end74:
	.size	_ZL15flash_attn_tileILi256ELi256ELi2ELi1ELb1EEvPKcS1_S1_S1_S1_PKiPfP15HIP_vector_typeIfLj2EEffffjfiS5_IjLj3EEiiiiiiiiiiiliiliiiiil, .Lfunc_end74-_ZL15flash_attn_tileILi256ELi256ELi2ELi1ELb1EEvPKcS1_S1_S1_S1_PKiPfP15HIP_vector_typeIfLj2EEffffjfiS5_IjLj3EEiiiiiiiiiiiliiliiiiil
                                        ; -- End function
	.section	.AMDGPU.csdata,"",@progbits
; Kernel info:
; codeLenInByte = 17408
; NumSgprs: 62
; NumVgprs: 94
; NumAgprs: 0
; TotalNumVgprs: 94
; ScratchSize: 32
; MemoryBound: 0
; FloatMode: 240
; IeeeMode: 1
; LDSByteSize: 20032 bytes/workgroup (compile time only)
; SGPRBlocks: 7
; VGPRBlocks: 11
; NumSGPRsForWavesPerEU: 62
; NumVGPRsForWavesPerEU: 94
; AccumOffset: 96
; Occupancy: 3
; WaveLimiterHint : 1
; COMPUTE_PGM_RSRC2:SCRATCH_EN: 1
; COMPUTE_PGM_RSRC2:USER_SGPR: 8
; COMPUTE_PGM_RSRC2:TRAP_HANDLER: 0
; COMPUTE_PGM_RSRC2:TGID_X_EN: 1
; COMPUTE_PGM_RSRC2:TGID_Y_EN: 1
; COMPUTE_PGM_RSRC2:TGID_Z_EN: 1
; COMPUTE_PGM_RSRC2:TIDIG_COMP_CNT: 1
; COMPUTE_PGM_RSRC3_GFX90A:ACCUM_OFFSET: 23
; COMPUTE_PGM_RSRC3_GFX90A:TG_SPLIT: 0
	.text
	.p2alignl 6, 3212836864
	.fill 256, 4, 3212836864
	.type	__hip_cuid_93bbd0950d54e5ae,@object ; @__hip_cuid_93bbd0950d54e5ae
	.section	.bss,"aw",@nobits
	.globl	__hip_cuid_93bbd0950d54e5ae
__hip_cuid_93bbd0950d54e5ae:
	.byte	0                               ; 0x0
	.size	__hip_cuid_93bbd0950d54e5ae, 1

	.ident	"AMD clang version 19.0.0git (https://github.com/RadeonOpenCompute/llvm-project roc-6.4.0 25133 c7fe45cf4b819c5991fe208aaa96edf142730f1d)"
	.section	".note.GNU-stack","",@progbits
	.addrsig
	.addrsig_sym __hip_cuid_93bbd0950d54e5ae
	.amdgpu_metadata
---
amdhsa.kernels:
  - .agpr_count:     0
    .args:
      - .address_space:  global
        .offset:         0
        .size:           8
        .value_kind:     global_buffer
      - .address_space:  global
        .offset:         8
        .size:           8
        .value_kind:     global_buffer
      - .address_space:  global
        .offset:         16
        .size:           8
        .value_kind:     global_buffer
      - .address_space:  global
        .offset:         24
        .size:           8
        .value_kind:     global_buffer
      - .address_space:  global
        .offset:         32
        .size:           8
        .value_kind:     global_buffer
      - .address_space:  global
        .offset:         40
        .size:           8
        .value_kind:     global_buffer
      - .address_space:  global
        .offset:         48
        .size:           8
        .value_kind:     global_buffer
      - .address_space:  global
        .offset:         56
        .size:           8
        .value_kind:     global_buffer
      - .offset:         64
        .size:           4
        .value_kind:     by_value
      - .offset:         68
        .size:           4
        .value_kind:     by_value
      - .offset:         72
        .size:           4
        .value_kind:     by_value
      - .offset:         76
        .size:           4
        .value_kind:     by_value
      - .offset:         80
        .size:           4
        .value_kind:     by_value
      - .offset:         84
        .size:           4
        .value_kind:     by_value
      - .offset:         88
        .size:           4
        .value_kind:     by_value
      - .offset:         92
        .size:           12
        .value_kind:     by_value
      - .offset:         104
        .size:           4
        .value_kind:     by_value
      - .offset:         108
        .size:           4
        .value_kind:     by_value
      - .offset:         112
        .size:           4
        .value_kind:     by_value
      - .offset:         116
        .size:           4
        .value_kind:     by_value
      - .offset:         120
        .size:           4
        .value_kind:     by_value
      - .offset:         124
        .size:           4
        .value_kind:     by_value
      - .offset:         128
        .size:           4
        .value_kind:     by_value
      - .offset:         132
        .size:           4
        .value_kind:     by_value
      - .offset:         136
        .size:           4
        .value_kind:     by_value
      - .offset:         140
        .size:           4
        .value_kind:     by_value
      - .offset:         144
        .size:           4
        .value_kind:     by_value
      - .offset:         152
        .size:           8
        .value_kind:     by_value
      - .offset:         160
        .size:           4
        .value_kind:     by_value
      - .offset:         164
        .size:           4
        .value_kind:     by_value
      - .offset:         168
        .size:           8
        .value_kind:     by_value
      - .offset:         176
        .size:           4
        .value_kind:     by_value
      - .offset:         180
        .size:           4
        .value_kind:     by_value
      - .offset:         184
        .size:           4
        .value_kind:     by_value
      - .offset:         188
        .size:           4
        .value_kind:     by_value
      - .offset:         192
        .size:           4
        .value_kind:     by_value
      - .offset:         200
        .size:           8
        .value_kind:     by_value
      - .offset:         208
        .size:           4
        .value_kind:     hidden_block_count_x
      - .offset:         212
        .size:           4
        .value_kind:     hidden_block_count_y
      - .offset:         216
        .size:           4
        .value_kind:     hidden_block_count_z
      - .offset:         220
        .size:           2
        .value_kind:     hidden_group_size_x
      - .offset:         222
        .size:           2
        .value_kind:     hidden_group_size_y
      - .offset:         224
        .size:           2
        .value_kind:     hidden_group_size_z
      - .offset:         226
        .size:           2
        .value_kind:     hidden_remainder_x
      - .offset:         228
        .size:           2
        .value_kind:     hidden_remainder_y
      - .offset:         230
        .size:           2
        .value_kind:     hidden_remainder_z
      - .offset:         248
        .size:           8
        .value_kind:     hidden_global_offset_x
      - .offset:         256
        .size:           8
        .value_kind:     hidden_global_offset_y
      - .offset:         264
        .size:           8
        .value_kind:     hidden_global_offset_z
      - .offset:         272
        .size:           2
        .value_kind:     hidden_grid_dims
    .group_segment_fixed_size: 27136
    .kernarg_segment_align: 8
    .kernarg_segment_size: 464
    .language:       OpenCL C
    .language_version:
      - 2
      - 0
    .max_flat_workgroup_size: 256
    .name:           _ZL15flash_attn_tileILi256ELi256ELi4ELi8ELb0EEvPKcS1_S1_S1_S1_PKiPfP15HIP_vector_typeIfLj2EEffffjfiS5_IjLj3EEiiiiiiiiiiiliiliiiiil
    .private_segment_fixed_size: 0
    .sgpr_count:     47
    .sgpr_spill_count: 0
    .symbol:         _ZL15flash_attn_tileILi256ELi256ELi4ELi8ELb0EEvPKcS1_S1_S1_S1_PKiPfP15HIP_vector_typeIfLj2EEffffjfiS5_IjLj3EEiiiiiiiiiiiliiliiiiil.kd
    .uniform_work_group_size: 1
    .uses_dynamic_stack: false
    .vgpr_count:     171
    .vgpr_spill_count: 0
    .wavefront_size: 64
  - .agpr_count:     0
    .args:
      - .actual_access:  read_only
        .address_space:  global
        .offset:         0
        .size:           8
        .value_kind:     global_buffer
      - .actual_access:  write_only
        .address_space:  global
        .offset:         8
        .size:           8
        .value_kind:     global_buffer
      - .offset:         16
        .size:           4
        .value_kind:     by_value
      - .offset:         20
        .size:           4
        .value_kind:     by_value
      - .offset:         24
        .size:           4
        .value_kind:     by_value
      - .offset:         32
        .size:           4
        .value_kind:     hidden_block_count_x
      - .offset:         36
        .size:           4
        .value_kind:     hidden_block_count_y
      - .offset:         40
        .size:           4
        .value_kind:     hidden_block_count_z
      - .offset:         44
        .size:           2
        .value_kind:     hidden_group_size_x
      - .offset:         46
        .size:           2
        .value_kind:     hidden_group_size_y
      - .offset:         48
        .size:           2
        .value_kind:     hidden_group_size_z
      - .offset:         50
        .size:           2
        .value_kind:     hidden_remainder_x
      - .offset:         52
        .size:           2
        .value_kind:     hidden_remainder_y
      - .offset:         54
        .size:           2
        .value_kind:     hidden_remainder_z
      - .offset:         72
        .size:           8
        .value_kind:     hidden_global_offset_x
      - .offset:         80
        .size:           8
        .value_kind:     hidden_global_offset_y
      - .offset:         88
        .size:           8
        .value_kind:     hidden_global_offset_z
      - .offset:         96
        .size:           2
        .value_kind:     hidden_grid_dims
    .group_segment_fixed_size: 128
    .kernarg_segment_align: 8
    .kernarg_segment_size: 288
    .language:       OpenCL C
    .language_version:
      - 2
      - 0
    .max_flat_workgroup_size: 128
    .name:           _ZL25flash_attn_mask_to_KV_maxILi4EEvPK7__half2Piiii
    .private_segment_fixed_size: 0
    .sgpr_count:     40
    .sgpr_spill_count: 0
    .symbol:         _ZL25flash_attn_mask_to_KV_maxILi4EEvPK7__half2Piiii.kd
    .uniform_work_group_size: 1
    .uses_dynamic_stack: false
    .vgpr_count:     17
    .vgpr_spill_count: 0
    .wavefront_size: 64
  - .agpr_count:     0
    .args:
      - .address_space:  global
        .offset:         0
        .size:           8
        .value_kind:     global_buffer
      - .address_space:  global
        .offset:         8
        .size:           8
        .value_kind:     global_buffer
      - .offset:         16
        .size:           4
        .value_kind:     by_value
      - .offset:         20
        .size:           4
        .value_kind:     by_value
      - .offset:         24
        .size:           4
        .value_kind:     by_value
      - .offset:         28
        .size:           4
        .value_kind:     by_value
      - .offset:         32
        .size:           4
        .value_kind:     by_value
      - .offset:         36
        .size:           4
        .value_kind:     by_value
      - .offset:         40
        .size:           12
        .value_kind:     by_value
      - .offset:         52
        .size:           12
        .value_kind:     by_value
      - .offset:         64
        .size:           12
        .value_kind:     by_value
    .group_segment_fixed_size: 0
    .kernarg_segment_align: 8
    .kernarg_segment_size: 76
    .language:       OpenCL C
    .language_version:
      - 2
      - 0
    .max_flat_workgroup_size: 256
    .name:           _ZL33flash_attn_stream_k_fixup_uniformILi256ELi4ELi8EEvPfPK15HIP_vector_typeIfLj2EEiiiiiiS1_IjLj3EES5_S5_
    .private_segment_fixed_size: 0
    .sgpr_count:     24
    .sgpr_spill_count: 0
    .symbol:         _ZL33flash_attn_stream_k_fixup_uniformILi256ELi4ELi8EEvPfPK15HIP_vector_typeIfLj2EEiiiiiiS1_IjLj3EES5_S5_.kd
    .uniform_work_group_size: 1
    .uses_dynamic_stack: false
    .vgpr_count:     17
    .vgpr_spill_count: 0
    .wavefront_size: 64
  - .agpr_count:     0
    .args:
      - .address_space:  global
        .offset:         0
        .size:           8
        .value_kind:     global_buffer
      - .address_space:  global
        .offset:         8
        .size:           8
        .value_kind:     global_buffer
      - .offset:         16
        .size:           4
        .value_kind:     by_value
      - .offset:         20
        .size:           4
        .value_kind:     by_value
      - .offset:         24
        .size:           4
        .value_kind:     by_value
      - .offset:         28
        .size:           4
        .value_kind:     by_value
      - .offset:         32
        .size:           12
        .value_kind:     by_value
      - .offset:         44
        .size:           12
        .value_kind:     by_value
      - .offset:         56
        .size:           12
        .value_kind:     by_value
      - .offset:         68
        .size:           12
        .value_kind:     by_value
      - .offset:         80
        .size:           4
        .value_kind:     hidden_block_count_x
      - .offset:         84
        .size:           4
        .value_kind:     hidden_block_count_y
      - .offset:         88
        .size:           4
        .value_kind:     hidden_block_count_z
      - .offset:         92
        .size:           2
        .value_kind:     hidden_group_size_x
      - .offset:         94
        .size:           2
        .value_kind:     hidden_group_size_y
      - .offset:         96
        .size:           2
        .value_kind:     hidden_group_size_z
      - .offset:         98
        .size:           2
        .value_kind:     hidden_remainder_x
      - .offset:         100
        .size:           2
        .value_kind:     hidden_remainder_y
      - .offset:         102
        .size:           2
        .value_kind:     hidden_remainder_z
      - .offset:         120
        .size:           8
        .value_kind:     hidden_global_offset_x
      - .offset:         128
        .size:           8
        .value_kind:     hidden_global_offset_y
      - .offset:         136
        .size:           8
        .value_kind:     hidden_global_offset_z
      - .offset:         144
        .size:           2
        .value_kind:     hidden_grid_dims
    .group_segment_fixed_size: 0
    .kernarg_segment_align: 8
    .kernarg_segment_size: 336
    .language:       OpenCL C
    .language_version:
      - 2
      - 0
    .max_flat_workgroup_size: 256
    .name:           _ZL33flash_attn_stream_k_fixup_generalILi256ELi4ELi8EEvPfPK15HIP_vector_typeIfLj2EEiiiiS1_IjLj3EES5_S5_S5_
    .private_segment_fixed_size: 0
    .sgpr_count:     36
    .sgpr_spill_count: 0
    .symbol:         _ZL33flash_attn_stream_k_fixup_generalILi256ELi4ELi8EEvPfPK15HIP_vector_typeIfLj2EEiiiiS1_IjLj3EES5_S5_S5_.kd
    .uniform_work_group_size: 1
    .uses_dynamic_stack: false
    .vgpr_count:     22
    .vgpr_spill_count: 0
    .wavefront_size: 64
  - .agpr_count:     0
    .args:
      - .address_space:  global
        .offset:         0
        .size:           8
        .value_kind:     global_buffer
      - .address_space:  global
        .offset:         8
        .size:           8
        .value_kind:     global_buffer
      - .address_space:  global
        .offset:         16
        .size:           8
        .value_kind:     global_buffer
      - .offset:         24
        .size:           4
        .value_kind:     by_value
      - .offset:         32
        .size:           4
        .value_kind:     hidden_block_count_x
      - .offset:         36
        .size:           4
        .value_kind:     hidden_block_count_y
      - .offset:         40
        .size:           4
        .value_kind:     hidden_block_count_z
      - .offset:         44
        .size:           2
        .value_kind:     hidden_group_size_x
      - .offset:         46
        .size:           2
        .value_kind:     hidden_group_size_y
      - .offset:         48
        .size:           2
        .value_kind:     hidden_group_size_z
      - .offset:         50
        .size:           2
        .value_kind:     hidden_remainder_x
      - .offset:         52
        .size:           2
        .value_kind:     hidden_remainder_y
      - .offset:         54
        .size:           2
        .value_kind:     hidden_remainder_z
      - .offset:         72
        .size:           8
        .value_kind:     hidden_global_offset_x
      - .offset:         80
        .size:           8
        .value_kind:     hidden_global_offset_y
      - .offset:         88
        .size:           8
        .value_kind:     hidden_global_offset_z
      - .offset:         96
        .size:           2
        .value_kind:     hidden_grid_dims
      - .offset:         152
        .size:           4
        .value_kind:     hidden_dynamic_lds_size
    .group_segment_fixed_size: 0
    .kernarg_segment_align: 8
    .kernarg_segment_size: 288
    .language:       OpenCL C
    .language_version:
      - 2
      - 0
    .max_flat_workgroup_size: 256
    .name:           _ZL26flash_attn_combine_resultsILi256EEvPKfPK15HIP_vector_typeIfLj2EEPfi
    .private_segment_fixed_size: 0
    .sgpr_count:     30
    .sgpr_spill_count: 0
    .symbol:         _ZL26flash_attn_combine_resultsILi256EEvPKfPK15HIP_vector_typeIfLj2EEPfi.kd
    .uniform_work_group_size: 1
    .uses_dynamic_stack: false
    .vgpr_count:     51
    .vgpr_spill_count: 0
    .wavefront_size: 64
  - .agpr_count:     0
    .args:
      - .address_space:  global
        .offset:         0
        .size:           8
        .value_kind:     global_buffer
      - .address_space:  global
        .offset:         8
        .size:           8
        .value_kind:     global_buffer
      - .address_space:  global
        .offset:         16
        .size:           8
        .value_kind:     global_buffer
      - .address_space:  global
        .offset:         24
        .size:           8
        .value_kind:     global_buffer
      - .address_space:  global
        .offset:         32
        .size:           8
        .value_kind:     global_buffer
      - .address_space:  global
        .offset:         40
        .size:           8
        .value_kind:     global_buffer
      - .address_space:  global
        .offset:         48
        .size:           8
        .value_kind:     global_buffer
      - .address_space:  global
        .offset:         56
        .size:           8
        .value_kind:     global_buffer
      - .offset:         64
        .size:           4
        .value_kind:     by_value
      - .offset:         68
        .size:           4
        .value_kind:     by_value
      - .offset:         72
        .size:           4
        .value_kind:     by_value
      - .offset:         76
        .size:           4
        .value_kind:     by_value
      - .offset:         80
        .size:           4
        .value_kind:     by_value
      - .offset:         84
        .size:           4
        .value_kind:     by_value
      - .offset:         88
        .size:           4
        .value_kind:     by_value
      - .offset:         92
        .size:           12
        .value_kind:     by_value
      - .offset:         104
        .size:           4
        .value_kind:     by_value
      - .offset:         108
        .size:           4
        .value_kind:     by_value
      - .offset:         112
        .size:           4
        .value_kind:     by_value
      - .offset:         116
        .size:           4
        .value_kind:     by_value
      - .offset:         120
        .size:           4
        .value_kind:     by_value
      - .offset:         124
        .size:           4
        .value_kind:     by_value
      - .offset:         128
        .size:           4
        .value_kind:     by_value
      - .offset:         132
        .size:           4
        .value_kind:     by_value
      - .offset:         136
        .size:           4
        .value_kind:     by_value
      - .offset:         140
        .size:           4
        .value_kind:     by_value
      - .offset:         144
        .size:           4
        .value_kind:     by_value
      - .offset:         152
        .size:           8
        .value_kind:     by_value
      - .offset:         160
        .size:           4
        .value_kind:     by_value
      - .offset:         164
        .size:           4
        .value_kind:     by_value
      - .offset:         168
        .size:           8
        .value_kind:     by_value
      - .offset:         176
        .size:           4
        .value_kind:     by_value
      - .offset:         180
        .size:           4
        .value_kind:     by_value
      - .offset:         184
        .size:           4
        .value_kind:     by_value
      - .offset:         188
        .size:           4
        .value_kind:     by_value
      - .offset:         192
        .size:           4
        .value_kind:     by_value
      - .offset:         200
        .size:           8
        .value_kind:     by_value
      - .offset:         208
        .size:           4
        .value_kind:     hidden_block_count_x
      - .offset:         212
        .size:           4
        .value_kind:     hidden_block_count_y
      - .offset:         216
        .size:           4
        .value_kind:     hidden_block_count_z
      - .offset:         220
        .size:           2
        .value_kind:     hidden_group_size_x
      - .offset:         222
        .size:           2
        .value_kind:     hidden_group_size_y
      - .offset:         224
        .size:           2
        .value_kind:     hidden_group_size_z
      - .offset:         226
        .size:           2
        .value_kind:     hidden_remainder_x
      - .offset:         228
        .size:           2
        .value_kind:     hidden_remainder_y
      - .offset:         230
        .size:           2
        .value_kind:     hidden_remainder_z
      - .offset:         248
        .size:           8
        .value_kind:     hidden_global_offset_x
      - .offset:         256
        .size:           8
        .value_kind:     hidden_global_offset_y
      - .offset:         264
        .size:           8
        .value_kind:     hidden_global_offset_z
      - .offset:         272
        .size:           2
        .value_kind:     hidden_grid_dims
    .group_segment_fixed_size: 17920
    .kernarg_segment_align: 8
    .kernarg_segment_size: 464
    .language:       OpenCL C
    .language_version:
      - 2
      - 0
    .max_flat_workgroup_size: 256
    .name:           _ZL15flash_attn_tileILi256ELi256ELi2ELi8ELb0EEvPKcS1_S1_S1_S1_PKiPfP15HIP_vector_typeIfLj2EEffffjfiS5_IjLj3EEiiiiiiiiiiiliiliiiiil
    .private_segment_fixed_size: 0
    .sgpr_count:     44
    .sgpr_spill_count: 0
    .symbol:         _ZL15flash_attn_tileILi256ELi256ELi2ELi8ELb0EEvPKcS1_S1_S1_S1_PKiPfP15HIP_vector_typeIfLj2EEffffjfiS5_IjLj3EEiiiiiiiiiiiliiliiiiil.kd
    .uniform_work_group_size: 1
    .uses_dynamic_stack: false
    .vgpr_count:     142
    .vgpr_spill_count: 0
    .wavefront_size: 64
  - .agpr_count:     0
    .args:
      - .actual_access:  read_only
        .address_space:  global
        .offset:         0
        .size:           8
        .value_kind:     global_buffer
      - .actual_access:  write_only
        .address_space:  global
        .offset:         8
        .size:           8
        .value_kind:     global_buffer
      - .offset:         16
        .size:           4
        .value_kind:     by_value
      - .offset:         20
        .size:           4
        .value_kind:     by_value
      - .offset:         24
        .size:           4
        .value_kind:     by_value
      - .offset:         32
        .size:           4
        .value_kind:     hidden_block_count_x
      - .offset:         36
        .size:           4
        .value_kind:     hidden_block_count_y
      - .offset:         40
        .size:           4
        .value_kind:     hidden_block_count_z
      - .offset:         44
        .size:           2
        .value_kind:     hidden_group_size_x
      - .offset:         46
        .size:           2
        .value_kind:     hidden_group_size_y
      - .offset:         48
        .size:           2
        .value_kind:     hidden_group_size_z
      - .offset:         50
        .size:           2
        .value_kind:     hidden_remainder_x
      - .offset:         52
        .size:           2
        .value_kind:     hidden_remainder_y
      - .offset:         54
        .size:           2
        .value_kind:     hidden_remainder_z
      - .offset:         72
        .size:           8
        .value_kind:     hidden_global_offset_x
      - .offset:         80
        .size:           8
        .value_kind:     hidden_global_offset_y
      - .offset:         88
        .size:           8
        .value_kind:     hidden_global_offset_z
      - .offset:         96
        .size:           2
        .value_kind:     hidden_grid_dims
    .group_segment_fixed_size: 128
    .kernarg_segment_align: 8
    .kernarg_segment_size: 288
    .language:       OpenCL C
    .language_version:
      - 2
      - 0
    .max_flat_workgroup_size: 128
    .name:           _ZL25flash_attn_mask_to_KV_maxILi2EEvPK7__half2Piiii
    .private_segment_fixed_size: 0
    .sgpr_count:     30
    .sgpr_spill_count: 0
    .symbol:         _ZL25flash_attn_mask_to_KV_maxILi2EEvPK7__half2Piiii.kd
    .uniform_work_group_size: 1
    .uses_dynamic_stack: false
    .vgpr_count:     17
    .vgpr_spill_count: 0
    .wavefront_size: 64
  - .agpr_count:     0
    .args:
      - .address_space:  global
        .offset:         0
        .size:           8
        .value_kind:     global_buffer
      - .address_space:  global
        .offset:         8
        .size:           8
        .value_kind:     global_buffer
      - .offset:         16
        .size:           4
        .value_kind:     by_value
      - .offset:         20
        .size:           4
        .value_kind:     by_value
      - .offset:         24
        .size:           4
        .value_kind:     by_value
      - .offset:         28
        .size:           4
        .value_kind:     by_value
      - .offset:         32
        .size:           4
        .value_kind:     by_value
      - .offset:         36
        .size:           4
        .value_kind:     by_value
      - .offset:         40
        .size:           12
        .value_kind:     by_value
      - .offset:         52
        .size:           12
        .value_kind:     by_value
      - .offset:         64
        .size:           12
        .value_kind:     by_value
    .group_segment_fixed_size: 0
    .kernarg_segment_align: 8
    .kernarg_segment_size: 76
    .language:       OpenCL C
    .language_version:
      - 2
      - 0
    .max_flat_workgroup_size: 256
    .name:           _ZL33flash_attn_stream_k_fixup_uniformILi256ELi2ELi8EEvPfPK15HIP_vector_typeIfLj2EEiiiiiiS1_IjLj3EES5_S5_
    .private_segment_fixed_size: 0
    .sgpr_count:     24
    .sgpr_spill_count: 0
    .symbol:         _ZL33flash_attn_stream_k_fixup_uniformILi256ELi2ELi8EEvPfPK15HIP_vector_typeIfLj2EEiiiiiiS1_IjLj3EES5_S5_.kd
    .uniform_work_group_size: 1
    .uses_dynamic_stack: false
    .vgpr_count:     17
    .vgpr_spill_count: 0
    .wavefront_size: 64
  - .agpr_count:     0
    .args:
      - .address_space:  global
        .offset:         0
        .size:           8
        .value_kind:     global_buffer
      - .address_space:  global
        .offset:         8
        .size:           8
        .value_kind:     global_buffer
      - .offset:         16
        .size:           4
        .value_kind:     by_value
      - .offset:         20
        .size:           4
        .value_kind:     by_value
      - .offset:         24
        .size:           4
        .value_kind:     by_value
      - .offset:         28
        .size:           4
        .value_kind:     by_value
      - .offset:         32
        .size:           12
        .value_kind:     by_value
      - .offset:         44
        .size:           12
        .value_kind:     by_value
      - .offset:         56
        .size:           12
        .value_kind:     by_value
      - .offset:         68
        .size:           12
        .value_kind:     by_value
      - .offset:         80
        .size:           4
        .value_kind:     hidden_block_count_x
      - .offset:         84
        .size:           4
        .value_kind:     hidden_block_count_y
      - .offset:         88
        .size:           4
        .value_kind:     hidden_block_count_z
      - .offset:         92
        .size:           2
        .value_kind:     hidden_group_size_x
      - .offset:         94
        .size:           2
        .value_kind:     hidden_group_size_y
      - .offset:         96
        .size:           2
        .value_kind:     hidden_group_size_z
      - .offset:         98
        .size:           2
        .value_kind:     hidden_remainder_x
      - .offset:         100
        .size:           2
        .value_kind:     hidden_remainder_y
      - .offset:         102
        .size:           2
        .value_kind:     hidden_remainder_z
      - .offset:         120
        .size:           8
        .value_kind:     hidden_global_offset_x
      - .offset:         128
        .size:           8
        .value_kind:     hidden_global_offset_y
      - .offset:         136
        .size:           8
        .value_kind:     hidden_global_offset_z
      - .offset:         144
        .size:           2
        .value_kind:     hidden_grid_dims
    .group_segment_fixed_size: 0
    .kernarg_segment_align: 8
    .kernarg_segment_size: 336
    .language:       OpenCL C
    .language_version:
      - 2
      - 0
    .max_flat_workgroup_size: 256
    .name:           _ZL33flash_attn_stream_k_fixup_generalILi256ELi2ELi8EEvPfPK15HIP_vector_typeIfLj2EEiiiiS1_IjLj3EES5_S5_S5_
    .private_segment_fixed_size: 0
    .sgpr_count:     36
    .sgpr_spill_count: 0
    .symbol:         _ZL33flash_attn_stream_k_fixup_generalILi256ELi2ELi8EEvPfPK15HIP_vector_typeIfLj2EEiiiiS1_IjLj3EES5_S5_S5_.kd
    .uniform_work_group_size: 1
    .uses_dynamic_stack: false
    .vgpr_count:     22
    .vgpr_spill_count: 0
    .wavefront_size: 64
  - .agpr_count:     0
    .args:
      - .address_space:  global
        .offset:         0
        .size:           8
        .value_kind:     global_buffer
      - .address_space:  global
        .offset:         8
        .size:           8
        .value_kind:     global_buffer
      - .address_space:  global
        .offset:         16
        .size:           8
        .value_kind:     global_buffer
      - .address_space:  global
        .offset:         24
        .size:           8
        .value_kind:     global_buffer
      - .address_space:  global
        .offset:         32
        .size:           8
        .value_kind:     global_buffer
      - .address_space:  global
        .offset:         40
        .size:           8
        .value_kind:     global_buffer
      - .address_space:  global
        .offset:         48
        .size:           8
        .value_kind:     global_buffer
      - .address_space:  global
        .offset:         56
        .size:           8
        .value_kind:     global_buffer
      - .offset:         64
        .size:           4
        .value_kind:     by_value
      - .offset:         68
        .size:           4
        .value_kind:     by_value
      - .offset:         72
        .size:           4
        .value_kind:     by_value
      - .offset:         76
        .size:           4
        .value_kind:     by_value
      - .offset:         80
        .size:           4
        .value_kind:     by_value
      - .offset:         84
        .size:           4
        .value_kind:     by_value
      - .offset:         88
        .size:           4
        .value_kind:     by_value
      - .offset:         92
        .size:           12
        .value_kind:     by_value
      - .offset:         104
        .size:           4
        .value_kind:     by_value
      - .offset:         108
        .size:           4
        .value_kind:     by_value
      - .offset:         112
        .size:           4
        .value_kind:     by_value
      - .offset:         116
        .size:           4
        .value_kind:     by_value
      - .offset:         120
        .size:           4
        .value_kind:     by_value
      - .offset:         124
        .size:           4
        .value_kind:     by_value
      - .offset:         128
        .size:           4
        .value_kind:     by_value
      - .offset:         132
        .size:           4
        .value_kind:     by_value
      - .offset:         136
        .size:           4
        .value_kind:     by_value
      - .offset:         140
        .size:           4
        .value_kind:     by_value
      - .offset:         144
        .size:           4
        .value_kind:     by_value
      - .offset:         152
        .size:           8
        .value_kind:     by_value
      - .offset:         160
        .size:           4
        .value_kind:     by_value
      - .offset:         164
        .size:           4
        .value_kind:     by_value
      - .offset:         168
        .size:           8
        .value_kind:     by_value
      - .offset:         176
        .size:           4
        .value_kind:     by_value
      - .offset:         180
        .size:           4
        .value_kind:     by_value
      - .offset:         184
        .size:           4
        .value_kind:     by_value
      - .offset:         188
        .size:           4
        .value_kind:     by_value
      - .offset:         192
        .size:           4
        .value_kind:     by_value
      - .offset:         200
        .size:           8
        .value_kind:     by_value
      - .offset:         208
        .size:           4
        .value_kind:     hidden_block_count_x
      - .offset:         212
        .size:           4
        .value_kind:     hidden_block_count_y
      - .offset:         216
        .size:           4
        .value_kind:     hidden_block_count_z
      - .offset:         220
        .size:           2
        .value_kind:     hidden_group_size_x
      - .offset:         222
        .size:           2
        .value_kind:     hidden_group_size_y
      - .offset:         224
        .size:           2
        .value_kind:     hidden_group_size_z
      - .offset:         226
        .size:           2
        .value_kind:     hidden_remainder_x
      - .offset:         228
        .size:           2
        .value_kind:     hidden_remainder_y
      - .offset:         230
        .size:           2
        .value_kind:     hidden_remainder_z
      - .offset:         248
        .size:           8
        .value_kind:     hidden_global_offset_x
      - .offset:         256
        .size:           8
        .value_kind:     hidden_global_offset_y
      - .offset:         264
        .size:           8
        .value_kind:     hidden_global_offset_z
      - .offset:         272
        .size:           2
        .value_kind:     hidden_grid_dims
    .group_segment_fixed_size: 22528
    .kernarg_segment_align: 8
    .kernarg_segment_size: 464
    .language:       OpenCL C
    .language_version:
      - 2
      - 0
    .max_flat_workgroup_size: 256
    .name:           _ZL15flash_attn_tileILi256ELi256ELi1ELi8ELb0EEvPKcS1_S1_S1_S1_PKiPfP15HIP_vector_typeIfLj2EEffffjfiS5_IjLj3EEiiiiiiiiiiiliiliiiiil
    .private_segment_fixed_size: 0
    .sgpr_count:     48
    .sgpr_spill_count: 0
    .symbol:         _ZL15flash_attn_tileILi256ELi256ELi1ELi8ELb0EEvPKcS1_S1_S1_S1_PKiPfP15HIP_vector_typeIfLj2EEffffjfiS5_IjLj3EEiiiiiiiiiiiliiliiiiil.kd
    .uniform_work_group_size: 1
    .uses_dynamic_stack: false
    .vgpr_count:     221
    .vgpr_spill_count: 0
    .wavefront_size: 64
  - .agpr_count:     0
    .args:
      - .actual_access:  read_only
        .address_space:  global
        .offset:         0
        .size:           8
        .value_kind:     global_buffer
      - .actual_access:  write_only
        .address_space:  global
        .offset:         8
        .size:           8
        .value_kind:     global_buffer
      - .offset:         16
        .size:           4
        .value_kind:     by_value
      - .offset:         20
        .size:           4
        .value_kind:     by_value
      - .offset:         24
        .size:           4
        .value_kind:     by_value
      - .offset:         32
        .size:           4
        .value_kind:     hidden_block_count_x
      - .offset:         36
        .size:           4
        .value_kind:     hidden_block_count_y
      - .offset:         40
        .size:           4
        .value_kind:     hidden_block_count_z
      - .offset:         44
        .size:           2
        .value_kind:     hidden_group_size_x
      - .offset:         46
        .size:           2
        .value_kind:     hidden_group_size_y
      - .offset:         48
        .size:           2
        .value_kind:     hidden_group_size_z
      - .offset:         50
        .size:           2
        .value_kind:     hidden_remainder_x
      - .offset:         52
        .size:           2
        .value_kind:     hidden_remainder_y
      - .offset:         54
        .size:           2
        .value_kind:     hidden_remainder_z
      - .offset:         72
        .size:           8
        .value_kind:     hidden_global_offset_x
      - .offset:         80
        .size:           8
        .value_kind:     hidden_global_offset_y
      - .offset:         88
        .size:           8
        .value_kind:     hidden_global_offset_z
      - .offset:         96
        .size:           2
        .value_kind:     hidden_grid_dims
    .group_segment_fixed_size: 128
    .kernarg_segment_align: 8
    .kernarg_segment_size: 288
    .language:       OpenCL C
    .language_version:
      - 2
      - 0
    .max_flat_workgroup_size: 128
    .name:           _ZL25flash_attn_mask_to_KV_maxILi1EEvPK7__half2Piiii
    .private_segment_fixed_size: 0
    .sgpr_count:     24
    .sgpr_spill_count: 0
    .symbol:         _ZL25flash_attn_mask_to_KV_maxILi1EEvPK7__half2Piiii.kd
    .uniform_work_group_size: 1
    .uses_dynamic_stack: false
    .vgpr_count:     18
    .vgpr_spill_count: 0
    .wavefront_size: 64
  - .agpr_count:     0
    .args:
      - .address_space:  global
        .offset:         0
        .size:           8
        .value_kind:     global_buffer
      - .address_space:  global
        .offset:         8
        .size:           8
        .value_kind:     global_buffer
      - .offset:         16
        .size:           4
        .value_kind:     by_value
      - .offset:         20
        .size:           4
        .value_kind:     by_value
      - .offset:         24
        .size:           4
        .value_kind:     by_value
      - .offset:         28
        .size:           4
        .value_kind:     by_value
      - .offset:         32
        .size:           4
        .value_kind:     by_value
      - .offset:         36
        .size:           4
        .value_kind:     by_value
      - .offset:         40
        .size:           12
        .value_kind:     by_value
      - .offset:         52
        .size:           12
        .value_kind:     by_value
      - .offset:         64
        .size:           12
        .value_kind:     by_value
    .group_segment_fixed_size: 0
    .kernarg_segment_align: 8
    .kernarg_segment_size: 76
    .language:       OpenCL C
    .language_version:
      - 2
      - 0
    .max_flat_workgroup_size: 256
    .name:           _ZL33flash_attn_stream_k_fixup_uniformILi256ELi1ELi8EEvPfPK15HIP_vector_typeIfLj2EEiiiiiiS1_IjLj3EES5_S5_
    .private_segment_fixed_size: 0
    .sgpr_count:     24
    .sgpr_spill_count: 0
    .symbol:         _ZL33flash_attn_stream_k_fixup_uniformILi256ELi1ELi8EEvPfPK15HIP_vector_typeIfLj2EEiiiiiiS1_IjLj3EES5_S5_.kd
    .uniform_work_group_size: 1
    .uses_dynamic_stack: false
    .vgpr_count:     17
    .vgpr_spill_count: 0
    .wavefront_size: 64
  - .agpr_count:     0
    .args:
      - .address_space:  global
        .offset:         0
        .size:           8
        .value_kind:     global_buffer
      - .address_space:  global
        .offset:         8
        .size:           8
        .value_kind:     global_buffer
      - .offset:         16
        .size:           4
        .value_kind:     by_value
      - .offset:         20
        .size:           4
        .value_kind:     by_value
      - .offset:         24
        .size:           4
        .value_kind:     by_value
      - .offset:         28
        .size:           4
        .value_kind:     by_value
      - .offset:         32
        .size:           12
        .value_kind:     by_value
      - .offset:         44
        .size:           12
        .value_kind:     by_value
      - .offset:         56
        .size:           12
        .value_kind:     by_value
      - .offset:         68
        .size:           12
        .value_kind:     by_value
      - .offset:         80
        .size:           4
        .value_kind:     hidden_block_count_x
      - .offset:         84
        .size:           4
        .value_kind:     hidden_block_count_y
      - .offset:         88
        .size:           4
        .value_kind:     hidden_block_count_z
      - .offset:         92
        .size:           2
        .value_kind:     hidden_group_size_x
      - .offset:         94
        .size:           2
        .value_kind:     hidden_group_size_y
      - .offset:         96
        .size:           2
        .value_kind:     hidden_group_size_z
      - .offset:         98
        .size:           2
        .value_kind:     hidden_remainder_x
      - .offset:         100
        .size:           2
        .value_kind:     hidden_remainder_y
      - .offset:         102
        .size:           2
        .value_kind:     hidden_remainder_z
      - .offset:         120
        .size:           8
        .value_kind:     hidden_global_offset_x
      - .offset:         128
        .size:           8
        .value_kind:     hidden_global_offset_y
      - .offset:         136
        .size:           8
        .value_kind:     hidden_global_offset_z
      - .offset:         144
        .size:           2
        .value_kind:     hidden_grid_dims
    .group_segment_fixed_size: 0
    .kernarg_segment_align: 8
    .kernarg_segment_size: 336
    .language:       OpenCL C
    .language_version:
      - 2
      - 0
    .max_flat_workgroup_size: 256
    .name:           _ZL33flash_attn_stream_k_fixup_generalILi256ELi1ELi8EEvPfPK15HIP_vector_typeIfLj2EEiiiiS1_IjLj3EES5_S5_S5_
    .private_segment_fixed_size: 0
    .sgpr_count:     36
    .sgpr_spill_count: 0
    .symbol:         _ZL33flash_attn_stream_k_fixup_generalILi256ELi1ELi8EEvPfPK15HIP_vector_typeIfLj2EEiiiiS1_IjLj3EES5_S5_S5_.kd
    .uniform_work_group_size: 1
    .uses_dynamic_stack: false
    .vgpr_count:     22
    .vgpr_spill_count: 0
    .wavefront_size: 64
  - .agpr_count:     0
    .args:
      - .address_space:  global
        .offset:         0
        .size:           8
        .value_kind:     global_buffer
      - .address_space:  global
        .offset:         8
        .size:           8
        .value_kind:     global_buffer
      - .address_space:  global
        .offset:         16
        .size:           8
        .value_kind:     global_buffer
      - .address_space:  global
        .offset:         24
        .size:           8
        .value_kind:     global_buffer
      - .address_space:  global
        .offset:         32
        .size:           8
        .value_kind:     global_buffer
      - .address_space:  global
        .offset:         40
        .size:           8
        .value_kind:     global_buffer
      - .address_space:  global
        .offset:         48
        .size:           8
        .value_kind:     global_buffer
      - .address_space:  global
        .offset:         56
        .size:           8
        .value_kind:     global_buffer
      - .offset:         64
        .size:           4
        .value_kind:     by_value
      - .offset:         68
        .size:           4
        .value_kind:     by_value
      - .offset:         72
        .size:           4
        .value_kind:     by_value
      - .offset:         76
        .size:           4
        .value_kind:     by_value
      - .offset:         80
        .size:           4
        .value_kind:     by_value
      - .offset:         84
        .size:           4
        .value_kind:     by_value
      - .offset:         88
        .size:           4
        .value_kind:     by_value
      - .offset:         92
        .size:           12
        .value_kind:     by_value
      - .offset:         104
        .size:           4
        .value_kind:     by_value
      - .offset:         108
        .size:           4
        .value_kind:     by_value
      - .offset:         112
        .size:           4
        .value_kind:     by_value
      - .offset:         116
        .size:           4
        .value_kind:     by_value
      - .offset:         120
        .size:           4
        .value_kind:     by_value
      - .offset:         124
        .size:           4
        .value_kind:     by_value
      - .offset:         128
        .size:           4
        .value_kind:     by_value
      - .offset:         132
        .size:           4
        .value_kind:     by_value
      - .offset:         136
        .size:           4
        .value_kind:     by_value
      - .offset:         140
        .size:           4
        .value_kind:     by_value
      - .offset:         144
        .size:           4
        .value_kind:     by_value
      - .offset:         152
        .size:           8
        .value_kind:     by_value
      - .offset:         160
        .size:           4
        .value_kind:     by_value
      - .offset:         164
        .size:           4
        .value_kind:     by_value
      - .offset:         168
        .size:           8
        .value_kind:     by_value
      - .offset:         176
        .size:           4
        .value_kind:     by_value
      - .offset:         180
        .size:           4
        .value_kind:     by_value
      - .offset:         184
        .size:           4
        .value_kind:     by_value
      - .offset:         188
        .size:           4
        .value_kind:     by_value
      - .offset:         192
        .size:           4
        .value_kind:     by_value
      - .offset:         200
        .size:           8
        .value_kind:     by_value
      - .offset:         208
        .size:           4
        .value_kind:     hidden_block_count_x
      - .offset:         212
        .size:           4
        .value_kind:     hidden_block_count_y
      - .offset:         216
        .size:           4
        .value_kind:     hidden_block_count_z
      - .offset:         220
        .size:           2
        .value_kind:     hidden_group_size_x
      - .offset:         222
        .size:           2
        .value_kind:     hidden_group_size_y
      - .offset:         224
        .size:           2
        .value_kind:     hidden_group_size_z
      - .offset:         226
        .size:           2
        .value_kind:     hidden_remainder_x
      - .offset:         228
        .size:           2
        .value_kind:     hidden_remainder_y
      - .offset:         230
        .size:           2
        .value_kind:     hidden_remainder_z
      - .offset:         248
        .size:           8
        .value_kind:     hidden_global_offset_x
      - .offset:         256
        .size:           8
        .value_kind:     hidden_global_offset_y
      - .offset:         264
        .size:           8
        .value_kind:     hidden_global_offset_z
      - .offset:         272
        .size:           2
        .value_kind:     hidden_grid_dims
    .group_segment_fixed_size: 27136
    .kernarg_segment_align: 8
    .kernarg_segment_size: 464
    .language:       OpenCL C
    .language_version:
      - 2
      - 0
    .max_flat_workgroup_size: 256
    .name:           _ZL15flash_attn_tileILi256ELi256ELi8ELi4ELb0EEvPKcS1_S1_S1_S1_PKiPfP15HIP_vector_typeIfLj2EEffffjfiS5_IjLj3EEiiiiiiiiiiiliiliiiiil
    .private_segment_fixed_size: 0
    .sgpr_count:     47
    .sgpr_spill_count: 0
    .symbol:         _ZL15flash_attn_tileILi256ELi256ELi8ELi4ELb0EEvPKcS1_S1_S1_S1_PKiPfP15HIP_vector_typeIfLj2EEffffjfiS5_IjLj3EEiiiiiiiiiiiliiliiiiil.kd
    .uniform_work_group_size: 1
    .uses_dynamic_stack: false
    .vgpr_count:     170
    .vgpr_spill_count: 0
    .wavefront_size: 64
  - .agpr_count:     0
    .args:
      - .actual_access:  read_only
        .address_space:  global
        .offset:         0
        .size:           8
        .value_kind:     global_buffer
      - .actual_access:  write_only
        .address_space:  global
        .offset:         8
        .size:           8
        .value_kind:     global_buffer
      - .offset:         16
        .size:           4
        .value_kind:     by_value
      - .offset:         20
        .size:           4
        .value_kind:     by_value
      - .offset:         24
        .size:           4
        .value_kind:     by_value
      - .offset:         32
        .size:           4
        .value_kind:     hidden_block_count_x
      - .offset:         36
        .size:           4
        .value_kind:     hidden_block_count_y
      - .offset:         40
        .size:           4
        .value_kind:     hidden_block_count_z
      - .offset:         44
        .size:           2
        .value_kind:     hidden_group_size_x
      - .offset:         46
        .size:           2
        .value_kind:     hidden_group_size_y
      - .offset:         48
        .size:           2
        .value_kind:     hidden_group_size_z
      - .offset:         50
        .size:           2
        .value_kind:     hidden_remainder_x
      - .offset:         52
        .size:           2
        .value_kind:     hidden_remainder_y
      - .offset:         54
        .size:           2
        .value_kind:     hidden_remainder_z
      - .offset:         72
        .size:           8
        .value_kind:     hidden_global_offset_x
      - .offset:         80
        .size:           8
        .value_kind:     hidden_global_offset_y
      - .offset:         88
        .size:           8
        .value_kind:     hidden_global_offset_z
      - .offset:         96
        .size:           2
        .value_kind:     hidden_grid_dims
    .group_segment_fixed_size: 128
    .kernarg_segment_align: 8
    .kernarg_segment_size: 288
    .language:       OpenCL C
    .language_version:
      - 2
      - 0
    .max_flat_workgroup_size: 128
    .name:           _ZL25flash_attn_mask_to_KV_maxILi8EEvPK7__half2Piiii
    .private_segment_fixed_size: 0
    .sgpr_count:     54
    .sgpr_spill_count: 0
    .symbol:         _ZL25flash_attn_mask_to_KV_maxILi8EEvPK7__half2Piiii.kd
    .uniform_work_group_size: 1
    .uses_dynamic_stack: false
    .vgpr_count:     13
    .vgpr_spill_count: 0
    .wavefront_size: 64
  - .agpr_count:     0
    .args:
      - .address_space:  global
        .offset:         0
        .size:           8
        .value_kind:     global_buffer
      - .address_space:  global
        .offset:         8
        .size:           8
        .value_kind:     global_buffer
      - .offset:         16
        .size:           4
        .value_kind:     by_value
      - .offset:         20
        .size:           4
        .value_kind:     by_value
      - .offset:         24
        .size:           4
        .value_kind:     by_value
      - .offset:         28
        .size:           4
        .value_kind:     by_value
      - .offset:         32
        .size:           4
        .value_kind:     by_value
      - .offset:         36
        .size:           4
        .value_kind:     by_value
      - .offset:         40
        .size:           12
        .value_kind:     by_value
      - .offset:         52
        .size:           12
        .value_kind:     by_value
      - .offset:         64
        .size:           12
        .value_kind:     by_value
    .group_segment_fixed_size: 0
    .kernarg_segment_align: 8
    .kernarg_segment_size: 76
    .language:       OpenCL C
    .language_version:
      - 2
      - 0
    .max_flat_workgroup_size: 256
    .name:           _ZL33flash_attn_stream_k_fixup_uniformILi256ELi8ELi4EEvPfPK15HIP_vector_typeIfLj2EEiiiiiiS1_IjLj3EES5_S5_
    .private_segment_fixed_size: 0
    .sgpr_count:     24
    .sgpr_spill_count: 0
    .symbol:         _ZL33flash_attn_stream_k_fixup_uniformILi256ELi8ELi4EEvPfPK15HIP_vector_typeIfLj2EEiiiiiiS1_IjLj3EES5_S5_.kd
    .uniform_work_group_size: 1
    .uses_dynamic_stack: false
    .vgpr_count:     17
    .vgpr_spill_count: 0
    .wavefront_size: 64
  - .agpr_count:     0
    .args:
      - .address_space:  global
        .offset:         0
        .size:           8
        .value_kind:     global_buffer
      - .address_space:  global
        .offset:         8
        .size:           8
        .value_kind:     global_buffer
      - .offset:         16
        .size:           4
        .value_kind:     by_value
      - .offset:         20
        .size:           4
        .value_kind:     by_value
      - .offset:         24
        .size:           4
        .value_kind:     by_value
      - .offset:         28
        .size:           4
        .value_kind:     by_value
      - .offset:         32
        .size:           12
        .value_kind:     by_value
      - .offset:         44
        .size:           12
        .value_kind:     by_value
      - .offset:         56
        .size:           12
        .value_kind:     by_value
      - .offset:         68
        .size:           12
        .value_kind:     by_value
      - .offset:         80
        .size:           4
        .value_kind:     hidden_block_count_x
      - .offset:         84
        .size:           4
        .value_kind:     hidden_block_count_y
      - .offset:         88
        .size:           4
        .value_kind:     hidden_block_count_z
      - .offset:         92
        .size:           2
        .value_kind:     hidden_group_size_x
      - .offset:         94
        .size:           2
        .value_kind:     hidden_group_size_y
      - .offset:         96
        .size:           2
        .value_kind:     hidden_group_size_z
      - .offset:         98
        .size:           2
        .value_kind:     hidden_remainder_x
      - .offset:         100
        .size:           2
        .value_kind:     hidden_remainder_y
      - .offset:         102
        .size:           2
        .value_kind:     hidden_remainder_z
      - .offset:         120
        .size:           8
        .value_kind:     hidden_global_offset_x
      - .offset:         128
        .size:           8
        .value_kind:     hidden_global_offset_y
      - .offset:         136
        .size:           8
        .value_kind:     hidden_global_offset_z
      - .offset:         144
        .size:           2
        .value_kind:     hidden_grid_dims
    .group_segment_fixed_size: 0
    .kernarg_segment_align: 8
    .kernarg_segment_size: 336
    .language:       OpenCL C
    .language_version:
      - 2
      - 0
    .max_flat_workgroup_size: 256
    .name:           _ZL33flash_attn_stream_k_fixup_generalILi256ELi8ELi4EEvPfPK15HIP_vector_typeIfLj2EEiiiiS1_IjLj3EES5_S5_S5_
    .private_segment_fixed_size: 0
    .sgpr_count:     36
    .sgpr_spill_count: 0
    .symbol:         _ZL33flash_attn_stream_k_fixup_generalILi256ELi8ELi4EEvPfPK15HIP_vector_typeIfLj2EEiiiiS1_IjLj3EES5_S5_S5_.kd
    .uniform_work_group_size: 1
    .uses_dynamic_stack: false
    .vgpr_count:     22
    .vgpr_spill_count: 0
    .wavefront_size: 64
  - .agpr_count:     0
    .args:
      - .address_space:  global
        .offset:         0
        .size:           8
        .value_kind:     global_buffer
      - .address_space:  global
        .offset:         8
        .size:           8
        .value_kind:     global_buffer
      - .address_space:  global
        .offset:         16
        .size:           8
        .value_kind:     global_buffer
      - .address_space:  global
        .offset:         24
        .size:           8
        .value_kind:     global_buffer
      - .address_space:  global
        .offset:         32
        .size:           8
        .value_kind:     global_buffer
      - .address_space:  global
        .offset:         40
        .size:           8
        .value_kind:     global_buffer
      - .address_space:  global
        .offset:         48
        .size:           8
        .value_kind:     global_buffer
      - .address_space:  global
        .offset:         56
        .size:           8
        .value_kind:     global_buffer
      - .offset:         64
        .size:           4
        .value_kind:     by_value
      - .offset:         68
        .size:           4
        .value_kind:     by_value
      - .offset:         72
        .size:           4
        .value_kind:     by_value
      - .offset:         76
        .size:           4
        .value_kind:     by_value
      - .offset:         80
        .size:           4
        .value_kind:     by_value
      - .offset:         84
        .size:           4
        .value_kind:     by_value
      - .offset:         88
        .size:           4
        .value_kind:     by_value
      - .offset:         92
        .size:           12
        .value_kind:     by_value
      - .offset:         104
        .size:           4
        .value_kind:     by_value
      - .offset:         108
        .size:           4
        .value_kind:     by_value
      - .offset:         112
        .size:           4
        .value_kind:     by_value
      - .offset:         116
        .size:           4
        .value_kind:     by_value
      - .offset:         120
        .size:           4
        .value_kind:     by_value
      - .offset:         124
        .size:           4
        .value_kind:     by_value
      - .offset:         128
        .size:           4
        .value_kind:     by_value
      - .offset:         132
        .size:           4
        .value_kind:     by_value
      - .offset:         136
        .size:           4
        .value_kind:     by_value
      - .offset:         140
        .size:           4
        .value_kind:     by_value
      - .offset:         144
        .size:           4
        .value_kind:     by_value
      - .offset:         152
        .size:           8
        .value_kind:     by_value
      - .offset:         160
        .size:           4
        .value_kind:     by_value
      - .offset:         164
        .size:           4
        .value_kind:     by_value
      - .offset:         168
        .size:           8
        .value_kind:     by_value
      - .offset:         176
        .size:           4
        .value_kind:     by_value
      - .offset:         180
        .size:           4
        .value_kind:     by_value
      - .offset:         184
        .size:           4
        .value_kind:     by_value
      - .offset:         188
        .size:           4
        .value_kind:     by_value
      - .offset:         192
        .size:           4
        .value_kind:     by_value
      - .offset:         200
        .size:           8
        .value_kind:     by_value
      - .offset:         208
        .size:           4
        .value_kind:     hidden_block_count_x
      - .offset:         212
        .size:           4
        .value_kind:     hidden_block_count_y
      - .offset:         216
        .size:           4
        .value_kind:     hidden_block_count_z
      - .offset:         220
        .size:           2
        .value_kind:     hidden_group_size_x
      - .offset:         222
        .size:           2
        .value_kind:     hidden_group_size_y
      - .offset:         224
        .size:           2
        .value_kind:     hidden_group_size_z
      - .offset:         226
        .size:           2
        .value_kind:     hidden_remainder_x
      - .offset:         228
        .size:           2
        .value_kind:     hidden_remainder_y
      - .offset:         230
        .size:           2
        .value_kind:     hidden_remainder_z
      - .offset:         248
        .size:           8
        .value_kind:     hidden_global_offset_x
      - .offset:         256
        .size:           8
        .value_kind:     hidden_global_offset_y
      - .offset:         264
        .size:           8
        .value_kind:     hidden_global_offset_z
      - .offset:         272
        .size:           2
        .value_kind:     hidden_grid_dims
    .group_segment_fixed_size: 17920
    .kernarg_segment_align: 8
    .kernarg_segment_size: 464
    .language:       OpenCL C
    .language_version:
      - 2
      - 0
    .max_flat_workgroup_size: 256
    .name:           _ZL15flash_attn_tileILi256ELi256ELi4ELi4ELb0EEvPKcS1_S1_S1_S1_PKiPfP15HIP_vector_typeIfLj2EEffffjfiS5_IjLj3EEiiiiiiiiiiiliiliiiiil
    .private_segment_fixed_size: 0
    .sgpr_count:     44
    .sgpr_spill_count: 0
    .symbol:         _ZL15flash_attn_tileILi256ELi256ELi4ELi4ELb0EEvPKcS1_S1_S1_S1_PKiPfP15HIP_vector_typeIfLj2EEffffjfiS5_IjLj3EEiiiiiiiiiiiliiliiiiil.kd
    .uniform_work_group_size: 1
    .uses_dynamic_stack: false
    .vgpr_count:     142
    .vgpr_spill_count: 0
    .wavefront_size: 64
  - .agpr_count:     0
    .args:
      - .address_space:  global
        .offset:         0
        .size:           8
        .value_kind:     global_buffer
      - .address_space:  global
        .offset:         8
        .size:           8
        .value_kind:     global_buffer
      - .offset:         16
        .size:           4
        .value_kind:     by_value
      - .offset:         20
        .size:           4
        .value_kind:     by_value
      - .offset:         24
        .size:           4
        .value_kind:     by_value
      - .offset:         28
        .size:           4
        .value_kind:     by_value
      - .offset:         32
        .size:           4
        .value_kind:     by_value
      - .offset:         36
        .size:           4
        .value_kind:     by_value
      - .offset:         40
        .size:           12
        .value_kind:     by_value
      - .offset:         52
        .size:           12
        .value_kind:     by_value
      - .offset:         64
        .size:           12
        .value_kind:     by_value
    .group_segment_fixed_size: 0
    .kernarg_segment_align: 8
    .kernarg_segment_size: 76
    .language:       OpenCL C
    .language_version:
      - 2
      - 0
    .max_flat_workgroup_size: 256
    .name:           _ZL33flash_attn_stream_k_fixup_uniformILi256ELi4ELi4EEvPfPK15HIP_vector_typeIfLj2EEiiiiiiS1_IjLj3EES5_S5_
    .private_segment_fixed_size: 0
    .sgpr_count:     24
    .sgpr_spill_count: 0
    .symbol:         _ZL33flash_attn_stream_k_fixup_uniformILi256ELi4ELi4EEvPfPK15HIP_vector_typeIfLj2EEiiiiiiS1_IjLj3EES5_S5_.kd
    .uniform_work_group_size: 1
    .uses_dynamic_stack: false
    .vgpr_count:     17
    .vgpr_spill_count: 0
    .wavefront_size: 64
  - .agpr_count:     0
    .args:
      - .address_space:  global
        .offset:         0
        .size:           8
        .value_kind:     global_buffer
      - .address_space:  global
        .offset:         8
        .size:           8
        .value_kind:     global_buffer
      - .offset:         16
        .size:           4
        .value_kind:     by_value
      - .offset:         20
        .size:           4
        .value_kind:     by_value
      - .offset:         24
        .size:           4
        .value_kind:     by_value
      - .offset:         28
        .size:           4
        .value_kind:     by_value
      - .offset:         32
        .size:           12
        .value_kind:     by_value
      - .offset:         44
        .size:           12
        .value_kind:     by_value
      - .offset:         56
        .size:           12
        .value_kind:     by_value
      - .offset:         68
        .size:           12
        .value_kind:     by_value
      - .offset:         80
        .size:           4
        .value_kind:     hidden_block_count_x
      - .offset:         84
        .size:           4
        .value_kind:     hidden_block_count_y
      - .offset:         88
        .size:           4
        .value_kind:     hidden_block_count_z
      - .offset:         92
        .size:           2
        .value_kind:     hidden_group_size_x
      - .offset:         94
        .size:           2
        .value_kind:     hidden_group_size_y
      - .offset:         96
        .size:           2
        .value_kind:     hidden_group_size_z
      - .offset:         98
        .size:           2
        .value_kind:     hidden_remainder_x
      - .offset:         100
        .size:           2
        .value_kind:     hidden_remainder_y
      - .offset:         102
        .size:           2
        .value_kind:     hidden_remainder_z
      - .offset:         120
        .size:           8
        .value_kind:     hidden_global_offset_x
      - .offset:         128
        .size:           8
        .value_kind:     hidden_global_offset_y
      - .offset:         136
        .size:           8
        .value_kind:     hidden_global_offset_z
      - .offset:         144
        .size:           2
        .value_kind:     hidden_grid_dims
    .group_segment_fixed_size: 0
    .kernarg_segment_align: 8
    .kernarg_segment_size: 336
    .language:       OpenCL C
    .language_version:
      - 2
      - 0
    .max_flat_workgroup_size: 256
    .name:           _ZL33flash_attn_stream_k_fixup_generalILi256ELi4ELi4EEvPfPK15HIP_vector_typeIfLj2EEiiiiS1_IjLj3EES5_S5_S5_
    .private_segment_fixed_size: 0
    .sgpr_count:     36
    .sgpr_spill_count: 0
    .symbol:         _ZL33flash_attn_stream_k_fixup_generalILi256ELi4ELi4EEvPfPK15HIP_vector_typeIfLj2EEiiiiS1_IjLj3EES5_S5_S5_.kd
    .uniform_work_group_size: 1
    .uses_dynamic_stack: false
    .vgpr_count:     22
    .vgpr_spill_count: 0
    .wavefront_size: 64
  - .agpr_count:     0
    .args:
      - .address_space:  global
        .offset:         0
        .size:           8
        .value_kind:     global_buffer
      - .address_space:  global
        .offset:         8
        .size:           8
        .value_kind:     global_buffer
      - .address_space:  global
        .offset:         16
        .size:           8
        .value_kind:     global_buffer
      - .address_space:  global
        .offset:         24
        .size:           8
        .value_kind:     global_buffer
      - .address_space:  global
        .offset:         32
        .size:           8
        .value_kind:     global_buffer
      - .address_space:  global
        .offset:         40
        .size:           8
        .value_kind:     global_buffer
      - .address_space:  global
        .offset:         48
        .size:           8
        .value_kind:     global_buffer
      - .address_space:  global
        .offset:         56
        .size:           8
        .value_kind:     global_buffer
      - .offset:         64
        .size:           4
        .value_kind:     by_value
      - .offset:         68
        .size:           4
        .value_kind:     by_value
      - .offset:         72
        .size:           4
        .value_kind:     by_value
      - .offset:         76
        .size:           4
        .value_kind:     by_value
      - .offset:         80
        .size:           4
        .value_kind:     by_value
      - .offset:         84
        .size:           4
        .value_kind:     by_value
      - .offset:         88
        .size:           4
        .value_kind:     by_value
      - .offset:         92
        .size:           12
        .value_kind:     by_value
      - .offset:         104
        .size:           4
        .value_kind:     by_value
      - .offset:         108
        .size:           4
        .value_kind:     by_value
      - .offset:         112
        .size:           4
        .value_kind:     by_value
      - .offset:         116
        .size:           4
        .value_kind:     by_value
      - .offset:         120
        .size:           4
        .value_kind:     by_value
      - .offset:         124
        .size:           4
        .value_kind:     by_value
      - .offset:         128
        .size:           4
        .value_kind:     by_value
      - .offset:         132
        .size:           4
        .value_kind:     by_value
      - .offset:         136
        .size:           4
        .value_kind:     by_value
      - .offset:         140
        .size:           4
        .value_kind:     by_value
      - .offset:         144
        .size:           4
        .value_kind:     by_value
      - .offset:         152
        .size:           8
        .value_kind:     by_value
      - .offset:         160
        .size:           4
        .value_kind:     by_value
      - .offset:         164
        .size:           4
        .value_kind:     by_value
      - .offset:         168
        .size:           8
        .value_kind:     by_value
      - .offset:         176
        .size:           4
        .value_kind:     by_value
      - .offset:         180
        .size:           4
        .value_kind:     by_value
      - .offset:         184
        .size:           4
        .value_kind:     by_value
      - .offset:         188
        .size:           4
        .value_kind:     by_value
      - .offset:         192
        .size:           4
        .value_kind:     by_value
      - .offset:         200
        .size:           8
        .value_kind:     by_value
      - .offset:         208
        .size:           4
        .value_kind:     hidden_block_count_x
      - .offset:         212
        .size:           4
        .value_kind:     hidden_block_count_y
      - .offset:         216
        .size:           4
        .value_kind:     hidden_block_count_z
      - .offset:         220
        .size:           2
        .value_kind:     hidden_group_size_x
      - .offset:         222
        .size:           2
        .value_kind:     hidden_group_size_y
      - .offset:         224
        .size:           2
        .value_kind:     hidden_group_size_z
      - .offset:         226
        .size:           2
        .value_kind:     hidden_remainder_x
      - .offset:         228
        .size:           2
        .value_kind:     hidden_remainder_y
      - .offset:         230
        .size:           2
        .value_kind:     hidden_remainder_z
      - .offset:         248
        .size:           8
        .value_kind:     hidden_global_offset_x
      - .offset:         256
        .size:           8
        .value_kind:     hidden_global_offset_y
      - .offset:         264
        .size:           8
        .value_kind:     hidden_global_offset_z
      - .offset:         272
        .size:           2
        .value_kind:     hidden_grid_dims
    .group_segment_fixed_size: 22528
    .kernarg_segment_align: 8
    .kernarg_segment_size: 464
    .language:       OpenCL C
    .language_version:
      - 2
      - 0
    .max_flat_workgroup_size: 256
    .name:           _ZL15flash_attn_tileILi256ELi256ELi2ELi4ELb0EEvPKcS1_S1_S1_S1_PKiPfP15HIP_vector_typeIfLj2EEffffjfiS5_IjLj3EEiiiiiiiiiiiliiliiiiil
    .private_segment_fixed_size: 0
    .sgpr_count:     48
    .sgpr_spill_count: 0
    .symbol:         _ZL15flash_attn_tileILi256ELi256ELi2ELi4ELb0EEvPKcS1_S1_S1_S1_PKiPfP15HIP_vector_typeIfLj2EEffffjfiS5_IjLj3EEiiiiiiiiiiiliiliiiiil.kd
    .uniform_work_group_size: 1
    .uses_dynamic_stack: false
    .vgpr_count:     221
    .vgpr_spill_count: 0
    .wavefront_size: 64
  - .agpr_count:     0
    .args:
      - .address_space:  global
        .offset:         0
        .size:           8
        .value_kind:     global_buffer
      - .address_space:  global
        .offset:         8
        .size:           8
        .value_kind:     global_buffer
      - .offset:         16
        .size:           4
        .value_kind:     by_value
      - .offset:         20
        .size:           4
        .value_kind:     by_value
      - .offset:         24
        .size:           4
        .value_kind:     by_value
      - .offset:         28
        .size:           4
        .value_kind:     by_value
      - .offset:         32
        .size:           4
        .value_kind:     by_value
      - .offset:         36
        .size:           4
        .value_kind:     by_value
      - .offset:         40
        .size:           12
        .value_kind:     by_value
      - .offset:         52
        .size:           12
        .value_kind:     by_value
      - .offset:         64
        .size:           12
        .value_kind:     by_value
    .group_segment_fixed_size: 0
    .kernarg_segment_align: 8
    .kernarg_segment_size: 76
    .language:       OpenCL C
    .language_version:
      - 2
      - 0
    .max_flat_workgroup_size: 256
    .name:           _ZL33flash_attn_stream_k_fixup_uniformILi256ELi2ELi4EEvPfPK15HIP_vector_typeIfLj2EEiiiiiiS1_IjLj3EES5_S5_
    .private_segment_fixed_size: 0
    .sgpr_count:     24
    .sgpr_spill_count: 0
    .symbol:         _ZL33flash_attn_stream_k_fixup_uniformILi256ELi2ELi4EEvPfPK15HIP_vector_typeIfLj2EEiiiiiiS1_IjLj3EES5_S5_.kd
    .uniform_work_group_size: 1
    .uses_dynamic_stack: false
    .vgpr_count:     17
    .vgpr_spill_count: 0
    .wavefront_size: 64
  - .agpr_count:     0
    .args:
      - .address_space:  global
        .offset:         0
        .size:           8
        .value_kind:     global_buffer
      - .address_space:  global
        .offset:         8
        .size:           8
        .value_kind:     global_buffer
      - .offset:         16
        .size:           4
        .value_kind:     by_value
      - .offset:         20
        .size:           4
        .value_kind:     by_value
      - .offset:         24
        .size:           4
        .value_kind:     by_value
      - .offset:         28
        .size:           4
        .value_kind:     by_value
      - .offset:         32
        .size:           12
        .value_kind:     by_value
      - .offset:         44
        .size:           12
        .value_kind:     by_value
      - .offset:         56
        .size:           12
        .value_kind:     by_value
      - .offset:         68
        .size:           12
        .value_kind:     by_value
      - .offset:         80
        .size:           4
        .value_kind:     hidden_block_count_x
      - .offset:         84
        .size:           4
        .value_kind:     hidden_block_count_y
      - .offset:         88
        .size:           4
        .value_kind:     hidden_block_count_z
      - .offset:         92
        .size:           2
        .value_kind:     hidden_group_size_x
      - .offset:         94
        .size:           2
        .value_kind:     hidden_group_size_y
      - .offset:         96
        .size:           2
        .value_kind:     hidden_group_size_z
      - .offset:         98
        .size:           2
        .value_kind:     hidden_remainder_x
      - .offset:         100
        .size:           2
        .value_kind:     hidden_remainder_y
      - .offset:         102
        .size:           2
        .value_kind:     hidden_remainder_z
      - .offset:         120
        .size:           8
        .value_kind:     hidden_global_offset_x
      - .offset:         128
        .size:           8
        .value_kind:     hidden_global_offset_y
      - .offset:         136
        .size:           8
        .value_kind:     hidden_global_offset_z
      - .offset:         144
        .size:           2
        .value_kind:     hidden_grid_dims
    .group_segment_fixed_size: 0
    .kernarg_segment_align: 8
    .kernarg_segment_size: 336
    .language:       OpenCL C
    .language_version:
      - 2
      - 0
    .max_flat_workgroup_size: 256
    .name:           _ZL33flash_attn_stream_k_fixup_generalILi256ELi2ELi4EEvPfPK15HIP_vector_typeIfLj2EEiiiiS1_IjLj3EES5_S5_S5_
    .private_segment_fixed_size: 0
    .sgpr_count:     36
    .sgpr_spill_count: 0
    .symbol:         _ZL33flash_attn_stream_k_fixup_generalILi256ELi2ELi4EEvPfPK15HIP_vector_typeIfLj2EEiiiiS1_IjLj3EES5_S5_S5_.kd
    .uniform_work_group_size: 1
    .uses_dynamic_stack: false
    .vgpr_count:     22
    .vgpr_spill_count: 0
    .wavefront_size: 64
  - .agpr_count:     0
    .args:
      - .address_space:  global
        .offset:         0
        .size:           8
        .value_kind:     global_buffer
      - .address_space:  global
        .offset:         8
        .size:           8
        .value_kind:     global_buffer
      - .address_space:  global
        .offset:         16
        .size:           8
        .value_kind:     global_buffer
      - .address_space:  global
        .offset:         24
        .size:           8
        .value_kind:     global_buffer
      - .address_space:  global
        .offset:         32
        .size:           8
        .value_kind:     global_buffer
      - .address_space:  global
        .offset:         40
        .size:           8
        .value_kind:     global_buffer
      - .address_space:  global
        .offset:         48
        .size:           8
        .value_kind:     global_buffer
      - .address_space:  global
        .offset:         56
        .size:           8
        .value_kind:     global_buffer
      - .offset:         64
        .size:           4
        .value_kind:     by_value
      - .offset:         68
        .size:           4
        .value_kind:     by_value
      - .offset:         72
        .size:           4
        .value_kind:     by_value
      - .offset:         76
        .size:           4
        .value_kind:     by_value
      - .offset:         80
        .size:           4
        .value_kind:     by_value
      - .offset:         84
        .size:           4
        .value_kind:     by_value
      - .offset:         88
        .size:           4
        .value_kind:     by_value
      - .offset:         92
        .size:           12
        .value_kind:     by_value
      - .offset:         104
        .size:           4
        .value_kind:     by_value
      - .offset:         108
        .size:           4
        .value_kind:     by_value
      - .offset:         112
        .size:           4
        .value_kind:     by_value
      - .offset:         116
        .size:           4
        .value_kind:     by_value
      - .offset:         120
        .size:           4
        .value_kind:     by_value
      - .offset:         124
        .size:           4
        .value_kind:     by_value
      - .offset:         128
        .size:           4
        .value_kind:     by_value
      - .offset:         132
        .size:           4
        .value_kind:     by_value
      - .offset:         136
        .size:           4
        .value_kind:     by_value
      - .offset:         140
        .size:           4
        .value_kind:     by_value
      - .offset:         144
        .size:           4
        .value_kind:     by_value
      - .offset:         152
        .size:           8
        .value_kind:     by_value
      - .offset:         160
        .size:           4
        .value_kind:     by_value
      - .offset:         164
        .size:           4
        .value_kind:     by_value
      - .offset:         168
        .size:           8
        .value_kind:     by_value
      - .offset:         176
        .size:           4
        .value_kind:     by_value
      - .offset:         180
        .size:           4
        .value_kind:     by_value
      - .offset:         184
        .size:           4
        .value_kind:     by_value
      - .offset:         188
        .size:           4
        .value_kind:     by_value
      - .offset:         192
        .size:           4
        .value_kind:     by_value
      - .offset:         200
        .size:           8
        .value_kind:     by_value
      - .offset:         208
        .size:           4
        .value_kind:     hidden_block_count_x
      - .offset:         212
        .size:           4
        .value_kind:     hidden_block_count_y
      - .offset:         216
        .size:           4
        .value_kind:     hidden_block_count_z
      - .offset:         220
        .size:           2
        .value_kind:     hidden_group_size_x
      - .offset:         222
        .size:           2
        .value_kind:     hidden_group_size_y
      - .offset:         224
        .size:           2
        .value_kind:     hidden_group_size_z
      - .offset:         226
        .size:           2
        .value_kind:     hidden_remainder_x
      - .offset:         228
        .size:           2
        .value_kind:     hidden_remainder_y
      - .offset:         230
        .size:           2
        .value_kind:     hidden_remainder_z
      - .offset:         248
        .size:           8
        .value_kind:     hidden_global_offset_x
      - .offset:         256
        .size:           8
        .value_kind:     hidden_global_offset_y
      - .offset:         264
        .size:           8
        .value_kind:     hidden_global_offset_z
      - .offset:         272
        .size:           2
        .value_kind:     hidden_grid_dims
    .group_segment_fixed_size: 20000
    .kernarg_segment_align: 8
    .kernarg_segment_size: 464
    .language:       OpenCL C
    .language_version:
      - 2
      - 0
    .max_flat_workgroup_size: 256
    .name:           _ZL15flash_attn_tileILi256ELi256ELi1ELi4ELb0EEvPKcS1_S1_S1_S1_PKiPfP15HIP_vector_typeIfLj2EEffffjfiS5_IjLj3EEiiiiiiiiiiiliiliiiiil
    .private_segment_fixed_size: 0
    .sgpr_count:     44
    .sgpr_spill_count: 0
    .symbol:         _ZL15flash_attn_tileILi256ELi256ELi1ELi4ELb0EEvPKcS1_S1_S1_S1_PKiPfP15HIP_vector_typeIfLj2EEffffjfiS5_IjLj3EEiiiiiiiiiiiliiliiiiil.kd
    .uniform_work_group_size: 1
    .uses_dynamic_stack: false
    .vgpr_count:     96
    .vgpr_spill_count: 0
    .wavefront_size: 64
  - .agpr_count:     0
    .args:
      - .address_space:  global
        .offset:         0
        .size:           8
        .value_kind:     global_buffer
      - .address_space:  global
        .offset:         8
        .size:           8
        .value_kind:     global_buffer
      - .offset:         16
        .size:           4
        .value_kind:     by_value
      - .offset:         20
        .size:           4
        .value_kind:     by_value
      - .offset:         24
        .size:           4
        .value_kind:     by_value
      - .offset:         28
        .size:           4
        .value_kind:     by_value
      - .offset:         32
        .size:           4
        .value_kind:     by_value
      - .offset:         36
        .size:           4
        .value_kind:     by_value
      - .offset:         40
        .size:           12
        .value_kind:     by_value
      - .offset:         52
        .size:           12
        .value_kind:     by_value
      - .offset:         64
        .size:           12
        .value_kind:     by_value
    .group_segment_fixed_size: 0
    .kernarg_segment_align: 8
    .kernarg_segment_size: 76
    .language:       OpenCL C
    .language_version:
      - 2
      - 0
    .max_flat_workgroup_size: 256
    .name:           _ZL33flash_attn_stream_k_fixup_uniformILi256ELi1ELi4EEvPfPK15HIP_vector_typeIfLj2EEiiiiiiS1_IjLj3EES5_S5_
    .private_segment_fixed_size: 0
    .sgpr_count:     24
    .sgpr_spill_count: 0
    .symbol:         _ZL33flash_attn_stream_k_fixup_uniformILi256ELi1ELi4EEvPfPK15HIP_vector_typeIfLj2EEiiiiiiS1_IjLj3EES5_S5_.kd
    .uniform_work_group_size: 1
    .uses_dynamic_stack: false
    .vgpr_count:     17
    .vgpr_spill_count: 0
    .wavefront_size: 64
  - .agpr_count:     0
    .args:
      - .address_space:  global
        .offset:         0
        .size:           8
        .value_kind:     global_buffer
      - .address_space:  global
        .offset:         8
        .size:           8
        .value_kind:     global_buffer
      - .offset:         16
        .size:           4
        .value_kind:     by_value
      - .offset:         20
        .size:           4
        .value_kind:     by_value
      - .offset:         24
        .size:           4
        .value_kind:     by_value
      - .offset:         28
        .size:           4
        .value_kind:     by_value
      - .offset:         32
        .size:           12
        .value_kind:     by_value
      - .offset:         44
        .size:           12
        .value_kind:     by_value
      - .offset:         56
        .size:           12
        .value_kind:     by_value
      - .offset:         68
        .size:           12
        .value_kind:     by_value
      - .offset:         80
        .size:           4
        .value_kind:     hidden_block_count_x
      - .offset:         84
        .size:           4
        .value_kind:     hidden_block_count_y
      - .offset:         88
        .size:           4
        .value_kind:     hidden_block_count_z
      - .offset:         92
        .size:           2
        .value_kind:     hidden_group_size_x
      - .offset:         94
        .size:           2
        .value_kind:     hidden_group_size_y
      - .offset:         96
        .size:           2
        .value_kind:     hidden_group_size_z
      - .offset:         98
        .size:           2
        .value_kind:     hidden_remainder_x
      - .offset:         100
        .size:           2
        .value_kind:     hidden_remainder_y
      - .offset:         102
        .size:           2
        .value_kind:     hidden_remainder_z
      - .offset:         120
        .size:           8
        .value_kind:     hidden_global_offset_x
      - .offset:         128
        .size:           8
        .value_kind:     hidden_global_offset_y
      - .offset:         136
        .size:           8
        .value_kind:     hidden_global_offset_z
      - .offset:         144
        .size:           2
        .value_kind:     hidden_grid_dims
    .group_segment_fixed_size: 0
    .kernarg_segment_align: 8
    .kernarg_segment_size: 336
    .language:       OpenCL C
    .language_version:
      - 2
      - 0
    .max_flat_workgroup_size: 256
    .name:           _ZL33flash_attn_stream_k_fixup_generalILi256ELi1ELi4EEvPfPK15HIP_vector_typeIfLj2EEiiiiS1_IjLj3EES5_S5_S5_
    .private_segment_fixed_size: 0
    .sgpr_count:     36
    .sgpr_spill_count: 0
    .symbol:         _ZL33flash_attn_stream_k_fixup_generalILi256ELi1ELi4EEvPfPK15HIP_vector_typeIfLj2EEiiiiS1_IjLj3EES5_S5_S5_.kd
    .uniform_work_group_size: 1
    .uses_dynamic_stack: false
    .vgpr_count:     22
    .vgpr_spill_count: 0
    .wavefront_size: 64
  - .agpr_count:     0
    .args:
      - .address_space:  global
        .offset:         0
        .size:           8
        .value_kind:     global_buffer
      - .address_space:  global
        .offset:         8
        .size:           8
        .value_kind:     global_buffer
      - .address_space:  global
        .offset:         16
        .size:           8
        .value_kind:     global_buffer
      - .address_space:  global
        .offset:         24
        .size:           8
        .value_kind:     global_buffer
      - .address_space:  global
        .offset:         32
        .size:           8
        .value_kind:     global_buffer
      - .address_space:  global
        .offset:         40
        .size:           8
        .value_kind:     global_buffer
      - .address_space:  global
        .offset:         48
        .size:           8
        .value_kind:     global_buffer
      - .address_space:  global
        .offset:         56
        .size:           8
        .value_kind:     global_buffer
      - .offset:         64
        .size:           4
        .value_kind:     by_value
      - .offset:         68
        .size:           4
        .value_kind:     by_value
      - .offset:         72
        .size:           4
        .value_kind:     by_value
      - .offset:         76
        .size:           4
        .value_kind:     by_value
      - .offset:         80
        .size:           4
        .value_kind:     by_value
      - .offset:         84
        .size:           4
        .value_kind:     by_value
      - .offset:         88
        .size:           4
        .value_kind:     by_value
      - .offset:         92
        .size:           12
        .value_kind:     by_value
      - .offset:         104
        .size:           4
        .value_kind:     by_value
      - .offset:         108
        .size:           4
        .value_kind:     by_value
      - .offset:         112
        .size:           4
        .value_kind:     by_value
      - .offset:         116
        .size:           4
        .value_kind:     by_value
      - .offset:         120
        .size:           4
        .value_kind:     by_value
      - .offset:         124
        .size:           4
        .value_kind:     by_value
      - .offset:         128
        .size:           4
        .value_kind:     by_value
      - .offset:         132
        .size:           4
        .value_kind:     by_value
      - .offset:         136
        .size:           4
        .value_kind:     by_value
      - .offset:         140
        .size:           4
        .value_kind:     by_value
      - .offset:         144
        .size:           4
        .value_kind:     by_value
      - .offset:         152
        .size:           8
        .value_kind:     by_value
      - .offset:         160
        .size:           4
        .value_kind:     by_value
      - .offset:         164
        .size:           4
        .value_kind:     by_value
      - .offset:         168
        .size:           8
        .value_kind:     by_value
      - .offset:         176
        .size:           4
        .value_kind:     by_value
      - .offset:         180
        .size:           4
        .value_kind:     by_value
      - .offset:         184
        .size:           4
        .value_kind:     by_value
      - .offset:         188
        .size:           4
        .value_kind:     by_value
      - .offset:         192
        .size:           4
        .value_kind:     by_value
      - .offset:         200
        .size:           8
        .value_kind:     by_value
      - .offset:         208
        .size:           4
        .value_kind:     hidden_block_count_x
      - .offset:         212
        .size:           4
        .value_kind:     hidden_block_count_y
      - .offset:         216
        .size:           4
        .value_kind:     hidden_block_count_z
      - .offset:         220
        .size:           2
        .value_kind:     hidden_group_size_x
      - .offset:         222
        .size:           2
        .value_kind:     hidden_group_size_y
      - .offset:         224
        .size:           2
        .value_kind:     hidden_group_size_z
      - .offset:         226
        .size:           2
        .value_kind:     hidden_remainder_x
      - .offset:         228
        .size:           2
        .value_kind:     hidden_remainder_y
      - .offset:         230
        .size:           2
        .value_kind:     hidden_remainder_z
      - .offset:         248
        .size:           8
        .value_kind:     hidden_global_offset_x
      - .offset:         256
        .size:           8
        .value_kind:     hidden_global_offset_y
      - .offset:         264
        .size:           8
        .value_kind:     hidden_global_offset_z
      - .offset:         272
        .size:           2
        .value_kind:     hidden_grid_dims
    .group_segment_fixed_size: 27136
    .kernarg_segment_align: 8
    .kernarg_segment_size: 464
    .language:       OpenCL C
    .language_version:
      - 2
      - 0
    .max_flat_workgroup_size: 256
    .name:           _ZL15flash_attn_tileILi256ELi256ELi16ELi2ELb0EEvPKcS1_S1_S1_S1_PKiPfP15HIP_vector_typeIfLj2EEffffjfiS5_IjLj3EEiiiiiiiiiiiliiliiiiil
    .private_segment_fixed_size: 0
    .sgpr_count:     48
    .sgpr_spill_count: 0
    .symbol:         _ZL15flash_attn_tileILi256ELi256ELi16ELi2ELb0EEvPKcS1_S1_S1_S1_PKiPfP15HIP_vector_typeIfLj2EEffffjfiS5_IjLj3EEiiiiiiiiiiiliiliiiiil.kd
    .uniform_work_group_size: 1
    .uses_dynamic_stack: false
    .vgpr_count:     175
    .vgpr_spill_count: 0
    .wavefront_size: 64
  - .agpr_count:     0
    .args:
      - .actual_access:  read_only
        .address_space:  global
        .offset:         0
        .size:           8
        .value_kind:     global_buffer
      - .actual_access:  write_only
        .address_space:  global
        .offset:         8
        .size:           8
        .value_kind:     global_buffer
      - .offset:         16
        .size:           4
        .value_kind:     by_value
      - .offset:         20
        .size:           4
        .value_kind:     by_value
      - .offset:         24
        .size:           4
        .value_kind:     by_value
      - .offset:         32
        .size:           4
        .value_kind:     hidden_block_count_x
      - .offset:         36
        .size:           4
        .value_kind:     hidden_block_count_y
      - .offset:         40
        .size:           4
        .value_kind:     hidden_block_count_z
      - .offset:         44
        .size:           2
        .value_kind:     hidden_group_size_x
      - .offset:         46
        .size:           2
        .value_kind:     hidden_group_size_y
      - .offset:         48
        .size:           2
        .value_kind:     hidden_group_size_z
      - .offset:         50
        .size:           2
        .value_kind:     hidden_remainder_x
      - .offset:         52
        .size:           2
        .value_kind:     hidden_remainder_y
      - .offset:         54
        .size:           2
        .value_kind:     hidden_remainder_z
      - .offset:         72
        .size:           8
        .value_kind:     hidden_global_offset_x
      - .offset:         80
        .size:           8
        .value_kind:     hidden_global_offset_y
      - .offset:         88
        .size:           8
        .value_kind:     hidden_global_offset_z
      - .offset:         96
        .size:           2
        .value_kind:     hidden_grid_dims
    .group_segment_fixed_size: 128
    .kernarg_segment_align: 8
    .kernarg_segment_size: 288
    .language:       OpenCL C
    .language_version:
      - 2
      - 0
    .max_flat_workgroup_size: 128
    .name:           _ZL25flash_attn_mask_to_KV_maxILi16EEvPK7__half2Piiii
    .private_segment_fixed_size: 0
    .sgpr_count:     86
    .sgpr_spill_count: 0
    .symbol:         _ZL25flash_attn_mask_to_KV_maxILi16EEvPK7__half2Piiii.kd
    .uniform_work_group_size: 1
    .uses_dynamic_stack: false
    .vgpr_count:     12
    .vgpr_spill_count: 0
    .wavefront_size: 64
  - .agpr_count:     0
    .args:
      - .address_space:  global
        .offset:         0
        .size:           8
        .value_kind:     global_buffer
      - .address_space:  global
        .offset:         8
        .size:           8
        .value_kind:     global_buffer
      - .offset:         16
        .size:           4
        .value_kind:     by_value
      - .offset:         20
        .size:           4
        .value_kind:     by_value
      - .offset:         24
        .size:           4
        .value_kind:     by_value
      - .offset:         28
        .size:           4
        .value_kind:     by_value
      - .offset:         32
        .size:           4
        .value_kind:     by_value
      - .offset:         36
        .size:           4
        .value_kind:     by_value
      - .offset:         40
        .size:           12
        .value_kind:     by_value
      - .offset:         52
        .size:           12
        .value_kind:     by_value
      - .offset:         64
        .size:           12
        .value_kind:     by_value
    .group_segment_fixed_size: 0
    .kernarg_segment_align: 8
    .kernarg_segment_size: 76
    .language:       OpenCL C
    .language_version:
      - 2
      - 0
    .max_flat_workgroup_size: 256
    .name:           _ZL33flash_attn_stream_k_fixup_uniformILi256ELi16ELi2EEvPfPK15HIP_vector_typeIfLj2EEiiiiiiS1_IjLj3EES5_S5_
    .private_segment_fixed_size: 0
    .sgpr_count:     24
    .sgpr_spill_count: 0
    .symbol:         _ZL33flash_attn_stream_k_fixup_uniformILi256ELi16ELi2EEvPfPK15HIP_vector_typeIfLj2EEiiiiiiS1_IjLj3EES5_S5_.kd
    .uniform_work_group_size: 1
    .uses_dynamic_stack: false
    .vgpr_count:     17
    .vgpr_spill_count: 0
    .wavefront_size: 64
  - .agpr_count:     0
    .args:
      - .address_space:  global
        .offset:         0
        .size:           8
        .value_kind:     global_buffer
      - .address_space:  global
        .offset:         8
        .size:           8
        .value_kind:     global_buffer
      - .offset:         16
        .size:           4
        .value_kind:     by_value
      - .offset:         20
        .size:           4
        .value_kind:     by_value
      - .offset:         24
        .size:           4
        .value_kind:     by_value
      - .offset:         28
        .size:           4
        .value_kind:     by_value
      - .offset:         32
        .size:           12
        .value_kind:     by_value
      - .offset:         44
        .size:           12
        .value_kind:     by_value
      - .offset:         56
        .size:           12
        .value_kind:     by_value
      - .offset:         68
        .size:           12
        .value_kind:     by_value
      - .offset:         80
        .size:           4
        .value_kind:     hidden_block_count_x
      - .offset:         84
        .size:           4
        .value_kind:     hidden_block_count_y
      - .offset:         88
        .size:           4
        .value_kind:     hidden_block_count_z
      - .offset:         92
        .size:           2
        .value_kind:     hidden_group_size_x
      - .offset:         94
        .size:           2
        .value_kind:     hidden_group_size_y
      - .offset:         96
        .size:           2
        .value_kind:     hidden_group_size_z
      - .offset:         98
        .size:           2
        .value_kind:     hidden_remainder_x
      - .offset:         100
        .size:           2
        .value_kind:     hidden_remainder_y
      - .offset:         102
        .size:           2
        .value_kind:     hidden_remainder_z
      - .offset:         120
        .size:           8
        .value_kind:     hidden_global_offset_x
      - .offset:         128
        .size:           8
        .value_kind:     hidden_global_offset_y
      - .offset:         136
        .size:           8
        .value_kind:     hidden_global_offset_z
      - .offset:         144
        .size:           2
        .value_kind:     hidden_grid_dims
    .group_segment_fixed_size: 0
    .kernarg_segment_align: 8
    .kernarg_segment_size: 336
    .language:       OpenCL C
    .language_version:
      - 2
      - 0
    .max_flat_workgroup_size: 256
    .name:           _ZL33flash_attn_stream_k_fixup_generalILi256ELi16ELi2EEvPfPK15HIP_vector_typeIfLj2EEiiiiS1_IjLj3EES5_S5_S5_
    .private_segment_fixed_size: 0
    .sgpr_count:     36
    .sgpr_spill_count: 0
    .symbol:         _ZL33flash_attn_stream_k_fixup_generalILi256ELi16ELi2EEvPfPK15HIP_vector_typeIfLj2EEiiiiS1_IjLj3EES5_S5_S5_.kd
    .uniform_work_group_size: 1
    .uses_dynamic_stack: false
    .vgpr_count:     22
    .vgpr_spill_count: 0
    .wavefront_size: 64
  - .agpr_count:     0
    .args:
      - .address_space:  global
        .offset:         0
        .size:           8
        .value_kind:     global_buffer
      - .address_space:  global
        .offset:         8
        .size:           8
        .value_kind:     global_buffer
      - .address_space:  global
        .offset:         16
        .size:           8
        .value_kind:     global_buffer
      - .address_space:  global
        .offset:         24
        .size:           8
        .value_kind:     global_buffer
      - .address_space:  global
        .offset:         32
        .size:           8
        .value_kind:     global_buffer
      - .address_space:  global
        .offset:         40
        .size:           8
        .value_kind:     global_buffer
      - .address_space:  global
        .offset:         48
        .size:           8
        .value_kind:     global_buffer
      - .address_space:  global
        .offset:         56
        .size:           8
        .value_kind:     global_buffer
      - .offset:         64
        .size:           4
        .value_kind:     by_value
      - .offset:         68
        .size:           4
        .value_kind:     by_value
      - .offset:         72
        .size:           4
        .value_kind:     by_value
      - .offset:         76
        .size:           4
        .value_kind:     by_value
      - .offset:         80
        .size:           4
        .value_kind:     by_value
      - .offset:         84
        .size:           4
        .value_kind:     by_value
      - .offset:         88
        .size:           4
        .value_kind:     by_value
      - .offset:         92
        .size:           12
        .value_kind:     by_value
      - .offset:         104
        .size:           4
        .value_kind:     by_value
      - .offset:         108
        .size:           4
        .value_kind:     by_value
      - .offset:         112
        .size:           4
        .value_kind:     by_value
      - .offset:         116
        .size:           4
        .value_kind:     by_value
      - .offset:         120
        .size:           4
        .value_kind:     by_value
      - .offset:         124
        .size:           4
        .value_kind:     by_value
      - .offset:         128
        .size:           4
        .value_kind:     by_value
      - .offset:         132
        .size:           4
        .value_kind:     by_value
      - .offset:         136
        .size:           4
        .value_kind:     by_value
      - .offset:         140
        .size:           4
        .value_kind:     by_value
      - .offset:         144
        .size:           4
        .value_kind:     by_value
      - .offset:         152
        .size:           8
        .value_kind:     by_value
      - .offset:         160
        .size:           4
        .value_kind:     by_value
      - .offset:         164
        .size:           4
        .value_kind:     by_value
      - .offset:         168
        .size:           8
        .value_kind:     by_value
      - .offset:         176
        .size:           4
        .value_kind:     by_value
      - .offset:         180
        .size:           4
        .value_kind:     by_value
      - .offset:         184
        .size:           4
        .value_kind:     by_value
      - .offset:         188
        .size:           4
        .value_kind:     by_value
      - .offset:         192
        .size:           4
        .value_kind:     by_value
      - .offset:         200
        .size:           8
        .value_kind:     by_value
      - .offset:         208
        .size:           4
        .value_kind:     hidden_block_count_x
      - .offset:         212
        .size:           4
        .value_kind:     hidden_block_count_y
      - .offset:         216
        .size:           4
        .value_kind:     hidden_block_count_z
      - .offset:         220
        .size:           2
        .value_kind:     hidden_group_size_x
      - .offset:         222
        .size:           2
        .value_kind:     hidden_group_size_y
      - .offset:         224
        .size:           2
        .value_kind:     hidden_group_size_z
      - .offset:         226
        .size:           2
        .value_kind:     hidden_remainder_x
      - .offset:         228
        .size:           2
        .value_kind:     hidden_remainder_y
      - .offset:         230
        .size:           2
        .value_kind:     hidden_remainder_z
      - .offset:         248
        .size:           8
        .value_kind:     hidden_global_offset_x
      - .offset:         256
        .size:           8
        .value_kind:     hidden_global_offset_y
      - .offset:         264
        .size:           8
        .value_kind:     hidden_global_offset_z
      - .offset:         272
        .size:           2
        .value_kind:     hidden_grid_dims
    .group_segment_fixed_size: 17920
    .kernarg_segment_align: 8
    .kernarg_segment_size: 464
    .language:       OpenCL C
    .language_version:
      - 2
      - 0
    .max_flat_workgroup_size: 256
    .name:           _ZL15flash_attn_tileILi256ELi256ELi8ELi2ELb0EEvPKcS1_S1_S1_S1_PKiPfP15HIP_vector_typeIfLj2EEffffjfiS5_IjLj3EEiiiiiiiiiiiliiliiiiil
    .private_segment_fixed_size: 0
    .sgpr_count:     44
    .sgpr_spill_count: 0
    .symbol:         _ZL15flash_attn_tileILi256ELi256ELi8ELi2ELb0EEvPKcS1_S1_S1_S1_PKiPfP15HIP_vector_typeIfLj2EEffffjfiS5_IjLj3EEiiiiiiiiiiiliiliiiiil.kd
    .uniform_work_group_size: 1
    .uses_dynamic_stack: false
    .vgpr_count:     141
    .vgpr_spill_count: 0
    .wavefront_size: 64
  - .agpr_count:     0
    .args:
      - .address_space:  global
        .offset:         0
        .size:           8
        .value_kind:     global_buffer
      - .address_space:  global
        .offset:         8
        .size:           8
        .value_kind:     global_buffer
      - .offset:         16
        .size:           4
        .value_kind:     by_value
      - .offset:         20
        .size:           4
        .value_kind:     by_value
      - .offset:         24
        .size:           4
        .value_kind:     by_value
      - .offset:         28
        .size:           4
        .value_kind:     by_value
      - .offset:         32
        .size:           4
        .value_kind:     by_value
      - .offset:         36
        .size:           4
        .value_kind:     by_value
      - .offset:         40
        .size:           12
        .value_kind:     by_value
      - .offset:         52
        .size:           12
        .value_kind:     by_value
      - .offset:         64
        .size:           12
        .value_kind:     by_value
    .group_segment_fixed_size: 0
    .kernarg_segment_align: 8
    .kernarg_segment_size: 76
    .language:       OpenCL C
    .language_version:
      - 2
      - 0
    .max_flat_workgroup_size: 256
    .name:           _ZL33flash_attn_stream_k_fixup_uniformILi256ELi8ELi2EEvPfPK15HIP_vector_typeIfLj2EEiiiiiiS1_IjLj3EES5_S5_
    .private_segment_fixed_size: 0
    .sgpr_count:     24
    .sgpr_spill_count: 0
    .symbol:         _ZL33flash_attn_stream_k_fixup_uniformILi256ELi8ELi2EEvPfPK15HIP_vector_typeIfLj2EEiiiiiiS1_IjLj3EES5_S5_.kd
    .uniform_work_group_size: 1
    .uses_dynamic_stack: false
    .vgpr_count:     17
    .vgpr_spill_count: 0
    .wavefront_size: 64
  - .agpr_count:     0
    .args:
      - .address_space:  global
        .offset:         0
        .size:           8
        .value_kind:     global_buffer
      - .address_space:  global
        .offset:         8
        .size:           8
        .value_kind:     global_buffer
      - .offset:         16
        .size:           4
        .value_kind:     by_value
      - .offset:         20
        .size:           4
        .value_kind:     by_value
      - .offset:         24
        .size:           4
        .value_kind:     by_value
      - .offset:         28
        .size:           4
        .value_kind:     by_value
      - .offset:         32
        .size:           12
        .value_kind:     by_value
      - .offset:         44
        .size:           12
        .value_kind:     by_value
      - .offset:         56
        .size:           12
        .value_kind:     by_value
      - .offset:         68
        .size:           12
        .value_kind:     by_value
      - .offset:         80
        .size:           4
        .value_kind:     hidden_block_count_x
      - .offset:         84
        .size:           4
        .value_kind:     hidden_block_count_y
      - .offset:         88
        .size:           4
        .value_kind:     hidden_block_count_z
      - .offset:         92
        .size:           2
        .value_kind:     hidden_group_size_x
      - .offset:         94
        .size:           2
        .value_kind:     hidden_group_size_y
      - .offset:         96
        .size:           2
        .value_kind:     hidden_group_size_z
      - .offset:         98
        .size:           2
        .value_kind:     hidden_remainder_x
      - .offset:         100
        .size:           2
        .value_kind:     hidden_remainder_y
      - .offset:         102
        .size:           2
        .value_kind:     hidden_remainder_z
      - .offset:         120
        .size:           8
        .value_kind:     hidden_global_offset_x
      - .offset:         128
        .size:           8
        .value_kind:     hidden_global_offset_y
      - .offset:         136
        .size:           8
        .value_kind:     hidden_global_offset_z
      - .offset:         144
        .size:           2
        .value_kind:     hidden_grid_dims
    .group_segment_fixed_size: 0
    .kernarg_segment_align: 8
    .kernarg_segment_size: 336
    .language:       OpenCL C
    .language_version:
      - 2
      - 0
    .max_flat_workgroup_size: 256
    .name:           _ZL33flash_attn_stream_k_fixup_generalILi256ELi8ELi2EEvPfPK15HIP_vector_typeIfLj2EEiiiiS1_IjLj3EES5_S5_S5_
    .private_segment_fixed_size: 0
    .sgpr_count:     36
    .sgpr_spill_count: 0
    .symbol:         _ZL33flash_attn_stream_k_fixup_generalILi256ELi8ELi2EEvPfPK15HIP_vector_typeIfLj2EEiiiiS1_IjLj3EES5_S5_S5_.kd
    .uniform_work_group_size: 1
    .uses_dynamic_stack: false
    .vgpr_count:     22
    .vgpr_spill_count: 0
    .wavefront_size: 64
  - .agpr_count:     0
    .args:
      - .address_space:  global
        .offset:         0
        .size:           8
        .value_kind:     global_buffer
      - .address_space:  global
        .offset:         8
        .size:           8
        .value_kind:     global_buffer
      - .address_space:  global
        .offset:         16
        .size:           8
        .value_kind:     global_buffer
      - .address_space:  global
        .offset:         24
        .size:           8
        .value_kind:     global_buffer
      - .address_space:  global
        .offset:         32
        .size:           8
        .value_kind:     global_buffer
      - .address_space:  global
        .offset:         40
        .size:           8
        .value_kind:     global_buffer
      - .address_space:  global
        .offset:         48
        .size:           8
        .value_kind:     global_buffer
      - .address_space:  global
        .offset:         56
        .size:           8
        .value_kind:     global_buffer
      - .offset:         64
        .size:           4
        .value_kind:     by_value
      - .offset:         68
        .size:           4
        .value_kind:     by_value
      - .offset:         72
        .size:           4
        .value_kind:     by_value
      - .offset:         76
        .size:           4
        .value_kind:     by_value
      - .offset:         80
        .size:           4
        .value_kind:     by_value
      - .offset:         84
        .size:           4
        .value_kind:     by_value
      - .offset:         88
        .size:           4
        .value_kind:     by_value
      - .offset:         92
        .size:           12
        .value_kind:     by_value
      - .offset:         104
        .size:           4
        .value_kind:     by_value
      - .offset:         108
        .size:           4
        .value_kind:     by_value
      - .offset:         112
        .size:           4
        .value_kind:     by_value
      - .offset:         116
        .size:           4
        .value_kind:     by_value
      - .offset:         120
        .size:           4
        .value_kind:     by_value
      - .offset:         124
        .size:           4
        .value_kind:     by_value
      - .offset:         128
        .size:           4
        .value_kind:     by_value
      - .offset:         132
        .size:           4
        .value_kind:     by_value
      - .offset:         136
        .size:           4
        .value_kind:     by_value
      - .offset:         140
        .size:           4
        .value_kind:     by_value
      - .offset:         144
        .size:           4
        .value_kind:     by_value
      - .offset:         152
        .size:           8
        .value_kind:     by_value
      - .offset:         160
        .size:           4
        .value_kind:     by_value
      - .offset:         164
        .size:           4
        .value_kind:     by_value
      - .offset:         168
        .size:           8
        .value_kind:     by_value
      - .offset:         176
        .size:           4
        .value_kind:     by_value
      - .offset:         180
        .size:           4
        .value_kind:     by_value
      - .offset:         184
        .size:           4
        .value_kind:     by_value
      - .offset:         188
        .size:           4
        .value_kind:     by_value
      - .offset:         192
        .size:           4
        .value_kind:     by_value
      - .offset:         200
        .size:           8
        .value_kind:     by_value
      - .offset:         208
        .size:           4
        .value_kind:     hidden_block_count_x
      - .offset:         212
        .size:           4
        .value_kind:     hidden_block_count_y
      - .offset:         216
        .size:           4
        .value_kind:     hidden_block_count_z
      - .offset:         220
        .size:           2
        .value_kind:     hidden_group_size_x
      - .offset:         222
        .size:           2
        .value_kind:     hidden_group_size_y
      - .offset:         224
        .size:           2
        .value_kind:     hidden_group_size_z
      - .offset:         226
        .size:           2
        .value_kind:     hidden_remainder_x
      - .offset:         228
        .size:           2
        .value_kind:     hidden_remainder_y
      - .offset:         230
        .size:           2
        .value_kind:     hidden_remainder_z
      - .offset:         248
        .size:           8
        .value_kind:     hidden_global_offset_x
      - .offset:         256
        .size:           8
        .value_kind:     hidden_global_offset_y
      - .offset:         264
        .size:           8
        .value_kind:     hidden_global_offset_z
      - .offset:         272
        .size:           2
        .value_kind:     hidden_grid_dims
    .group_segment_fixed_size: 22528
    .kernarg_segment_align: 8
    .kernarg_segment_size: 464
    .language:       OpenCL C
    .language_version:
      - 2
      - 0
    .max_flat_workgroup_size: 256
    .name:           _ZL15flash_attn_tileILi256ELi256ELi4ELi2ELb0EEvPKcS1_S1_S1_S1_PKiPfP15HIP_vector_typeIfLj2EEffffjfiS5_IjLj3EEiiiiiiiiiiiliiliiiiil
    .private_segment_fixed_size: 0
    .sgpr_count:     48
    .sgpr_spill_count: 0
    .symbol:         _ZL15flash_attn_tileILi256ELi256ELi4ELi2ELb0EEvPKcS1_S1_S1_S1_PKiPfP15HIP_vector_typeIfLj2EEffffjfiS5_IjLj3EEiiiiiiiiiiiliiliiiiil.kd
    .uniform_work_group_size: 1
    .uses_dynamic_stack: false
    .vgpr_count:     221
    .vgpr_spill_count: 0
    .wavefront_size: 64
  - .agpr_count:     0
    .args:
      - .address_space:  global
        .offset:         0
        .size:           8
        .value_kind:     global_buffer
      - .address_space:  global
        .offset:         8
        .size:           8
        .value_kind:     global_buffer
      - .offset:         16
        .size:           4
        .value_kind:     by_value
      - .offset:         20
        .size:           4
        .value_kind:     by_value
      - .offset:         24
        .size:           4
        .value_kind:     by_value
      - .offset:         28
        .size:           4
        .value_kind:     by_value
      - .offset:         32
        .size:           4
        .value_kind:     by_value
      - .offset:         36
        .size:           4
        .value_kind:     by_value
      - .offset:         40
        .size:           12
        .value_kind:     by_value
      - .offset:         52
        .size:           12
        .value_kind:     by_value
      - .offset:         64
        .size:           12
        .value_kind:     by_value
    .group_segment_fixed_size: 0
    .kernarg_segment_align: 8
    .kernarg_segment_size: 76
    .language:       OpenCL C
    .language_version:
      - 2
      - 0
    .max_flat_workgroup_size: 256
    .name:           _ZL33flash_attn_stream_k_fixup_uniformILi256ELi4ELi2EEvPfPK15HIP_vector_typeIfLj2EEiiiiiiS1_IjLj3EES5_S5_
    .private_segment_fixed_size: 0
    .sgpr_count:     24
    .sgpr_spill_count: 0
    .symbol:         _ZL33flash_attn_stream_k_fixup_uniformILi256ELi4ELi2EEvPfPK15HIP_vector_typeIfLj2EEiiiiiiS1_IjLj3EES5_S5_.kd
    .uniform_work_group_size: 1
    .uses_dynamic_stack: false
    .vgpr_count:     17
    .vgpr_spill_count: 0
    .wavefront_size: 64
  - .agpr_count:     0
    .args:
      - .address_space:  global
        .offset:         0
        .size:           8
        .value_kind:     global_buffer
      - .address_space:  global
        .offset:         8
        .size:           8
        .value_kind:     global_buffer
      - .offset:         16
        .size:           4
        .value_kind:     by_value
      - .offset:         20
        .size:           4
        .value_kind:     by_value
      - .offset:         24
        .size:           4
        .value_kind:     by_value
      - .offset:         28
        .size:           4
        .value_kind:     by_value
      - .offset:         32
        .size:           12
        .value_kind:     by_value
      - .offset:         44
        .size:           12
        .value_kind:     by_value
      - .offset:         56
        .size:           12
        .value_kind:     by_value
      - .offset:         68
        .size:           12
        .value_kind:     by_value
      - .offset:         80
        .size:           4
        .value_kind:     hidden_block_count_x
      - .offset:         84
        .size:           4
        .value_kind:     hidden_block_count_y
      - .offset:         88
        .size:           4
        .value_kind:     hidden_block_count_z
      - .offset:         92
        .size:           2
        .value_kind:     hidden_group_size_x
      - .offset:         94
        .size:           2
        .value_kind:     hidden_group_size_y
      - .offset:         96
        .size:           2
        .value_kind:     hidden_group_size_z
      - .offset:         98
        .size:           2
        .value_kind:     hidden_remainder_x
      - .offset:         100
        .size:           2
        .value_kind:     hidden_remainder_y
      - .offset:         102
        .size:           2
        .value_kind:     hidden_remainder_z
      - .offset:         120
        .size:           8
        .value_kind:     hidden_global_offset_x
      - .offset:         128
        .size:           8
        .value_kind:     hidden_global_offset_y
      - .offset:         136
        .size:           8
        .value_kind:     hidden_global_offset_z
      - .offset:         144
        .size:           2
        .value_kind:     hidden_grid_dims
    .group_segment_fixed_size: 0
    .kernarg_segment_align: 8
    .kernarg_segment_size: 336
    .language:       OpenCL C
    .language_version:
      - 2
      - 0
    .max_flat_workgroup_size: 256
    .name:           _ZL33flash_attn_stream_k_fixup_generalILi256ELi4ELi2EEvPfPK15HIP_vector_typeIfLj2EEiiiiS1_IjLj3EES5_S5_S5_
    .private_segment_fixed_size: 0
    .sgpr_count:     36
    .sgpr_spill_count: 0
    .symbol:         _ZL33flash_attn_stream_k_fixup_generalILi256ELi4ELi2EEvPfPK15HIP_vector_typeIfLj2EEiiiiS1_IjLj3EES5_S5_S5_.kd
    .uniform_work_group_size: 1
    .uses_dynamic_stack: false
    .vgpr_count:     22
    .vgpr_spill_count: 0
    .wavefront_size: 64
  - .agpr_count:     0
    .args:
      - .address_space:  global
        .offset:         0
        .size:           8
        .value_kind:     global_buffer
      - .address_space:  global
        .offset:         8
        .size:           8
        .value_kind:     global_buffer
      - .address_space:  global
        .offset:         16
        .size:           8
        .value_kind:     global_buffer
      - .address_space:  global
        .offset:         24
        .size:           8
        .value_kind:     global_buffer
      - .address_space:  global
        .offset:         32
        .size:           8
        .value_kind:     global_buffer
      - .address_space:  global
        .offset:         40
        .size:           8
        .value_kind:     global_buffer
      - .address_space:  global
        .offset:         48
        .size:           8
        .value_kind:     global_buffer
      - .address_space:  global
        .offset:         56
        .size:           8
        .value_kind:     global_buffer
      - .offset:         64
        .size:           4
        .value_kind:     by_value
      - .offset:         68
        .size:           4
        .value_kind:     by_value
      - .offset:         72
        .size:           4
        .value_kind:     by_value
      - .offset:         76
        .size:           4
        .value_kind:     by_value
      - .offset:         80
        .size:           4
        .value_kind:     by_value
      - .offset:         84
        .size:           4
        .value_kind:     by_value
      - .offset:         88
        .size:           4
        .value_kind:     by_value
      - .offset:         92
        .size:           12
        .value_kind:     by_value
      - .offset:         104
        .size:           4
        .value_kind:     by_value
      - .offset:         108
        .size:           4
        .value_kind:     by_value
      - .offset:         112
        .size:           4
        .value_kind:     by_value
      - .offset:         116
        .size:           4
        .value_kind:     by_value
      - .offset:         120
        .size:           4
        .value_kind:     by_value
      - .offset:         124
        .size:           4
        .value_kind:     by_value
      - .offset:         128
        .size:           4
        .value_kind:     by_value
      - .offset:         132
        .size:           4
        .value_kind:     by_value
      - .offset:         136
        .size:           4
        .value_kind:     by_value
      - .offset:         140
        .size:           4
        .value_kind:     by_value
      - .offset:         144
        .size:           4
        .value_kind:     by_value
      - .offset:         152
        .size:           8
        .value_kind:     by_value
      - .offset:         160
        .size:           4
        .value_kind:     by_value
      - .offset:         164
        .size:           4
        .value_kind:     by_value
      - .offset:         168
        .size:           8
        .value_kind:     by_value
      - .offset:         176
        .size:           4
        .value_kind:     by_value
      - .offset:         180
        .size:           4
        .value_kind:     by_value
      - .offset:         184
        .size:           4
        .value_kind:     by_value
      - .offset:         188
        .size:           4
        .value_kind:     by_value
      - .offset:         192
        .size:           4
        .value_kind:     by_value
      - .offset:         200
        .size:           8
        .value_kind:     by_value
      - .offset:         208
        .size:           4
        .value_kind:     hidden_block_count_x
      - .offset:         212
        .size:           4
        .value_kind:     hidden_block_count_y
      - .offset:         216
        .size:           4
        .value_kind:     hidden_block_count_z
      - .offset:         220
        .size:           2
        .value_kind:     hidden_group_size_x
      - .offset:         222
        .size:           2
        .value_kind:     hidden_group_size_y
      - .offset:         224
        .size:           2
        .value_kind:     hidden_group_size_z
      - .offset:         226
        .size:           2
        .value_kind:     hidden_remainder_x
      - .offset:         228
        .size:           2
        .value_kind:     hidden_remainder_y
      - .offset:         230
        .size:           2
        .value_kind:     hidden_remainder_z
      - .offset:         248
        .size:           8
        .value_kind:     hidden_global_offset_x
      - .offset:         256
        .size:           8
        .value_kind:     hidden_global_offset_y
      - .offset:         264
        .size:           8
        .value_kind:     hidden_global_offset_z
      - .offset:         272
        .size:           2
        .value_kind:     hidden_grid_dims
    .group_segment_fixed_size: 20000
    .kernarg_segment_align: 8
    .kernarg_segment_size: 464
    .language:       OpenCL C
    .language_version:
      - 2
      - 0
    .max_flat_workgroup_size: 256
    .name:           _ZL15flash_attn_tileILi256ELi256ELi2ELi2ELb0EEvPKcS1_S1_S1_S1_PKiPfP15HIP_vector_typeIfLj2EEffffjfiS5_IjLj3EEiiiiiiiiiiiliiliiiiil
    .private_segment_fixed_size: 0
    .sgpr_count:     44
    .sgpr_spill_count: 0
    .symbol:         _ZL15flash_attn_tileILi256ELi256ELi2ELi2ELb0EEvPKcS1_S1_S1_S1_PKiPfP15HIP_vector_typeIfLj2EEffffjfiS5_IjLj3EEiiiiiiiiiiiliiliiiiil.kd
    .uniform_work_group_size: 1
    .uses_dynamic_stack: false
    .vgpr_count:     96
    .vgpr_spill_count: 0
    .wavefront_size: 64
  - .agpr_count:     0
    .args:
      - .address_space:  global
        .offset:         0
        .size:           8
        .value_kind:     global_buffer
      - .address_space:  global
        .offset:         8
        .size:           8
        .value_kind:     global_buffer
      - .offset:         16
        .size:           4
        .value_kind:     by_value
      - .offset:         20
        .size:           4
        .value_kind:     by_value
      - .offset:         24
        .size:           4
        .value_kind:     by_value
      - .offset:         28
        .size:           4
        .value_kind:     by_value
      - .offset:         32
        .size:           4
        .value_kind:     by_value
      - .offset:         36
        .size:           4
        .value_kind:     by_value
      - .offset:         40
        .size:           12
        .value_kind:     by_value
      - .offset:         52
        .size:           12
        .value_kind:     by_value
      - .offset:         64
        .size:           12
        .value_kind:     by_value
    .group_segment_fixed_size: 0
    .kernarg_segment_align: 8
    .kernarg_segment_size: 76
    .language:       OpenCL C
    .language_version:
      - 2
      - 0
    .max_flat_workgroup_size: 256
    .name:           _ZL33flash_attn_stream_k_fixup_uniformILi256ELi2ELi2EEvPfPK15HIP_vector_typeIfLj2EEiiiiiiS1_IjLj3EES5_S5_
    .private_segment_fixed_size: 0
    .sgpr_count:     24
    .sgpr_spill_count: 0
    .symbol:         _ZL33flash_attn_stream_k_fixup_uniformILi256ELi2ELi2EEvPfPK15HIP_vector_typeIfLj2EEiiiiiiS1_IjLj3EES5_S5_.kd
    .uniform_work_group_size: 1
    .uses_dynamic_stack: false
    .vgpr_count:     17
    .vgpr_spill_count: 0
    .wavefront_size: 64
  - .agpr_count:     0
    .args:
      - .address_space:  global
        .offset:         0
        .size:           8
        .value_kind:     global_buffer
      - .address_space:  global
        .offset:         8
        .size:           8
        .value_kind:     global_buffer
      - .offset:         16
        .size:           4
        .value_kind:     by_value
      - .offset:         20
        .size:           4
        .value_kind:     by_value
      - .offset:         24
        .size:           4
        .value_kind:     by_value
      - .offset:         28
        .size:           4
        .value_kind:     by_value
      - .offset:         32
        .size:           12
        .value_kind:     by_value
      - .offset:         44
        .size:           12
        .value_kind:     by_value
      - .offset:         56
        .size:           12
        .value_kind:     by_value
      - .offset:         68
        .size:           12
        .value_kind:     by_value
      - .offset:         80
        .size:           4
        .value_kind:     hidden_block_count_x
      - .offset:         84
        .size:           4
        .value_kind:     hidden_block_count_y
      - .offset:         88
        .size:           4
        .value_kind:     hidden_block_count_z
      - .offset:         92
        .size:           2
        .value_kind:     hidden_group_size_x
      - .offset:         94
        .size:           2
        .value_kind:     hidden_group_size_y
      - .offset:         96
        .size:           2
        .value_kind:     hidden_group_size_z
      - .offset:         98
        .size:           2
        .value_kind:     hidden_remainder_x
      - .offset:         100
        .size:           2
        .value_kind:     hidden_remainder_y
      - .offset:         102
        .size:           2
        .value_kind:     hidden_remainder_z
      - .offset:         120
        .size:           8
        .value_kind:     hidden_global_offset_x
      - .offset:         128
        .size:           8
        .value_kind:     hidden_global_offset_y
      - .offset:         136
        .size:           8
        .value_kind:     hidden_global_offset_z
      - .offset:         144
        .size:           2
        .value_kind:     hidden_grid_dims
    .group_segment_fixed_size: 0
    .kernarg_segment_align: 8
    .kernarg_segment_size: 336
    .language:       OpenCL C
    .language_version:
      - 2
      - 0
    .max_flat_workgroup_size: 256
    .name:           _ZL33flash_attn_stream_k_fixup_generalILi256ELi2ELi2EEvPfPK15HIP_vector_typeIfLj2EEiiiiS1_IjLj3EES5_S5_S5_
    .private_segment_fixed_size: 0
    .sgpr_count:     36
    .sgpr_spill_count: 0
    .symbol:         _ZL33flash_attn_stream_k_fixup_generalILi256ELi2ELi2EEvPfPK15HIP_vector_typeIfLj2EEiiiiS1_IjLj3EES5_S5_S5_.kd
    .uniform_work_group_size: 1
    .uses_dynamic_stack: false
    .vgpr_count:     22
    .vgpr_spill_count: 0
    .wavefront_size: 64
  - .agpr_count:     0
    .args:
      - .address_space:  global
        .offset:         0
        .size:           8
        .value_kind:     global_buffer
      - .address_space:  global
        .offset:         8
        .size:           8
        .value_kind:     global_buffer
      - .address_space:  global
        .offset:         16
        .size:           8
        .value_kind:     global_buffer
      - .address_space:  global
        .offset:         24
        .size:           8
        .value_kind:     global_buffer
      - .address_space:  global
        .offset:         32
        .size:           8
        .value_kind:     global_buffer
      - .address_space:  global
        .offset:         40
        .size:           8
        .value_kind:     global_buffer
      - .address_space:  global
        .offset:         48
        .size:           8
        .value_kind:     global_buffer
      - .address_space:  global
        .offset:         56
        .size:           8
        .value_kind:     global_buffer
      - .offset:         64
        .size:           4
        .value_kind:     by_value
      - .offset:         68
        .size:           4
        .value_kind:     by_value
      - .offset:         72
        .size:           4
        .value_kind:     by_value
      - .offset:         76
        .size:           4
        .value_kind:     by_value
      - .offset:         80
        .size:           4
        .value_kind:     by_value
      - .offset:         84
        .size:           4
        .value_kind:     by_value
      - .offset:         88
        .size:           4
        .value_kind:     by_value
      - .offset:         92
        .size:           12
        .value_kind:     by_value
      - .offset:         104
        .size:           4
        .value_kind:     by_value
      - .offset:         108
        .size:           4
        .value_kind:     by_value
      - .offset:         112
        .size:           4
        .value_kind:     by_value
      - .offset:         116
        .size:           4
        .value_kind:     by_value
      - .offset:         120
        .size:           4
        .value_kind:     by_value
      - .offset:         124
        .size:           4
        .value_kind:     by_value
      - .offset:         128
        .size:           4
        .value_kind:     by_value
      - .offset:         132
        .size:           4
        .value_kind:     by_value
      - .offset:         136
        .size:           4
        .value_kind:     by_value
      - .offset:         140
        .size:           4
        .value_kind:     by_value
      - .offset:         144
        .size:           4
        .value_kind:     by_value
      - .offset:         152
        .size:           8
        .value_kind:     by_value
      - .offset:         160
        .size:           4
        .value_kind:     by_value
      - .offset:         164
        .size:           4
        .value_kind:     by_value
      - .offset:         168
        .size:           8
        .value_kind:     by_value
      - .offset:         176
        .size:           4
        .value_kind:     by_value
      - .offset:         180
        .size:           4
        .value_kind:     by_value
      - .offset:         184
        .size:           4
        .value_kind:     by_value
      - .offset:         188
        .size:           4
        .value_kind:     by_value
      - .offset:         192
        .size:           4
        .value_kind:     by_value
      - .offset:         200
        .size:           8
        .value_kind:     by_value
      - .offset:         208
        .size:           4
        .value_kind:     hidden_block_count_x
      - .offset:         212
        .size:           4
        .value_kind:     hidden_block_count_y
      - .offset:         216
        .size:           4
        .value_kind:     hidden_block_count_z
      - .offset:         220
        .size:           2
        .value_kind:     hidden_group_size_x
      - .offset:         222
        .size:           2
        .value_kind:     hidden_group_size_y
      - .offset:         224
        .size:           2
        .value_kind:     hidden_group_size_z
      - .offset:         226
        .size:           2
        .value_kind:     hidden_remainder_x
      - .offset:         228
        .size:           2
        .value_kind:     hidden_remainder_y
      - .offset:         230
        .size:           2
        .value_kind:     hidden_remainder_z
      - .offset:         248
        .size:           8
        .value_kind:     hidden_global_offset_x
      - .offset:         256
        .size:           8
        .value_kind:     hidden_global_offset_y
      - .offset:         264
        .size:           8
        .value_kind:     hidden_global_offset_z
      - .offset:         272
        .size:           2
        .value_kind:     hidden_grid_dims
    .group_segment_fixed_size: 20000
    .kernarg_segment_align: 8
    .kernarg_segment_size: 464
    .language:       OpenCL C
    .language_version:
      - 2
      - 0
    .max_flat_workgroup_size: 256
    .name:           _ZL15flash_attn_tileILi256ELi256ELi1ELi2ELb0EEvPKcS1_S1_S1_S1_PKiPfP15HIP_vector_typeIfLj2EEffffjfiS5_IjLj3EEiiiiiiiiiiiliiliiiiil
    .private_segment_fixed_size: 0
    .sgpr_count:     48
    .sgpr_spill_count: 0
    .symbol:         _ZL15flash_attn_tileILi256ELi256ELi1ELi2ELb0EEvPKcS1_S1_S1_S1_PKiPfP15HIP_vector_typeIfLj2EEffffjfiS5_IjLj3EEiiiiiiiiiiiliiliiiiil.kd
    .uniform_work_group_size: 1
    .uses_dynamic_stack: false
    .vgpr_count:     92
    .vgpr_spill_count: 0
    .wavefront_size: 64
  - .agpr_count:     0
    .args:
      - .address_space:  global
        .offset:         0
        .size:           8
        .value_kind:     global_buffer
      - .address_space:  global
        .offset:         8
        .size:           8
        .value_kind:     global_buffer
      - .offset:         16
        .size:           4
        .value_kind:     by_value
      - .offset:         20
        .size:           4
        .value_kind:     by_value
      - .offset:         24
        .size:           4
        .value_kind:     by_value
      - .offset:         28
        .size:           4
        .value_kind:     by_value
      - .offset:         32
        .size:           4
        .value_kind:     by_value
      - .offset:         36
        .size:           4
        .value_kind:     by_value
      - .offset:         40
        .size:           12
        .value_kind:     by_value
      - .offset:         52
        .size:           12
        .value_kind:     by_value
      - .offset:         64
        .size:           12
        .value_kind:     by_value
    .group_segment_fixed_size: 0
    .kernarg_segment_align: 8
    .kernarg_segment_size: 76
    .language:       OpenCL C
    .language_version:
      - 2
      - 0
    .max_flat_workgroup_size: 256
    .name:           _ZL33flash_attn_stream_k_fixup_uniformILi256ELi1ELi2EEvPfPK15HIP_vector_typeIfLj2EEiiiiiiS1_IjLj3EES5_S5_
    .private_segment_fixed_size: 0
    .sgpr_count:     24
    .sgpr_spill_count: 0
    .symbol:         _ZL33flash_attn_stream_k_fixup_uniformILi256ELi1ELi2EEvPfPK15HIP_vector_typeIfLj2EEiiiiiiS1_IjLj3EES5_S5_.kd
    .uniform_work_group_size: 1
    .uses_dynamic_stack: false
    .vgpr_count:     17
    .vgpr_spill_count: 0
    .wavefront_size: 64
  - .agpr_count:     0
    .args:
      - .address_space:  global
        .offset:         0
        .size:           8
        .value_kind:     global_buffer
      - .address_space:  global
        .offset:         8
        .size:           8
        .value_kind:     global_buffer
      - .offset:         16
        .size:           4
        .value_kind:     by_value
      - .offset:         20
        .size:           4
        .value_kind:     by_value
      - .offset:         24
        .size:           4
        .value_kind:     by_value
      - .offset:         28
        .size:           4
        .value_kind:     by_value
      - .offset:         32
        .size:           12
        .value_kind:     by_value
      - .offset:         44
        .size:           12
        .value_kind:     by_value
      - .offset:         56
        .size:           12
        .value_kind:     by_value
      - .offset:         68
        .size:           12
        .value_kind:     by_value
      - .offset:         80
        .size:           4
        .value_kind:     hidden_block_count_x
      - .offset:         84
        .size:           4
        .value_kind:     hidden_block_count_y
      - .offset:         88
        .size:           4
        .value_kind:     hidden_block_count_z
      - .offset:         92
        .size:           2
        .value_kind:     hidden_group_size_x
      - .offset:         94
        .size:           2
        .value_kind:     hidden_group_size_y
      - .offset:         96
        .size:           2
        .value_kind:     hidden_group_size_z
      - .offset:         98
        .size:           2
        .value_kind:     hidden_remainder_x
      - .offset:         100
        .size:           2
        .value_kind:     hidden_remainder_y
      - .offset:         102
        .size:           2
        .value_kind:     hidden_remainder_z
      - .offset:         120
        .size:           8
        .value_kind:     hidden_global_offset_x
      - .offset:         128
        .size:           8
        .value_kind:     hidden_global_offset_y
      - .offset:         136
        .size:           8
        .value_kind:     hidden_global_offset_z
      - .offset:         144
        .size:           2
        .value_kind:     hidden_grid_dims
    .group_segment_fixed_size: 0
    .kernarg_segment_align: 8
    .kernarg_segment_size: 336
    .language:       OpenCL C
    .language_version:
      - 2
      - 0
    .max_flat_workgroup_size: 256
    .name:           _ZL33flash_attn_stream_k_fixup_generalILi256ELi1ELi2EEvPfPK15HIP_vector_typeIfLj2EEiiiiS1_IjLj3EES5_S5_S5_
    .private_segment_fixed_size: 0
    .sgpr_count:     36
    .sgpr_spill_count: 0
    .symbol:         _ZL33flash_attn_stream_k_fixup_generalILi256ELi1ELi2EEvPfPK15HIP_vector_typeIfLj2EEiiiiS1_IjLj3EES5_S5_S5_.kd
    .uniform_work_group_size: 1
    .uses_dynamic_stack: false
    .vgpr_count:     22
    .vgpr_spill_count: 0
    .wavefront_size: 64
  - .agpr_count:     0
    .args:
      - .address_space:  global
        .offset:         0
        .size:           8
        .value_kind:     global_buffer
      - .address_space:  global
        .offset:         8
        .size:           8
        .value_kind:     global_buffer
      - .address_space:  global
        .offset:         16
        .size:           8
        .value_kind:     global_buffer
      - .address_space:  global
        .offset:         24
        .size:           8
        .value_kind:     global_buffer
      - .address_space:  global
        .offset:         32
        .size:           8
        .value_kind:     global_buffer
      - .address_space:  global
        .offset:         40
        .size:           8
        .value_kind:     global_buffer
      - .address_space:  global
        .offset:         48
        .size:           8
        .value_kind:     global_buffer
      - .address_space:  global
        .offset:         56
        .size:           8
        .value_kind:     global_buffer
      - .offset:         64
        .size:           4
        .value_kind:     by_value
      - .offset:         68
        .size:           4
        .value_kind:     by_value
      - .offset:         72
        .size:           4
        .value_kind:     by_value
      - .offset:         76
        .size:           4
        .value_kind:     by_value
      - .offset:         80
        .size:           4
        .value_kind:     by_value
      - .offset:         84
        .size:           4
        .value_kind:     by_value
      - .offset:         88
        .size:           4
        .value_kind:     by_value
      - .offset:         92
        .size:           12
        .value_kind:     by_value
      - .offset:         104
        .size:           4
        .value_kind:     by_value
      - .offset:         108
        .size:           4
        .value_kind:     by_value
      - .offset:         112
        .size:           4
        .value_kind:     by_value
      - .offset:         116
        .size:           4
        .value_kind:     by_value
      - .offset:         120
        .size:           4
        .value_kind:     by_value
      - .offset:         124
        .size:           4
        .value_kind:     by_value
      - .offset:         128
        .size:           4
        .value_kind:     by_value
      - .offset:         132
        .size:           4
        .value_kind:     by_value
      - .offset:         136
        .size:           4
        .value_kind:     by_value
      - .offset:         140
        .size:           4
        .value_kind:     by_value
      - .offset:         144
        .size:           4
        .value_kind:     by_value
      - .offset:         152
        .size:           8
        .value_kind:     by_value
      - .offset:         160
        .size:           4
        .value_kind:     by_value
      - .offset:         164
        .size:           4
        .value_kind:     by_value
      - .offset:         168
        .size:           8
        .value_kind:     by_value
      - .offset:         176
        .size:           4
        .value_kind:     by_value
      - .offset:         180
        .size:           4
        .value_kind:     by_value
      - .offset:         184
        .size:           4
        .value_kind:     by_value
      - .offset:         188
        .size:           4
        .value_kind:     by_value
      - .offset:         192
        .size:           4
        .value_kind:     by_value
      - .offset:         200
        .size:           8
        .value_kind:     by_value
      - .offset:         208
        .size:           4
        .value_kind:     hidden_block_count_x
      - .offset:         212
        .size:           4
        .value_kind:     hidden_block_count_y
      - .offset:         216
        .size:           4
        .value_kind:     hidden_block_count_z
      - .offset:         220
        .size:           2
        .value_kind:     hidden_group_size_x
      - .offset:         222
        .size:           2
        .value_kind:     hidden_group_size_y
      - .offset:         224
        .size:           2
        .value_kind:     hidden_group_size_z
      - .offset:         226
        .size:           2
        .value_kind:     hidden_remainder_x
      - .offset:         228
        .size:           2
        .value_kind:     hidden_remainder_y
      - .offset:         230
        .size:           2
        .value_kind:     hidden_remainder_z
      - .offset:         248
        .size:           8
        .value_kind:     hidden_global_offset_x
      - .offset:         256
        .size:           8
        .value_kind:     hidden_global_offset_y
      - .offset:         264
        .size:           8
        .value_kind:     hidden_global_offset_z
      - .offset:         272
        .size:           2
        .value_kind:     hidden_grid_dims
    .group_segment_fixed_size: 31232
    .kernarg_segment_align: 8
    .kernarg_segment_size: 464
    .language:       OpenCL C
    .language_version:
      - 2
      - 0
    .max_flat_workgroup_size: 256
    .name:           _ZL15flash_attn_tileILi256ELi256ELi32ELi1ELb0EEvPKcS1_S1_S1_S1_PKiPfP15HIP_vector_typeIfLj2EEffffjfiS5_IjLj3EEiiiiiiiiiiiliiliiiiil
    .private_segment_fixed_size: 32
    .sgpr_count:     58
    .sgpr_spill_count: 0
    .symbol:         _ZL15flash_attn_tileILi256ELi256ELi32ELi1ELb0EEvPKcS1_S1_S1_S1_PKiPfP15HIP_vector_typeIfLj2EEffffjfiS5_IjLj3EEiiiiiiiiiiiliiliiiiil.kd
    .uniform_work_group_size: 1
    .uses_dynamic_stack: false
    .vgpr_count:     125
    .vgpr_spill_count: 0
    .wavefront_size: 64
  - .agpr_count:     0
    .args:
      - .actual_access:  read_only
        .address_space:  global
        .offset:         0
        .size:           8
        .value_kind:     global_buffer
      - .actual_access:  write_only
        .address_space:  global
        .offset:         8
        .size:           8
        .value_kind:     global_buffer
      - .offset:         16
        .size:           4
        .value_kind:     by_value
      - .offset:         20
        .size:           4
        .value_kind:     by_value
      - .offset:         24
        .size:           4
        .value_kind:     by_value
      - .offset:         32
        .size:           4
        .value_kind:     hidden_block_count_x
      - .offset:         36
        .size:           4
        .value_kind:     hidden_block_count_y
      - .offset:         40
        .size:           4
        .value_kind:     hidden_block_count_z
      - .offset:         44
        .size:           2
        .value_kind:     hidden_group_size_x
      - .offset:         46
        .size:           2
        .value_kind:     hidden_group_size_y
      - .offset:         48
        .size:           2
        .value_kind:     hidden_group_size_z
      - .offset:         50
        .size:           2
        .value_kind:     hidden_remainder_x
      - .offset:         52
        .size:           2
        .value_kind:     hidden_remainder_y
      - .offset:         54
        .size:           2
        .value_kind:     hidden_remainder_z
      - .offset:         72
        .size:           8
        .value_kind:     hidden_global_offset_x
      - .offset:         80
        .size:           8
        .value_kind:     hidden_global_offset_y
      - .offset:         88
        .size:           8
        .value_kind:     hidden_global_offset_z
      - .offset:         96
        .size:           2
        .value_kind:     hidden_grid_dims
    .group_segment_fixed_size: 128
    .kernarg_segment_align: 8
    .kernarg_segment_size: 288
    .language:       OpenCL C
    .language_version:
      - 2
      - 0
    .max_flat_workgroup_size: 128
    .name:           _ZL25flash_attn_mask_to_KV_maxILi32EEvPK7__half2Piiii
    .private_segment_fixed_size: 0
    .sgpr_count:     100
    .sgpr_spill_count: 48
    .symbol:         _ZL25flash_attn_mask_to_KV_maxILi32EEvPK7__half2Piiii.kd
    .uniform_work_group_size: 1
    .uses_dynamic_stack: false
    .vgpr_count:     13
    .vgpr_spill_count: 0
    .wavefront_size: 64
  - .agpr_count:     0
    .args:
      - .address_space:  global
        .offset:         0
        .size:           8
        .value_kind:     global_buffer
      - .address_space:  global
        .offset:         8
        .size:           8
        .value_kind:     global_buffer
      - .offset:         16
        .size:           4
        .value_kind:     by_value
      - .offset:         20
        .size:           4
        .value_kind:     by_value
      - .offset:         24
        .size:           4
        .value_kind:     by_value
      - .offset:         28
        .size:           4
        .value_kind:     by_value
      - .offset:         32
        .size:           4
        .value_kind:     by_value
      - .offset:         36
        .size:           4
        .value_kind:     by_value
      - .offset:         40
        .size:           12
        .value_kind:     by_value
      - .offset:         52
        .size:           12
        .value_kind:     by_value
      - .offset:         64
        .size:           12
        .value_kind:     by_value
    .group_segment_fixed_size: 0
    .kernarg_segment_align: 8
    .kernarg_segment_size: 76
    .language:       OpenCL C
    .language_version:
      - 2
      - 0
    .max_flat_workgroup_size: 256
    .name:           _ZL33flash_attn_stream_k_fixup_uniformILi256ELi32ELi1EEvPfPK15HIP_vector_typeIfLj2EEiiiiiiS1_IjLj3EES5_S5_
    .private_segment_fixed_size: 0
    .sgpr_count:     24
    .sgpr_spill_count: 0
    .symbol:         _ZL33flash_attn_stream_k_fixup_uniformILi256ELi32ELi1EEvPfPK15HIP_vector_typeIfLj2EEiiiiiiS1_IjLj3EES5_S5_.kd
    .uniform_work_group_size: 1
    .uses_dynamic_stack: false
    .vgpr_count:     17
    .vgpr_spill_count: 0
    .wavefront_size: 64
  - .agpr_count:     0
    .args:
      - .address_space:  global
        .offset:         0
        .size:           8
        .value_kind:     global_buffer
      - .address_space:  global
        .offset:         8
        .size:           8
        .value_kind:     global_buffer
      - .offset:         16
        .size:           4
        .value_kind:     by_value
      - .offset:         20
        .size:           4
        .value_kind:     by_value
      - .offset:         24
        .size:           4
        .value_kind:     by_value
      - .offset:         28
        .size:           4
        .value_kind:     by_value
      - .offset:         32
        .size:           12
        .value_kind:     by_value
      - .offset:         44
        .size:           12
        .value_kind:     by_value
      - .offset:         56
        .size:           12
        .value_kind:     by_value
      - .offset:         68
        .size:           12
        .value_kind:     by_value
      - .offset:         80
        .size:           4
        .value_kind:     hidden_block_count_x
      - .offset:         84
        .size:           4
        .value_kind:     hidden_block_count_y
      - .offset:         88
        .size:           4
        .value_kind:     hidden_block_count_z
      - .offset:         92
        .size:           2
        .value_kind:     hidden_group_size_x
      - .offset:         94
        .size:           2
        .value_kind:     hidden_group_size_y
      - .offset:         96
        .size:           2
        .value_kind:     hidden_group_size_z
      - .offset:         98
        .size:           2
        .value_kind:     hidden_remainder_x
      - .offset:         100
        .size:           2
        .value_kind:     hidden_remainder_y
      - .offset:         102
        .size:           2
        .value_kind:     hidden_remainder_z
      - .offset:         120
        .size:           8
        .value_kind:     hidden_global_offset_x
      - .offset:         128
        .size:           8
        .value_kind:     hidden_global_offset_y
      - .offset:         136
        .size:           8
        .value_kind:     hidden_global_offset_z
      - .offset:         144
        .size:           2
        .value_kind:     hidden_grid_dims
    .group_segment_fixed_size: 0
    .kernarg_segment_align: 8
    .kernarg_segment_size: 336
    .language:       OpenCL C
    .language_version:
      - 2
      - 0
    .max_flat_workgroup_size: 256
    .name:           _ZL33flash_attn_stream_k_fixup_generalILi256ELi32ELi1EEvPfPK15HIP_vector_typeIfLj2EEiiiiS1_IjLj3EES5_S5_S5_
    .private_segment_fixed_size: 0
    .sgpr_count:     36
    .sgpr_spill_count: 0
    .symbol:         _ZL33flash_attn_stream_k_fixup_generalILi256ELi32ELi1EEvPfPK15HIP_vector_typeIfLj2EEiiiiS1_IjLj3EES5_S5_S5_.kd
    .uniform_work_group_size: 1
    .uses_dynamic_stack: false
    .vgpr_count:     22
    .vgpr_spill_count: 0
    .wavefront_size: 64
  - .agpr_count:     0
    .args:
      - .address_space:  global
        .offset:         0
        .size:           8
        .value_kind:     global_buffer
      - .address_space:  global
        .offset:         8
        .size:           8
        .value_kind:     global_buffer
      - .address_space:  global
        .offset:         16
        .size:           8
        .value_kind:     global_buffer
      - .address_space:  global
        .offset:         24
        .size:           8
        .value_kind:     global_buffer
      - .address_space:  global
        .offset:         32
        .size:           8
        .value_kind:     global_buffer
      - .address_space:  global
        .offset:         40
        .size:           8
        .value_kind:     global_buffer
      - .address_space:  global
        .offset:         48
        .size:           8
        .value_kind:     global_buffer
      - .address_space:  global
        .offset:         56
        .size:           8
        .value_kind:     global_buffer
      - .offset:         64
        .size:           4
        .value_kind:     by_value
      - .offset:         68
        .size:           4
        .value_kind:     by_value
      - .offset:         72
        .size:           4
        .value_kind:     by_value
      - .offset:         76
        .size:           4
        .value_kind:     by_value
      - .offset:         80
        .size:           4
        .value_kind:     by_value
      - .offset:         84
        .size:           4
        .value_kind:     by_value
      - .offset:         88
        .size:           4
        .value_kind:     by_value
      - .offset:         92
        .size:           12
        .value_kind:     by_value
      - .offset:         104
        .size:           4
        .value_kind:     by_value
      - .offset:         108
        .size:           4
        .value_kind:     by_value
      - .offset:         112
        .size:           4
        .value_kind:     by_value
      - .offset:         116
        .size:           4
        .value_kind:     by_value
      - .offset:         120
        .size:           4
        .value_kind:     by_value
      - .offset:         124
        .size:           4
        .value_kind:     by_value
      - .offset:         128
        .size:           4
        .value_kind:     by_value
      - .offset:         132
        .size:           4
        .value_kind:     by_value
      - .offset:         136
        .size:           4
        .value_kind:     by_value
      - .offset:         140
        .size:           4
        .value_kind:     by_value
      - .offset:         144
        .size:           4
        .value_kind:     by_value
      - .offset:         152
        .size:           8
        .value_kind:     by_value
      - .offset:         160
        .size:           4
        .value_kind:     by_value
      - .offset:         164
        .size:           4
        .value_kind:     by_value
      - .offset:         168
        .size:           8
        .value_kind:     by_value
      - .offset:         176
        .size:           4
        .value_kind:     by_value
      - .offset:         180
        .size:           4
        .value_kind:     by_value
      - .offset:         184
        .size:           4
        .value_kind:     by_value
      - .offset:         188
        .size:           4
        .value_kind:     by_value
      - .offset:         192
        .size:           4
        .value_kind:     by_value
      - .offset:         200
        .size:           8
        .value_kind:     by_value
      - .offset:         208
        .size:           4
        .value_kind:     hidden_block_count_x
      - .offset:         212
        .size:           4
        .value_kind:     hidden_block_count_y
      - .offset:         216
        .size:           4
        .value_kind:     hidden_block_count_z
      - .offset:         220
        .size:           2
        .value_kind:     hidden_group_size_x
      - .offset:         222
        .size:           2
        .value_kind:     hidden_group_size_y
      - .offset:         224
        .size:           2
        .value_kind:     hidden_group_size_z
      - .offset:         226
        .size:           2
        .value_kind:     hidden_remainder_x
      - .offset:         228
        .size:           2
        .value_kind:     hidden_remainder_y
      - .offset:         230
        .size:           2
        .value_kind:     hidden_remainder_z
      - .offset:         248
        .size:           8
        .value_kind:     hidden_global_offset_x
      - .offset:         256
        .size:           8
        .value_kind:     hidden_global_offset_y
      - .offset:         264
        .size:           8
        .value_kind:     hidden_global_offset_z
      - .offset:         272
        .size:           2
        .value_kind:     hidden_grid_dims
    .group_segment_fixed_size: 17920
    .kernarg_segment_align: 8
    .kernarg_segment_size: 464
    .language:       OpenCL C
    .language_version:
      - 2
      - 0
    .max_flat_workgroup_size: 256
    .name:           _ZL15flash_attn_tileILi256ELi256ELi16ELi1ELb0EEvPKcS1_S1_S1_S1_PKiPfP15HIP_vector_typeIfLj2EEffffjfiS5_IjLj3EEiiiiiiiiiiiliiliiiiil
    .private_segment_fixed_size: 32
    .sgpr_count:     62
    .sgpr_spill_count: 0
    .symbol:         _ZL15flash_attn_tileILi256ELi256ELi16ELi1ELb0EEvPKcS1_S1_S1_S1_PKiPfP15HIP_vector_typeIfLj2EEffffjfiS5_IjLj3EEiiiiiiiiiiiliiliiiiil.kd
    .uniform_work_group_size: 1
    .uses_dynamic_stack: false
    .vgpr_count:     128
    .vgpr_spill_count: 0
    .wavefront_size: 64
  - .agpr_count:     0
    .args:
      - .address_space:  global
        .offset:         0
        .size:           8
        .value_kind:     global_buffer
      - .address_space:  global
        .offset:         8
        .size:           8
        .value_kind:     global_buffer
      - .offset:         16
        .size:           4
        .value_kind:     by_value
      - .offset:         20
        .size:           4
        .value_kind:     by_value
      - .offset:         24
        .size:           4
        .value_kind:     by_value
      - .offset:         28
        .size:           4
        .value_kind:     by_value
      - .offset:         32
        .size:           4
        .value_kind:     by_value
      - .offset:         36
        .size:           4
        .value_kind:     by_value
      - .offset:         40
        .size:           12
        .value_kind:     by_value
      - .offset:         52
        .size:           12
        .value_kind:     by_value
      - .offset:         64
        .size:           12
        .value_kind:     by_value
    .group_segment_fixed_size: 0
    .kernarg_segment_align: 8
    .kernarg_segment_size: 76
    .language:       OpenCL C
    .language_version:
      - 2
      - 0
    .max_flat_workgroup_size: 256
    .name:           _ZL33flash_attn_stream_k_fixup_uniformILi256ELi16ELi1EEvPfPK15HIP_vector_typeIfLj2EEiiiiiiS1_IjLj3EES5_S5_
    .private_segment_fixed_size: 0
    .sgpr_count:     24
    .sgpr_spill_count: 0
    .symbol:         _ZL33flash_attn_stream_k_fixup_uniformILi256ELi16ELi1EEvPfPK15HIP_vector_typeIfLj2EEiiiiiiS1_IjLj3EES5_S5_.kd
    .uniform_work_group_size: 1
    .uses_dynamic_stack: false
    .vgpr_count:     17
    .vgpr_spill_count: 0
    .wavefront_size: 64
  - .agpr_count:     0
    .args:
      - .address_space:  global
        .offset:         0
        .size:           8
        .value_kind:     global_buffer
      - .address_space:  global
        .offset:         8
        .size:           8
        .value_kind:     global_buffer
      - .offset:         16
        .size:           4
        .value_kind:     by_value
      - .offset:         20
        .size:           4
        .value_kind:     by_value
      - .offset:         24
        .size:           4
        .value_kind:     by_value
      - .offset:         28
        .size:           4
        .value_kind:     by_value
      - .offset:         32
        .size:           12
        .value_kind:     by_value
      - .offset:         44
        .size:           12
        .value_kind:     by_value
      - .offset:         56
        .size:           12
        .value_kind:     by_value
      - .offset:         68
        .size:           12
        .value_kind:     by_value
      - .offset:         80
        .size:           4
        .value_kind:     hidden_block_count_x
      - .offset:         84
        .size:           4
        .value_kind:     hidden_block_count_y
      - .offset:         88
        .size:           4
        .value_kind:     hidden_block_count_z
      - .offset:         92
        .size:           2
        .value_kind:     hidden_group_size_x
      - .offset:         94
        .size:           2
        .value_kind:     hidden_group_size_y
      - .offset:         96
        .size:           2
        .value_kind:     hidden_group_size_z
      - .offset:         98
        .size:           2
        .value_kind:     hidden_remainder_x
      - .offset:         100
        .size:           2
        .value_kind:     hidden_remainder_y
      - .offset:         102
        .size:           2
        .value_kind:     hidden_remainder_z
      - .offset:         120
        .size:           8
        .value_kind:     hidden_global_offset_x
      - .offset:         128
        .size:           8
        .value_kind:     hidden_global_offset_y
      - .offset:         136
        .size:           8
        .value_kind:     hidden_global_offset_z
      - .offset:         144
        .size:           2
        .value_kind:     hidden_grid_dims
    .group_segment_fixed_size: 0
    .kernarg_segment_align: 8
    .kernarg_segment_size: 336
    .language:       OpenCL C
    .language_version:
      - 2
      - 0
    .max_flat_workgroup_size: 256
    .name:           _ZL33flash_attn_stream_k_fixup_generalILi256ELi16ELi1EEvPfPK15HIP_vector_typeIfLj2EEiiiiS1_IjLj3EES5_S5_S5_
    .private_segment_fixed_size: 0
    .sgpr_count:     36
    .sgpr_spill_count: 0
    .symbol:         _ZL33flash_attn_stream_k_fixup_generalILi256ELi16ELi1EEvPfPK15HIP_vector_typeIfLj2EEiiiiS1_IjLj3EES5_S5_S5_.kd
    .uniform_work_group_size: 1
    .uses_dynamic_stack: false
    .vgpr_count:     22
    .vgpr_spill_count: 0
    .wavefront_size: 64
  - .agpr_count:     0
    .args:
      - .address_space:  global
        .offset:         0
        .size:           8
        .value_kind:     global_buffer
      - .address_space:  global
        .offset:         8
        .size:           8
        .value_kind:     global_buffer
      - .address_space:  global
        .offset:         16
        .size:           8
        .value_kind:     global_buffer
      - .address_space:  global
        .offset:         24
        .size:           8
        .value_kind:     global_buffer
      - .address_space:  global
        .offset:         32
        .size:           8
        .value_kind:     global_buffer
      - .address_space:  global
        .offset:         40
        .size:           8
        .value_kind:     global_buffer
      - .address_space:  global
        .offset:         48
        .size:           8
        .value_kind:     global_buffer
      - .address_space:  global
        .offset:         56
        .size:           8
        .value_kind:     global_buffer
      - .offset:         64
        .size:           4
        .value_kind:     by_value
      - .offset:         68
        .size:           4
        .value_kind:     by_value
      - .offset:         72
        .size:           4
        .value_kind:     by_value
      - .offset:         76
        .size:           4
        .value_kind:     by_value
      - .offset:         80
        .size:           4
        .value_kind:     by_value
      - .offset:         84
        .size:           4
        .value_kind:     by_value
      - .offset:         88
        .size:           4
        .value_kind:     by_value
      - .offset:         92
        .size:           12
        .value_kind:     by_value
      - .offset:         104
        .size:           4
        .value_kind:     by_value
      - .offset:         108
        .size:           4
        .value_kind:     by_value
      - .offset:         112
        .size:           4
        .value_kind:     by_value
      - .offset:         116
        .size:           4
        .value_kind:     by_value
      - .offset:         120
        .size:           4
        .value_kind:     by_value
      - .offset:         124
        .size:           4
        .value_kind:     by_value
      - .offset:         128
        .size:           4
        .value_kind:     by_value
      - .offset:         132
        .size:           4
        .value_kind:     by_value
      - .offset:         136
        .size:           4
        .value_kind:     by_value
      - .offset:         140
        .size:           4
        .value_kind:     by_value
      - .offset:         144
        .size:           4
        .value_kind:     by_value
      - .offset:         152
        .size:           8
        .value_kind:     by_value
      - .offset:         160
        .size:           4
        .value_kind:     by_value
      - .offset:         164
        .size:           4
        .value_kind:     by_value
      - .offset:         168
        .size:           8
        .value_kind:     by_value
      - .offset:         176
        .size:           4
        .value_kind:     by_value
      - .offset:         180
        .size:           4
        .value_kind:     by_value
      - .offset:         184
        .size:           4
        .value_kind:     by_value
      - .offset:         188
        .size:           4
        .value_kind:     by_value
      - .offset:         192
        .size:           4
        .value_kind:     by_value
      - .offset:         200
        .size:           8
        .value_kind:     by_value
      - .offset:         208
        .size:           4
        .value_kind:     hidden_block_count_x
      - .offset:         212
        .size:           4
        .value_kind:     hidden_block_count_y
      - .offset:         216
        .size:           4
        .value_kind:     hidden_block_count_z
      - .offset:         220
        .size:           2
        .value_kind:     hidden_group_size_x
      - .offset:         222
        .size:           2
        .value_kind:     hidden_group_size_y
      - .offset:         224
        .size:           2
        .value_kind:     hidden_group_size_z
      - .offset:         226
        .size:           2
        .value_kind:     hidden_remainder_x
      - .offset:         228
        .size:           2
        .value_kind:     hidden_remainder_y
      - .offset:         230
        .size:           2
        .value_kind:     hidden_remainder_z
      - .offset:         248
        .size:           8
        .value_kind:     hidden_global_offset_x
      - .offset:         256
        .size:           8
        .value_kind:     hidden_global_offset_y
      - .offset:         264
        .size:           8
        .value_kind:     hidden_global_offset_z
      - .offset:         272
        .size:           2
        .value_kind:     hidden_grid_dims
    .group_segment_fixed_size: 30720
    .kernarg_segment_align: 8
    .kernarg_segment_size: 464
    .language:       OpenCL C
    .language_version:
      - 2
      - 0
    .max_flat_workgroup_size: 256
    .name:           _ZL15flash_attn_tileILi256ELi256ELi8ELi1ELb0EEvPKcS1_S1_S1_S1_PKiPfP15HIP_vector_typeIfLj2EEffffjfiS5_IjLj3EEiiiiiiiiiiiliiliiiiil
    .private_segment_fixed_size: 0
    .sgpr_count:     56
    .sgpr_spill_count: 0
    .symbol:         _ZL15flash_attn_tileILi256ELi256ELi8ELi1ELb0EEvPKcS1_S1_S1_S1_PKiPfP15HIP_vector_typeIfLj2EEffffjfiS5_IjLj3EEiiiiiiiiiiiliiliiiiil.kd
    .uniform_work_group_size: 1
    .uses_dynamic_stack: false
    .vgpr_count:     197
    .vgpr_spill_count: 0
    .wavefront_size: 64
  - .agpr_count:     0
    .args:
      - .address_space:  global
        .offset:         0
        .size:           8
        .value_kind:     global_buffer
      - .address_space:  global
        .offset:         8
        .size:           8
        .value_kind:     global_buffer
      - .offset:         16
        .size:           4
        .value_kind:     by_value
      - .offset:         20
        .size:           4
        .value_kind:     by_value
      - .offset:         24
        .size:           4
        .value_kind:     by_value
      - .offset:         28
        .size:           4
        .value_kind:     by_value
      - .offset:         32
        .size:           4
        .value_kind:     by_value
      - .offset:         36
        .size:           4
        .value_kind:     by_value
      - .offset:         40
        .size:           12
        .value_kind:     by_value
      - .offset:         52
        .size:           12
        .value_kind:     by_value
      - .offset:         64
        .size:           12
        .value_kind:     by_value
    .group_segment_fixed_size: 0
    .kernarg_segment_align: 8
    .kernarg_segment_size: 76
    .language:       OpenCL C
    .language_version:
      - 2
      - 0
    .max_flat_workgroup_size: 256
    .name:           _ZL33flash_attn_stream_k_fixup_uniformILi256ELi8ELi1EEvPfPK15HIP_vector_typeIfLj2EEiiiiiiS1_IjLj3EES5_S5_
    .private_segment_fixed_size: 0
    .sgpr_count:     24
    .sgpr_spill_count: 0
    .symbol:         _ZL33flash_attn_stream_k_fixup_uniformILi256ELi8ELi1EEvPfPK15HIP_vector_typeIfLj2EEiiiiiiS1_IjLj3EES5_S5_.kd
    .uniform_work_group_size: 1
    .uses_dynamic_stack: false
    .vgpr_count:     17
    .vgpr_spill_count: 0
    .wavefront_size: 64
  - .agpr_count:     0
    .args:
      - .address_space:  global
        .offset:         0
        .size:           8
        .value_kind:     global_buffer
      - .address_space:  global
        .offset:         8
        .size:           8
        .value_kind:     global_buffer
      - .offset:         16
        .size:           4
        .value_kind:     by_value
      - .offset:         20
        .size:           4
        .value_kind:     by_value
      - .offset:         24
        .size:           4
        .value_kind:     by_value
      - .offset:         28
        .size:           4
        .value_kind:     by_value
      - .offset:         32
        .size:           12
        .value_kind:     by_value
      - .offset:         44
        .size:           12
        .value_kind:     by_value
      - .offset:         56
        .size:           12
        .value_kind:     by_value
      - .offset:         68
        .size:           12
        .value_kind:     by_value
      - .offset:         80
        .size:           4
        .value_kind:     hidden_block_count_x
      - .offset:         84
        .size:           4
        .value_kind:     hidden_block_count_y
      - .offset:         88
        .size:           4
        .value_kind:     hidden_block_count_z
      - .offset:         92
        .size:           2
        .value_kind:     hidden_group_size_x
      - .offset:         94
        .size:           2
        .value_kind:     hidden_group_size_y
      - .offset:         96
        .size:           2
        .value_kind:     hidden_group_size_z
      - .offset:         98
        .size:           2
        .value_kind:     hidden_remainder_x
      - .offset:         100
        .size:           2
        .value_kind:     hidden_remainder_y
      - .offset:         102
        .size:           2
        .value_kind:     hidden_remainder_z
      - .offset:         120
        .size:           8
        .value_kind:     hidden_global_offset_x
      - .offset:         128
        .size:           8
        .value_kind:     hidden_global_offset_y
      - .offset:         136
        .size:           8
        .value_kind:     hidden_global_offset_z
      - .offset:         144
        .size:           2
        .value_kind:     hidden_grid_dims
    .group_segment_fixed_size: 0
    .kernarg_segment_align: 8
    .kernarg_segment_size: 336
    .language:       OpenCL C
    .language_version:
      - 2
      - 0
    .max_flat_workgroup_size: 256
    .name:           _ZL33flash_attn_stream_k_fixup_generalILi256ELi8ELi1EEvPfPK15HIP_vector_typeIfLj2EEiiiiS1_IjLj3EES5_S5_S5_
    .private_segment_fixed_size: 0
    .sgpr_count:     36
    .sgpr_spill_count: 0
    .symbol:         _ZL33flash_attn_stream_k_fixup_generalILi256ELi8ELi1EEvPfPK15HIP_vector_typeIfLj2EEiiiiS1_IjLj3EES5_S5_S5_.kd
    .uniform_work_group_size: 1
    .uses_dynamic_stack: false
    .vgpr_count:     22
    .vgpr_spill_count: 0
    .wavefront_size: 64
  - .agpr_count:     0
    .args:
      - .address_space:  global
        .offset:         0
        .size:           8
        .value_kind:     global_buffer
      - .address_space:  global
        .offset:         8
        .size:           8
        .value_kind:     global_buffer
      - .address_space:  global
        .offset:         16
        .size:           8
        .value_kind:     global_buffer
      - .address_space:  global
        .offset:         24
        .size:           8
        .value_kind:     global_buffer
      - .address_space:  global
        .offset:         32
        .size:           8
        .value_kind:     global_buffer
      - .address_space:  global
        .offset:         40
        .size:           8
        .value_kind:     global_buffer
      - .address_space:  global
        .offset:         48
        .size:           8
        .value_kind:     global_buffer
      - .address_space:  global
        .offset:         56
        .size:           8
        .value_kind:     global_buffer
      - .offset:         64
        .size:           4
        .value_kind:     by_value
      - .offset:         68
        .size:           4
        .value_kind:     by_value
      - .offset:         72
        .size:           4
        .value_kind:     by_value
      - .offset:         76
        .size:           4
        .value_kind:     by_value
      - .offset:         80
        .size:           4
        .value_kind:     by_value
      - .offset:         84
        .size:           4
        .value_kind:     by_value
      - .offset:         88
        .size:           4
        .value_kind:     by_value
      - .offset:         92
        .size:           12
        .value_kind:     by_value
      - .offset:         104
        .size:           4
        .value_kind:     by_value
      - .offset:         108
        .size:           4
        .value_kind:     by_value
      - .offset:         112
        .size:           4
        .value_kind:     by_value
      - .offset:         116
        .size:           4
        .value_kind:     by_value
      - .offset:         120
        .size:           4
        .value_kind:     by_value
      - .offset:         124
        .size:           4
        .value_kind:     by_value
      - .offset:         128
        .size:           4
        .value_kind:     by_value
      - .offset:         132
        .size:           4
        .value_kind:     by_value
      - .offset:         136
        .size:           4
        .value_kind:     by_value
      - .offset:         140
        .size:           4
        .value_kind:     by_value
      - .offset:         144
        .size:           4
        .value_kind:     by_value
      - .offset:         152
        .size:           8
        .value_kind:     by_value
      - .offset:         160
        .size:           4
        .value_kind:     by_value
      - .offset:         164
        .size:           4
        .value_kind:     by_value
      - .offset:         168
        .size:           8
        .value_kind:     by_value
      - .offset:         176
        .size:           4
        .value_kind:     by_value
      - .offset:         180
        .size:           4
        .value_kind:     by_value
      - .offset:         184
        .size:           4
        .value_kind:     by_value
      - .offset:         188
        .size:           4
        .value_kind:     by_value
      - .offset:         192
        .size:           4
        .value_kind:     by_value
      - .offset:         200
        .size:           8
        .value_kind:     by_value
      - .offset:         208
        .size:           4
        .value_kind:     hidden_block_count_x
      - .offset:         212
        .size:           4
        .value_kind:     hidden_block_count_y
      - .offset:         216
        .size:           4
        .value_kind:     hidden_block_count_z
      - .offset:         220
        .size:           2
        .value_kind:     hidden_group_size_x
      - .offset:         222
        .size:           2
        .value_kind:     hidden_group_size_y
      - .offset:         224
        .size:           2
        .value_kind:     hidden_group_size_z
      - .offset:         226
        .size:           2
        .value_kind:     hidden_remainder_x
      - .offset:         228
        .size:           2
        .value_kind:     hidden_remainder_y
      - .offset:         230
        .size:           2
        .value_kind:     hidden_remainder_z
      - .offset:         248
        .size:           8
        .value_kind:     hidden_global_offset_x
      - .offset:         256
        .size:           8
        .value_kind:     hidden_global_offset_y
      - .offset:         264
        .size:           8
        .value_kind:     hidden_global_offset_z
      - .offset:         272
        .size:           2
        .value_kind:     hidden_grid_dims
    .group_segment_fixed_size: 20032
    .kernarg_segment_align: 8
    .kernarg_segment_size: 464
    .language:       OpenCL C
    .language_version:
      - 2
      - 0
    .max_flat_workgroup_size: 256
    .name:           _ZL15flash_attn_tileILi256ELi256ELi4ELi1ELb0EEvPKcS1_S1_S1_S1_PKiPfP15HIP_vector_typeIfLj2EEffffjfiS5_IjLj3EEiiiiiiiiiiiliiliiiiil
    .private_segment_fixed_size: 32
    .sgpr_count:     62
    .sgpr_spill_count: 0
    .symbol:         _ZL15flash_attn_tileILi256ELi256ELi4ELi1ELb0EEvPKcS1_S1_S1_S1_PKiPfP15HIP_vector_typeIfLj2EEffffjfiS5_IjLj3EEiiiiiiiiiiiliiliiiiil.kd
    .uniform_work_group_size: 1
    .uses_dynamic_stack: false
    .vgpr_count:     133
    .vgpr_spill_count: 0
    .wavefront_size: 64
  - .agpr_count:     0
    .args:
      - .address_space:  global
        .offset:         0
        .size:           8
        .value_kind:     global_buffer
      - .address_space:  global
        .offset:         8
        .size:           8
        .value_kind:     global_buffer
      - .offset:         16
        .size:           4
        .value_kind:     by_value
      - .offset:         20
        .size:           4
        .value_kind:     by_value
      - .offset:         24
        .size:           4
        .value_kind:     by_value
      - .offset:         28
        .size:           4
        .value_kind:     by_value
      - .offset:         32
        .size:           4
        .value_kind:     by_value
      - .offset:         36
        .size:           4
        .value_kind:     by_value
      - .offset:         40
        .size:           12
        .value_kind:     by_value
      - .offset:         52
        .size:           12
        .value_kind:     by_value
      - .offset:         64
        .size:           12
        .value_kind:     by_value
    .group_segment_fixed_size: 0
    .kernarg_segment_align: 8
    .kernarg_segment_size: 76
    .language:       OpenCL C
    .language_version:
      - 2
      - 0
    .max_flat_workgroup_size: 256
    .name:           _ZL33flash_attn_stream_k_fixup_uniformILi256ELi4ELi1EEvPfPK15HIP_vector_typeIfLj2EEiiiiiiS1_IjLj3EES5_S5_
    .private_segment_fixed_size: 0
    .sgpr_count:     24
    .sgpr_spill_count: 0
    .symbol:         _ZL33flash_attn_stream_k_fixup_uniformILi256ELi4ELi1EEvPfPK15HIP_vector_typeIfLj2EEiiiiiiS1_IjLj3EES5_S5_.kd
    .uniform_work_group_size: 1
    .uses_dynamic_stack: false
    .vgpr_count:     17
    .vgpr_spill_count: 0
    .wavefront_size: 64
  - .agpr_count:     0
    .args:
      - .address_space:  global
        .offset:         0
        .size:           8
        .value_kind:     global_buffer
      - .address_space:  global
        .offset:         8
        .size:           8
        .value_kind:     global_buffer
      - .offset:         16
        .size:           4
        .value_kind:     by_value
      - .offset:         20
        .size:           4
        .value_kind:     by_value
      - .offset:         24
        .size:           4
        .value_kind:     by_value
      - .offset:         28
        .size:           4
        .value_kind:     by_value
      - .offset:         32
        .size:           12
        .value_kind:     by_value
      - .offset:         44
        .size:           12
        .value_kind:     by_value
      - .offset:         56
        .size:           12
        .value_kind:     by_value
      - .offset:         68
        .size:           12
        .value_kind:     by_value
      - .offset:         80
        .size:           4
        .value_kind:     hidden_block_count_x
      - .offset:         84
        .size:           4
        .value_kind:     hidden_block_count_y
      - .offset:         88
        .size:           4
        .value_kind:     hidden_block_count_z
      - .offset:         92
        .size:           2
        .value_kind:     hidden_group_size_x
      - .offset:         94
        .size:           2
        .value_kind:     hidden_group_size_y
      - .offset:         96
        .size:           2
        .value_kind:     hidden_group_size_z
      - .offset:         98
        .size:           2
        .value_kind:     hidden_remainder_x
      - .offset:         100
        .size:           2
        .value_kind:     hidden_remainder_y
      - .offset:         102
        .size:           2
        .value_kind:     hidden_remainder_z
      - .offset:         120
        .size:           8
        .value_kind:     hidden_global_offset_x
      - .offset:         128
        .size:           8
        .value_kind:     hidden_global_offset_y
      - .offset:         136
        .size:           8
        .value_kind:     hidden_global_offset_z
      - .offset:         144
        .size:           2
        .value_kind:     hidden_grid_dims
    .group_segment_fixed_size: 0
    .kernarg_segment_align: 8
    .kernarg_segment_size: 336
    .language:       OpenCL C
    .language_version:
      - 2
      - 0
    .max_flat_workgroup_size: 256
    .name:           _ZL33flash_attn_stream_k_fixup_generalILi256ELi4ELi1EEvPfPK15HIP_vector_typeIfLj2EEiiiiS1_IjLj3EES5_S5_S5_
    .private_segment_fixed_size: 0
    .sgpr_count:     36
    .sgpr_spill_count: 0
    .symbol:         _ZL33flash_attn_stream_k_fixup_generalILi256ELi4ELi1EEvPfPK15HIP_vector_typeIfLj2EEiiiiS1_IjLj3EES5_S5_S5_.kd
    .uniform_work_group_size: 1
    .uses_dynamic_stack: false
    .vgpr_count:     22
    .vgpr_spill_count: 0
    .wavefront_size: 64
  - .agpr_count:     0
    .args:
      - .address_space:  global
        .offset:         0
        .size:           8
        .value_kind:     global_buffer
      - .address_space:  global
        .offset:         8
        .size:           8
        .value_kind:     global_buffer
      - .address_space:  global
        .offset:         16
        .size:           8
        .value_kind:     global_buffer
      - .address_space:  global
        .offset:         24
        .size:           8
        .value_kind:     global_buffer
      - .address_space:  global
        .offset:         32
        .size:           8
        .value_kind:     global_buffer
      - .address_space:  global
        .offset:         40
        .size:           8
        .value_kind:     global_buffer
      - .address_space:  global
        .offset:         48
        .size:           8
        .value_kind:     global_buffer
      - .address_space:  global
        .offset:         56
        .size:           8
        .value_kind:     global_buffer
      - .offset:         64
        .size:           4
        .value_kind:     by_value
      - .offset:         68
        .size:           4
        .value_kind:     by_value
      - .offset:         72
        .size:           4
        .value_kind:     by_value
      - .offset:         76
        .size:           4
        .value_kind:     by_value
      - .offset:         80
        .size:           4
        .value_kind:     by_value
      - .offset:         84
        .size:           4
        .value_kind:     by_value
      - .offset:         88
        .size:           4
        .value_kind:     by_value
      - .offset:         92
        .size:           12
        .value_kind:     by_value
      - .offset:         104
        .size:           4
        .value_kind:     by_value
      - .offset:         108
        .size:           4
        .value_kind:     by_value
      - .offset:         112
        .size:           4
        .value_kind:     by_value
      - .offset:         116
        .size:           4
        .value_kind:     by_value
      - .offset:         120
        .size:           4
        .value_kind:     by_value
      - .offset:         124
        .size:           4
        .value_kind:     by_value
      - .offset:         128
        .size:           4
        .value_kind:     by_value
      - .offset:         132
        .size:           4
        .value_kind:     by_value
      - .offset:         136
        .size:           4
        .value_kind:     by_value
      - .offset:         140
        .size:           4
        .value_kind:     by_value
      - .offset:         144
        .size:           4
        .value_kind:     by_value
      - .offset:         152
        .size:           8
        .value_kind:     by_value
      - .offset:         160
        .size:           4
        .value_kind:     by_value
      - .offset:         164
        .size:           4
        .value_kind:     by_value
      - .offset:         168
        .size:           8
        .value_kind:     by_value
      - .offset:         176
        .size:           4
        .value_kind:     by_value
      - .offset:         180
        .size:           4
        .value_kind:     by_value
      - .offset:         184
        .size:           4
        .value_kind:     by_value
      - .offset:         188
        .size:           4
        .value_kind:     by_value
      - .offset:         192
        .size:           4
        .value_kind:     by_value
      - .offset:         200
        .size:           8
        .value_kind:     by_value
      - .offset:         208
        .size:           4
        .value_kind:     hidden_block_count_x
      - .offset:         212
        .size:           4
        .value_kind:     hidden_block_count_y
      - .offset:         216
        .size:           4
        .value_kind:     hidden_block_count_z
      - .offset:         220
        .size:           2
        .value_kind:     hidden_group_size_x
      - .offset:         222
        .size:           2
        .value_kind:     hidden_group_size_y
      - .offset:         224
        .size:           2
        .value_kind:     hidden_group_size_z
      - .offset:         226
        .size:           2
        .value_kind:     hidden_remainder_x
      - .offset:         228
        .size:           2
        .value_kind:     hidden_remainder_y
      - .offset:         230
        .size:           2
        .value_kind:     hidden_remainder_z
      - .offset:         248
        .size:           8
        .value_kind:     hidden_global_offset_x
      - .offset:         256
        .size:           8
        .value_kind:     hidden_global_offset_y
      - .offset:         264
        .size:           8
        .value_kind:     hidden_global_offset_z
      - .offset:         272
        .size:           2
        .value_kind:     hidden_grid_dims
    .group_segment_fixed_size: 20032
    .kernarg_segment_align: 8
    .kernarg_segment_size: 464
    .language:       OpenCL C
    .language_version:
      - 2
      - 0
    .max_flat_workgroup_size: 256
    .name:           _ZL15flash_attn_tileILi256ELi256ELi2ELi1ELb0EEvPKcS1_S1_S1_S1_PKiPfP15HIP_vector_typeIfLj2EEffffjfiS5_IjLj3EEiiiiiiiiiiiliiliiiiil
    .private_segment_fixed_size: 32
    .sgpr_count:     62
    .sgpr_spill_count: 0
    .symbol:         _ZL15flash_attn_tileILi256ELi256ELi2ELi1ELb0EEvPKcS1_S1_S1_S1_PKiPfP15HIP_vector_typeIfLj2EEffffjfiS5_IjLj3EEiiiiiiiiiiiliiliiiiil.kd
    .uniform_work_group_size: 1
    .uses_dynamic_stack: false
    .vgpr_count:     92
    .vgpr_spill_count: 0
    .wavefront_size: 64
  - .agpr_count:     0
    .args:
      - .address_space:  global
        .offset:         0
        .size:           8
        .value_kind:     global_buffer
      - .address_space:  global
        .offset:         8
        .size:           8
        .value_kind:     global_buffer
      - .offset:         16
        .size:           4
        .value_kind:     by_value
      - .offset:         20
        .size:           4
        .value_kind:     by_value
      - .offset:         24
        .size:           4
        .value_kind:     by_value
      - .offset:         28
        .size:           4
        .value_kind:     by_value
      - .offset:         32
        .size:           4
        .value_kind:     by_value
      - .offset:         36
        .size:           4
        .value_kind:     by_value
      - .offset:         40
        .size:           12
        .value_kind:     by_value
      - .offset:         52
        .size:           12
        .value_kind:     by_value
      - .offset:         64
        .size:           12
        .value_kind:     by_value
    .group_segment_fixed_size: 0
    .kernarg_segment_align: 8
    .kernarg_segment_size: 76
    .language:       OpenCL C
    .language_version:
      - 2
      - 0
    .max_flat_workgroup_size: 256
    .name:           _ZL33flash_attn_stream_k_fixup_uniformILi256ELi2ELi1EEvPfPK15HIP_vector_typeIfLj2EEiiiiiiS1_IjLj3EES5_S5_
    .private_segment_fixed_size: 0
    .sgpr_count:     24
    .sgpr_spill_count: 0
    .symbol:         _ZL33flash_attn_stream_k_fixup_uniformILi256ELi2ELi1EEvPfPK15HIP_vector_typeIfLj2EEiiiiiiS1_IjLj3EES5_S5_.kd
    .uniform_work_group_size: 1
    .uses_dynamic_stack: false
    .vgpr_count:     17
    .vgpr_spill_count: 0
    .wavefront_size: 64
  - .agpr_count:     0
    .args:
      - .address_space:  global
        .offset:         0
        .size:           8
        .value_kind:     global_buffer
      - .address_space:  global
        .offset:         8
        .size:           8
        .value_kind:     global_buffer
      - .offset:         16
        .size:           4
        .value_kind:     by_value
      - .offset:         20
        .size:           4
        .value_kind:     by_value
      - .offset:         24
        .size:           4
        .value_kind:     by_value
      - .offset:         28
        .size:           4
        .value_kind:     by_value
      - .offset:         32
        .size:           12
        .value_kind:     by_value
      - .offset:         44
        .size:           12
        .value_kind:     by_value
      - .offset:         56
        .size:           12
        .value_kind:     by_value
      - .offset:         68
        .size:           12
        .value_kind:     by_value
      - .offset:         80
        .size:           4
        .value_kind:     hidden_block_count_x
      - .offset:         84
        .size:           4
        .value_kind:     hidden_block_count_y
      - .offset:         88
        .size:           4
        .value_kind:     hidden_block_count_z
      - .offset:         92
        .size:           2
        .value_kind:     hidden_group_size_x
      - .offset:         94
        .size:           2
        .value_kind:     hidden_group_size_y
      - .offset:         96
        .size:           2
        .value_kind:     hidden_group_size_z
      - .offset:         98
        .size:           2
        .value_kind:     hidden_remainder_x
      - .offset:         100
        .size:           2
        .value_kind:     hidden_remainder_y
      - .offset:         102
        .size:           2
        .value_kind:     hidden_remainder_z
      - .offset:         120
        .size:           8
        .value_kind:     hidden_global_offset_x
      - .offset:         128
        .size:           8
        .value_kind:     hidden_global_offset_y
      - .offset:         136
        .size:           8
        .value_kind:     hidden_global_offset_z
      - .offset:         144
        .size:           2
        .value_kind:     hidden_grid_dims
    .group_segment_fixed_size: 0
    .kernarg_segment_align: 8
    .kernarg_segment_size: 336
    .language:       OpenCL C
    .language_version:
      - 2
      - 0
    .max_flat_workgroup_size: 256
    .name:           _ZL33flash_attn_stream_k_fixup_generalILi256ELi2ELi1EEvPfPK15HIP_vector_typeIfLj2EEiiiiS1_IjLj3EES5_S5_S5_
    .private_segment_fixed_size: 0
    .sgpr_count:     36
    .sgpr_spill_count: 0
    .symbol:         _ZL33flash_attn_stream_k_fixup_generalILi256ELi2ELi1EEvPfPK15HIP_vector_typeIfLj2EEiiiiS1_IjLj3EES5_S5_S5_.kd
    .uniform_work_group_size: 1
    .uses_dynamic_stack: false
    .vgpr_count:     22
    .vgpr_spill_count: 0
    .wavefront_size: 64
  - .agpr_count:     0
    .args:
      - .address_space:  global
        .offset:         0
        .size:           8
        .value_kind:     global_buffer
      - .address_space:  global
        .offset:         8
        .size:           8
        .value_kind:     global_buffer
      - .address_space:  global
        .offset:         16
        .size:           8
        .value_kind:     global_buffer
      - .address_space:  global
        .offset:         24
        .size:           8
        .value_kind:     global_buffer
      - .address_space:  global
        .offset:         32
        .size:           8
        .value_kind:     global_buffer
      - .address_space:  global
        .offset:         40
        .size:           8
        .value_kind:     global_buffer
      - .address_space:  global
        .offset:         48
        .size:           8
        .value_kind:     global_buffer
      - .address_space:  global
        .offset:         56
        .size:           8
        .value_kind:     global_buffer
      - .offset:         64
        .size:           4
        .value_kind:     by_value
      - .offset:         68
        .size:           4
        .value_kind:     by_value
      - .offset:         72
        .size:           4
        .value_kind:     by_value
      - .offset:         76
        .size:           4
        .value_kind:     by_value
      - .offset:         80
        .size:           4
        .value_kind:     by_value
      - .offset:         84
        .size:           4
        .value_kind:     by_value
      - .offset:         88
        .size:           4
        .value_kind:     by_value
      - .offset:         92
        .size:           12
        .value_kind:     by_value
      - .offset:         104
        .size:           4
        .value_kind:     by_value
      - .offset:         108
        .size:           4
        .value_kind:     by_value
      - .offset:         112
        .size:           4
        .value_kind:     by_value
      - .offset:         116
        .size:           4
        .value_kind:     by_value
      - .offset:         120
        .size:           4
        .value_kind:     by_value
      - .offset:         124
        .size:           4
        .value_kind:     by_value
      - .offset:         128
        .size:           4
        .value_kind:     by_value
      - .offset:         132
        .size:           4
        .value_kind:     by_value
      - .offset:         136
        .size:           4
        .value_kind:     by_value
      - .offset:         140
        .size:           4
        .value_kind:     by_value
      - .offset:         144
        .size:           4
        .value_kind:     by_value
      - .offset:         152
        .size:           8
        .value_kind:     by_value
      - .offset:         160
        .size:           4
        .value_kind:     by_value
      - .offset:         164
        .size:           4
        .value_kind:     by_value
      - .offset:         168
        .size:           8
        .value_kind:     by_value
      - .offset:         176
        .size:           4
        .value_kind:     by_value
      - .offset:         180
        .size:           4
        .value_kind:     by_value
      - .offset:         184
        .size:           4
        .value_kind:     by_value
      - .offset:         188
        .size:           4
        .value_kind:     by_value
      - .offset:         192
        .size:           4
        .value_kind:     by_value
      - .offset:         200
        .size:           8
        .value_kind:     by_value
      - .offset:         208
        .size:           4
        .value_kind:     hidden_block_count_x
      - .offset:         212
        .size:           4
        .value_kind:     hidden_block_count_y
      - .offset:         216
        .size:           4
        .value_kind:     hidden_block_count_z
      - .offset:         220
        .size:           2
        .value_kind:     hidden_group_size_x
      - .offset:         222
        .size:           2
        .value_kind:     hidden_group_size_y
      - .offset:         224
        .size:           2
        .value_kind:     hidden_group_size_z
      - .offset:         226
        .size:           2
        .value_kind:     hidden_remainder_x
      - .offset:         228
        .size:           2
        .value_kind:     hidden_remainder_y
      - .offset:         230
        .size:           2
        .value_kind:     hidden_remainder_z
      - .offset:         248
        .size:           8
        .value_kind:     hidden_global_offset_x
      - .offset:         256
        .size:           8
        .value_kind:     hidden_global_offset_y
      - .offset:         264
        .size:           8
        .value_kind:     hidden_global_offset_z
      - .offset:         272
        .size:           2
        .value_kind:     hidden_grid_dims
    .group_segment_fixed_size: 27136
    .kernarg_segment_align: 8
    .kernarg_segment_size: 464
    .language:       OpenCL C
    .language_version:
      - 2
      - 0
    .max_flat_workgroup_size: 256
    .name:           _ZL15flash_attn_tileILi256ELi256ELi4ELi8ELb1EEvPKcS1_S1_S1_S1_PKiPfP15HIP_vector_typeIfLj2EEffffjfiS5_IjLj3EEiiiiiiiiiiiliiliiiiil
    .private_segment_fixed_size: 0
    .sgpr_count:     43
    .sgpr_spill_count: 0
    .symbol:         _ZL15flash_attn_tileILi256ELi256ELi4ELi8ELb1EEvPKcS1_S1_S1_S1_PKiPfP15HIP_vector_typeIfLj2EEffffjfiS5_IjLj3EEiiiiiiiiiiiliiliiiiil.kd
    .uniform_work_group_size: 1
    .uses_dynamic_stack: false
    .vgpr_count:     105
    .vgpr_spill_count: 0
    .wavefront_size: 64
  - .agpr_count:     0
    .args:
      - .address_space:  global
        .offset:         0
        .size:           8
        .value_kind:     global_buffer
      - .address_space:  global
        .offset:         8
        .size:           8
        .value_kind:     global_buffer
      - .address_space:  global
        .offset:         16
        .size:           8
        .value_kind:     global_buffer
      - .address_space:  global
        .offset:         24
        .size:           8
        .value_kind:     global_buffer
      - .address_space:  global
        .offset:         32
        .size:           8
        .value_kind:     global_buffer
      - .address_space:  global
        .offset:         40
        .size:           8
        .value_kind:     global_buffer
      - .address_space:  global
        .offset:         48
        .size:           8
        .value_kind:     global_buffer
      - .address_space:  global
        .offset:         56
        .size:           8
        .value_kind:     global_buffer
      - .offset:         64
        .size:           4
        .value_kind:     by_value
      - .offset:         68
        .size:           4
        .value_kind:     by_value
      - .offset:         72
        .size:           4
        .value_kind:     by_value
      - .offset:         76
        .size:           4
        .value_kind:     by_value
      - .offset:         80
        .size:           4
        .value_kind:     by_value
      - .offset:         84
        .size:           4
        .value_kind:     by_value
      - .offset:         88
        .size:           4
        .value_kind:     by_value
      - .offset:         92
        .size:           12
        .value_kind:     by_value
      - .offset:         104
        .size:           4
        .value_kind:     by_value
      - .offset:         108
        .size:           4
        .value_kind:     by_value
      - .offset:         112
        .size:           4
        .value_kind:     by_value
      - .offset:         116
        .size:           4
        .value_kind:     by_value
      - .offset:         120
        .size:           4
        .value_kind:     by_value
      - .offset:         124
        .size:           4
        .value_kind:     by_value
      - .offset:         128
        .size:           4
        .value_kind:     by_value
      - .offset:         132
        .size:           4
        .value_kind:     by_value
      - .offset:         136
        .size:           4
        .value_kind:     by_value
      - .offset:         140
        .size:           4
        .value_kind:     by_value
      - .offset:         144
        .size:           4
        .value_kind:     by_value
      - .offset:         152
        .size:           8
        .value_kind:     by_value
      - .offset:         160
        .size:           4
        .value_kind:     by_value
      - .offset:         164
        .size:           4
        .value_kind:     by_value
      - .offset:         168
        .size:           8
        .value_kind:     by_value
      - .offset:         176
        .size:           4
        .value_kind:     by_value
      - .offset:         180
        .size:           4
        .value_kind:     by_value
      - .offset:         184
        .size:           4
        .value_kind:     by_value
      - .offset:         188
        .size:           4
        .value_kind:     by_value
      - .offset:         192
        .size:           4
        .value_kind:     by_value
      - .offset:         200
        .size:           8
        .value_kind:     by_value
      - .offset:         208
        .size:           4
        .value_kind:     hidden_block_count_x
      - .offset:         212
        .size:           4
        .value_kind:     hidden_block_count_y
      - .offset:         216
        .size:           4
        .value_kind:     hidden_block_count_z
      - .offset:         220
        .size:           2
        .value_kind:     hidden_group_size_x
      - .offset:         222
        .size:           2
        .value_kind:     hidden_group_size_y
      - .offset:         224
        .size:           2
        .value_kind:     hidden_group_size_z
      - .offset:         226
        .size:           2
        .value_kind:     hidden_remainder_x
      - .offset:         228
        .size:           2
        .value_kind:     hidden_remainder_y
      - .offset:         230
        .size:           2
        .value_kind:     hidden_remainder_z
      - .offset:         248
        .size:           8
        .value_kind:     hidden_global_offset_x
      - .offset:         256
        .size:           8
        .value_kind:     hidden_global_offset_y
      - .offset:         264
        .size:           8
        .value_kind:     hidden_global_offset_z
      - .offset:         272
        .size:           2
        .value_kind:     hidden_grid_dims
    .group_segment_fixed_size: 17920
    .kernarg_segment_align: 8
    .kernarg_segment_size: 464
    .language:       OpenCL C
    .language_version:
      - 2
      - 0
    .max_flat_workgroup_size: 256
    .name:           _ZL15flash_attn_tileILi256ELi256ELi2ELi8ELb1EEvPKcS1_S1_S1_S1_PKiPfP15HIP_vector_typeIfLj2EEffffjfiS5_IjLj3EEiiiiiiiiiiiliiliiiiil
    .private_segment_fixed_size: 0
    .sgpr_count:     43
    .sgpr_spill_count: 0
    .symbol:         _ZL15flash_attn_tileILi256ELi256ELi2ELi8ELb1EEvPKcS1_S1_S1_S1_PKiPfP15HIP_vector_typeIfLj2EEffffjfiS5_IjLj3EEiiiiiiiiiiiliiliiiiil.kd
    .uniform_work_group_size: 1
    .uses_dynamic_stack: false
    .vgpr_count:     113
    .vgpr_spill_count: 0
    .wavefront_size: 64
  - .agpr_count:     0
    .args:
      - .address_space:  global
        .offset:         0
        .size:           8
        .value_kind:     global_buffer
      - .address_space:  global
        .offset:         8
        .size:           8
        .value_kind:     global_buffer
      - .address_space:  global
        .offset:         16
        .size:           8
        .value_kind:     global_buffer
      - .address_space:  global
        .offset:         24
        .size:           8
        .value_kind:     global_buffer
      - .address_space:  global
        .offset:         32
        .size:           8
        .value_kind:     global_buffer
      - .address_space:  global
        .offset:         40
        .size:           8
        .value_kind:     global_buffer
      - .address_space:  global
        .offset:         48
        .size:           8
        .value_kind:     global_buffer
      - .address_space:  global
        .offset:         56
        .size:           8
        .value_kind:     global_buffer
      - .offset:         64
        .size:           4
        .value_kind:     by_value
      - .offset:         68
        .size:           4
        .value_kind:     by_value
      - .offset:         72
        .size:           4
        .value_kind:     by_value
      - .offset:         76
        .size:           4
        .value_kind:     by_value
      - .offset:         80
        .size:           4
        .value_kind:     by_value
      - .offset:         84
        .size:           4
        .value_kind:     by_value
      - .offset:         88
        .size:           4
        .value_kind:     by_value
      - .offset:         92
        .size:           12
        .value_kind:     by_value
      - .offset:         104
        .size:           4
        .value_kind:     by_value
      - .offset:         108
        .size:           4
        .value_kind:     by_value
      - .offset:         112
        .size:           4
        .value_kind:     by_value
      - .offset:         116
        .size:           4
        .value_kind:     by_value
      - .offset:         120
        .size:           4
        .value_kind:     by_value
      - .offset:         124
        .size:           4
        .value_kind:     by_value
      - .offset:         128
        .size:           4
        .value_kind:     by_value
      - .offset:         132
        .size:           4
        .value_kind:     by_value
      - .offset:         136
        .size:           4
        .value_kind:     by_value
      - .offset:         140
        .size:           4
        .value_kind:     by_value
      - .offset:         144
        .size:           4
        .value_kind:     by_value
      - .offset:         152
        .size:           8
        .value_kind:     by_value
      - .offset:         160
        .size:           4
        .value_kind:     by_value
      - .offset:         164
        .size:           4
        .value_kind:     by_value
      - .offset:         168
        .size:           8
        .value_kind:     by_value
      - .offset:         176
        .size:           4
        .value_kind:     by_value
      - .offset:         180
        .size:           4
        .value_kind:     by_value
      - .offset:         184
        .size:           4
        .value_kind:     by_value
      - .offset:         188
        .size:           4
        .value_kind:     by_value
      - .offset:         192
        .size:           4
        .value_kind:     by_value
      - .offset:         200
        .size:           8
        .value_kind:     by_value
      - .offset:         208
        .size:           4
        .value_kind:     hidden_block_count_x
      - .offset:         212
        .size:           4
        .value_kind:     hidden_block_count_y
      - .offset:         216
        .size:           4
        .value_kind:     hidden_block_count_z
      - .offset:         220
        .size:           2
        .value_kind:     hidden_group_size_x
      - .offset:         222
        .size:           2
        .value_kind:     hidden_group_size_y
      - .offset:         224
        .size:           2
        .value_kind:     hidden_group_size_z
      - .offset:         226
        .size:           2
        .value_kind:     hidden_remainder_x
      - .offset:         228
        .size:           2
        .value_kind:     hidden_remainder_y
      - .offset:         230
        .size:           2
        .value_kind:     hidden_remainder_z
      - .offset:         248
        .size:           8
        .value_kind:     hidden_global_offset_x
      - .offset:         256
        .size:           8
        .value_kind:     hidden_global_offset_y
      - .offset:         264
        .size:           8
        .value_kind:     hidden_global_offset_z
      - .offset:         272
        .size:           2
        .value_kind:     hidden_grid_dims
    .group_segment_fixed_size: 22528
    .kernarg_segment_align: 8
    .kernarg_segment_size: 464
    .language:       OpenCL C
    .language_version:
      - 2
      - 0
    .max_flat_workgroup_size: 256
    .name:           _ZL15flash_attn_tileILi256ELi256ELi1ELi8ELb1EEvPKcS1_S1_S1_S1_PKiPfP15HIP_vector_typeIfLj2EEffffjfiS5_IjLj3EEiiiiiiiiiiiliiliiiiil
    .private_segment_fixed_size: 0
    .sgpr_count:     48
    .sgpr_spill_count: 0
    .symbol:         _ZL15flash_attn_tileILi256ELi256ELi1ELi8ELb1EEvPKcS1_S1_S1_S1_PKiPfP15HIP_vector_typeIfLj2EEffffjfiS5_IjLj3EEiiiiiiiiiiiliiliiiiil.kd
    .uniform_work_group_size: 1
    .uses_dynamic_stack: false
    .vgpr_count:     166
    .vgpr_spill_count: 0
    .wavefront_size: 64
  - .agpr_count:     0
    .args:
      - .address_space:  global
        .offset:         0
        .size:           8
        .value_kind:     global_buffer
      - .address_space:  global
        .offset:         8
        .size:           8
        .value_kind:     global_buffer
      - .address_space:  global
        .offset:         16
        .size:           8
        .value_kind:     global_buffer
      - .address_space:  global
        .offset:         24
        .size:           8
        .value_kind:     global_buffer
      - .address_space:  global
        .offset:         32
        .size:           8
        .value_kind:     global_buffer
      - .address_space:  global
        .offset:         40
        .size:           8
        .value_kind:     global_buffer
      - .address_space:  global
        .offset:         48
        .size:           8
        .value_kind:     global_buffer
      - .address_space:  global
        .offset:         56
        .size:           8
        .value_kind:     global_buffer
      - .offset:         64
        .size:           4
        .value_kind:     by_value
      - .offset:         68
        .size:           4
        .value_kind:     by_value
      - .offset:         72
        .size:           4
        .value_kind:     by_value
      - .offset:         76
        .size:           4
        .value_kind:     by_value
      - .offset:         80
        .size:           4
        .value_kind:     by_value
      - .offset:         84
        .size:           4
        .value_kind:     by_value
      - .offset:         88
        .size:           4
        .value_kind:     by_value
      - .offset:         92
        .size:           12
        .value_kind:     by_value
      - .offset:         104
        .size:           4
        .value_kind:     by_value
      - .offset:         108
        .size:           4
        .value_kind:     by_value
      - .offset:         112
        .size:           4
        .value_kind:     by_value
      - .offset:         116
        .size:           4
        .value_kind:     by_value
      - .offset:         120
        .size:           4
        .value_kind:     by_value
      - .offset:         124
        .size:           4
        .value_kind:     by_value
      - .offset:         128
        .size:           4
        .value_kind:     by_value
      - .offset:         132
        .size:           4
        .value_kind:     by_value
      - .offset:         136
        .size:           4
        .value_kind:     by_value
      - .offset:         140
        .size:           4
        .value_kind:     by_value
      - .offset:         144
        .size:           4
        .value_kind:     by_value
      - .offset:         152
        .size:           8
        .value_kind:     by_value
      - .offset:         160
        .size:           4
        .value_kind:     by_value
      - .offset:         164
        .size:           4
        .value_kind:     by_value
      - .offset:         168
        .size:           8
        .value_kind:     by_value
      - .offset:         176
        .size:           4
        .value_kind:     by_value
      - .offset:         180
        .size:           4
        .value_kind:     by_value
      - .offset:         184
        .size:           4
        .value_kind:     by_value
      - .offset:         188
        .size:           4
        .value_kind:     by_value
      - .offset:         192
        .size:           4
        .value_kind:     by_value
      - .offset:         200
        .size:           8
        .value_kind:     by_value
      - .offset:         208
        .size:           4
        .value_kind:     hidden_block_count_x
      - .offset:         212
        .size:           4
        .value_kind:     hidden_block_count_y
      - .offset:         216
        .size:           4
        .value_kind:     hidden_block_count_z
      - .offset:         220
        .size:           2
        .value_kind:     hidden_group_size_x
      - .offset:         222
        .size:           2
        .value_kind:     hidden_group_size_y
      - .offset:         224
        .size:           2
        .value_kind:     hidden_group_size_z
      - .offset:         226
        .size:           2
        .value_kind:     hidden_remainder_x
      - .offset:         228
        .size:           2
        .value_kind:     hidden_remainder_y
      - .offset:         230
        .size:           2
        .value_kind:     hidden_remainder_z
      - .offset:         248
        .size:           8
        .value_kind:     hidden_global_offset_x
      - .offset:         256
        .size:           8
        .value_kind:     hidden_global_offset_y
      - .offset:         264
        .size:           8
        .value_kind:     hidden_global_offset_z
      - .offset:         272
        .size:           2
        .value_kind:     hidden_grid_dims
    .group_segment_fixed_size: 27136
    .kernarg_segment_align: 8
    .kernarg_segment_size: 464
    .language:       OpenCL C
    .language_version:
      - 2
      - 0
    .max_flat_workgroup_size: 256
    .name:           _ZL15flash_attn_tileILi256ELi256ELi8ELi4ELb1EEvPKcS1_S1_S1_S1_PKiPfP15HIP_vector_typeIfLj2EEffffjfiS5_IjLj3EEiiiiiiiiiiiliiliiiiil
    .private_segment_fixed_size: 0
    .sgpr_count:     43
    .sgpr_spill_count: 0
    .symbol:         _ZL15flash_attn_tileILi256ELi256ELi8ELi4ELb1EEvPKcS1_S1_S1_S1_PKiPfP15HIP_vector_typeIfLj2EEffffjfiS5_IjLj3EEiiiiiiiiiiiliiliiiiil.kd
    .uniform_work_group_size: 1
    .uses_dynamic_stack: false
    .vgpr_count:     104
    .vgpr_spill_count: 0
    .wavefront_size: 64
  - .agpr_count:     0
    .args:
      - .address_space:  global
        .offset:         0
        .size:           8
        .value_kind:     global_buffer
      - .address_space:  global
        .offset:         8
        .size:           8
        .value_kind:     global_buffer
      - .address_space:  global
        .offset:         16
        .size:           8
        .value_kind:     global_buffer
      - .address_space:  global
        .offset:         24
        .size:           8
        .value_kind:     global_buffer
      - .address_space:  global
        .offset:         32
        .size:           8
        .value_kind:     global_buffer
      - .address_space:  global
        .offset:         40
        .size:           8
        .value_kind:     global_buffer
      - .address_space:  global
        .offset:         48
        .size:           8
        .value_kind:     global_buffer
      - .address_space:  global
        .offset:         56
        .size:           8
        .value_kind:     global_buffer
      - .offset:         64
        .size:           4
        .value_kind:     by_value
      - .offset:         68
        .size:           4
        .value_kind:     by_value
      - .offset:         72
        .size:           4
        .value_kind:     by_value
      - .offset:         76
        .size:           4
        .value_kind:     by_value
      - .offset:         80
        .size:           4
        .value_kind:     by_value
      - .offset:         84
        .size:           4
        .value_kind:     by_value
      - .offset:         88
        .size:           4
        .value_kind:     by_value
      - .offset:         92
        .size:           12
        .value_kind:     by_value
      - .offset:         104
        .size:           4
        .value_kind:     by_value
      - .offset:         108
        .size:           4
        .value_kind:     by_value
      - .offset:         112
        .size:           4
        .value_kind:     by_value
      - .offset:         116
        .size:           4
        .value_kind:     by_value
      - .offset:         120
        .size:           4
        .value_kind:     by_value
      - .offset:         124
        .size:           4
        .value_kind:     by_value
      - .offset:         128
        .size:           4
        .value_kind:     by_value
      - .offset:         132
        .size:           4
        .value_kind:     by_value
      - .offset:         136
        .size:           4
        .value_kind:     by_value
      - .offset:         140
        .size:           4
        .value_kind:     by_value
      - .offset:         144
        .size:           4
        .value_kind:     by_value
      - .offset:         152
        .size:           8
        .value_kind:     by_value
      - .offset:         160
        .size:           4
        .value_kind:     by_value
      - .offset:         164
        .size:           4
        .value_kind:     by_value
      - .offset:         168
        .size:           8
        .value_kind:     by_value
      - .offset:         176
        .size:           4
        .value_kind:     by_value
      - .offset:         180
        .size:           4
        .value_kind:     by_value
      - .offset:         184
        .size:           4
        .value_kind:     by_value
      - .offset:         188
        .size:           4
        .value_kind:     by_value
      - .offset:         192
        .size:           4
        .value_kind:     by_value
      - .offset:         200
        .size:           8
        .value_kind:     by_value
      - .offset:         208
        .size:           4
        .value_kind:     hidden_block_count_x
      - .offset:         212
        .size:           4
        .value_kind:     hidden_block_count_y
      - .offset:         216
        .size:           4
        .value_kind:     hidden_block_count_z
      - .offset:         220
        .size:           2
        .value_kind:     hidden_group_size_x
      - .offset:         222
        .size:           2
        .value_kind:     hidden_group_size_y
      - .offset:         224
        .size:           2
        .value_kind:     hidden_group_size_z
      - .offset:         226
        .size:           2
        .value_kind:     hidden_remainder_x
      - .offset:         228
        .size:           2
        .value_kind:     hidden_remainder_y
      - .offset:         230
        .size:           2
        .value_kind:     hidden_remainder_z
      - .offset:         248
        .size:           8
        .value_kind:     hidden_global_offset_x
      - .offset:         256
        .size:           8
        .value_kind:     hidden_global_offset_y
      - .offset:         264
        .size:           8
        .value_kind:     hidden_global_offset_z
      - .offset:         272
        .size:           2
        .value_kind:     hidden_grid_dims
    .group_segment_fixed_size: 17920
    .kernarg_segment_align: 8
    .kernarg_segment_size: 464
    .language:       OpenCL C
    .language_version:
      - 2
      - 0
    .max_flat_workgroup_size: 256
    .name:           _ZL15flash_attn_tileILi256ELi256ELi4ELi4ELb1EEvPKcS1_S1_S1_S1_PKiPfP15HIP_vector_typeIfLj2EEffffjfiS5_IjLj3EEiiiiiiiiiiiliiliiiiil
    .private_segment_fixed_size: 0
    .sgpr_count:     43
    .sgpr_spill_count: 0
    .symbol:         _ZL15flash_attn_tileILi256ELi256ELi4ELi4ELb1EEvPKcS1_S1_S1_S1_PKiPfP15HIP_vector_typeIfLj2EEffffjfiS5_IjLj3EEiiiiiiiiiiiliiliiiiil.kd
    .uniform_work_group_size: 1
    .uses_dynamic_stack: false
    .vgpr_count:     113
    .vgpr_spill_count: 0
    .wavefront_size: 64
  - .agpr_count:     0
    .args:
      - .address_space:  global
        .offset:         0
        .size:           8
        .value_kind:     global_buffer
      - .address_space:  global
        .offset:         8
        .size:           8
        .value_kind:     global_buffer
      - .address_space:  global
        .offset:         16
        .size:           8
        .value_kind:     global_buffer
      - .address_space:  global
        .offset:         24
        .size:           8
        .value_kind:     global_buffer
      - .address_space:  global
        .offset:         32
        .size:           8
        .value_kind:     global_buffer
      - .address_space:  global
        .offset:         40
        .size:           8
        .value_kind:     global_buffer
      - .address_space:  global
        .offset:         48
        .size:           8
        .value_kind:     global_buffer
      - .address_space:  global
        .offset:         56
        .size:           8
        .value_kind:     global_buffer
      - .offset:         64
        .size:           4
        .value_kind:     by_value
      - .offset:         68
        .size:           4
        .value_kind:     by_value
      - .offset:         72
        .size:           4
        .value_kind:     by_value
      - .offset:         76
        .size:           4
        .value_kind:     by_value
      - .offset:         80
        .size:           4
        .value_kind:     by_value
      - .offset:         84
        .size:           4
        .value_kind:     by_value
      - .offset:         88
        .size:           4
        .value_kind:     by_value
      - .offset:         92
        .size:           12
        .value_kind:     by_value
      - .offset:         104
        .size:           4
        .value_kind:     by_value
      - .offset:         108
        .size:           4
        .value_kind:     by_value
      - .offset:         112
        .size:           4
        .value_kind:     by_value
      - .offset:         116
        .size:           4
        .value_kind:     by_value
      - .offset:         120
        .size:           4
        .value_kind:     by_value
      - .offset:         124
        .size:           4
        .value_kind:     by_value
      - .offset:         128
        .size:           4
        .value_kind:     by_value
      - .offset:         132
        .size:           4
        .value_kind:     by_value
      - .offset:         136
        .size:           4
        .value_kind:     by_value
      - .offset:         140
        .size:           4
        .value_kind:     by_value
      - .offset:         144
        .size:           4
        .value_kind:     by_value
      - .offset:         152
        .size:           8
        .value_kind:     by_value
      - .offset:         160
        .size:           4
        .value_kind:     by_value
      - .offset:         164
        .size:           4
        .value_kind:     by_value
      - .offset:         168
        .size:           8
        .value_kind:     by_value
      - .offset:         176
        .size:           4
        .value_kind:     by_value
      - .offset:         180
        .size:           4
        .value_kind:     by_value
      - .offset:         184
        .size:           4
        .value_kind:     by_value
      - .offset:         188
        .size:           4
        .value_kind:     by_value
      - .offset:         192
        .size:           4
        .value_kind:     by_value
      - .offset:         200
        .size:           8
        .value_kind:     by_value
      - .offset:         208
        .size:           4
        .value_kind:     hidden_block_count_x
      - .offset:         212
        .size:           4
        .value_kind:     hidden_block_count_y
      - .offset:         216
        .size:           4
        .value_kind:     hidden_block_count_z
      - .offset:         220
        .size:           2
        .value_kind:     hidden_group_size_x
      - .offset:         222
        .size:           2
        .value_kind:     hidden_group_size_y
      - .offset:         224
        .size:           2
        .value_kind:     hidden_group_size_z
      - .offset:         226
        .size:           2
        .value_kind:     hidden_remainder_x
      - .offset:         228
        .size:           2
        .value_kind:     hidden_remainder_y
      - .offset:         230
        .size:           2
        .value_kind:     hidden_remainder_z
      - .offset:         248
        .size:           8
        .value_kind:     hidden_global_offset_x
      - .offset:         256
        .size:           8
        .value_kind:     hidden_global_offset_y
      - .offset:         264
        .size:           8
        .value_kind:     hidden_global_offset_z
      - .offset:         272
        .size:           2
        .value_kind:     hidden_grid_dims
    .group_segment_fixed_size: 22528
    .kernarg_segment_align: 8
    .kernarg_segment_size: 464
    .language:       OpenCL C
    .language_version:
      - 2
      - 0
    .max_flat_workgroup_size: 256
    .name:           _ZL15flash_attn_tileILi256ELi256ELi2ELi4ELb1EEvPKcS1_S1_S1_S1_PKiPfP15HIP_vector_typeIfLj2EEffffjfiS5_IjLj3EEiiiiiiiiiiiliiliiiiil
    .private_segment_fixed_size: 0
    .sgpr_count:     48
    .sgpr_spill_count: 0
    .symbol:         _ZL15flash_attn_tileILi256ELi256ELi2ELi4ELb1EEvPKcS1_S1_S1_S1_PKiPfP15HIP_vector_typeIfLj2EEffffjfiS5_IjLj3EEiiiiiiiiiiiliiliiiiil.kd
    .uniform_work_group_size: 1
    .uses_dynamic_stack: false
    .vgpr_count:     166
    .vgpr_spill_count: 0
    .wavefront_size: 64
  - .agpr_count:     0
    .args:
      - .address_space:  global
        .offset:         0
        .size:           8
        .value_kind:     global_buffer
      - .address_space:  global
        .offset:         8
        .size:           8
        .value_kind:     global_buffer
      - .address_space:  global
        .offset:         16
        .size:           8
        .value_kind:     global_buffer
      - .address_space:  global
        .offset:         24
        .size:           8
        .value_kind:     global_buffer
      - .address_space:  global
        .offset:         32
        .size:           8
        .value_kind:     global_buffer
      - .address_space:  global
        .offset:         40
        .size:           8
        .value_kind:     global_buffer
      - .address_space:  global
        .offset:         48
        .size:           8
        .value_kind:     global_buffer
      - .address_space:  global
        .offset:         56
        .size:           8
        .value_kind:     global_buffer
      - .offset:         64
        .size:           4
        .value_kind:     by_value
      - .offset:         68
        .size:           4
        .value_kind:     by_value
      - .offset:         72
        .size:           4
        .value_kind:     by_value
      - .offset:         76
        .size:           4
        .value_kind:     by_value
      - .offset:         80
        .size:           4
        .value_kind:     by_value
      - .offset:         84
        .size:           4
        .value_kind:     by_value
      - .offset:         88
        .size:           4
        .value_kind:     by_value
      - .offset:         92
        .size:           12
        .value_kind:     by_value
      - .offset:         104
        .size:           4
        .value_kind:     by_value
      - .offset:         108
        .size:           4
        .value_kind:     by_value
      - .offset:         112
        .size:           4
        .value_kind:     by_value
      - .offset:         116
        .size:           4
        .value_kind:     by_value
      - .offset:         120
        .size:           4
        .value_kind:     by_value
      - .offset:         124
        .size:           4
        .value_kind:     by_value
      - .offset:         128
        .size:           4
        .value_kind:     by_value
      - .offset:         132
        .size:           4
        .value_kind:     by_value
      - .offset:         136
        .size:           4
        .value_kind:     by_value
      - .offset:         140
        .size:           4
        .value_kind:     by_value
      - .offset:         144
        .size:           4
        .value_kind:     by_value
      - .offset:         152
        .size:           8
        .value_kind:     by_value
      - .offset:         160
        .size:           4
        .value_kind:     by_value
      - .offset:         164
        .size:           4
        .value_kind:     by_value
      - .offset:         168
        .size:           8
        .value_kind:     by_value
      - .offset:         176
        .size:           4
        .value_kind:     by_value
      - .offset:         180
        .size:           4
        .value_kind:     by_value
      - .offset:         184
        .size:           4
        .value_kind:     by_value
      - .offset:         188
        .size:           4
        .value_kind:     by_value
      - .offset:         192
        .size:           4
        .value_kind:     by_value
      - .offset:         200
        .size:           8
        .value_kind:     by_value
      - .offset:         208
        .size:           4
        .value_kind:     hidden_block_count_x
      - .offset:         212
        .size:           4
        .value_kind:     hidden_block_count_y
      - .offset:         216
        .size:           4
        .value_kind:     hidden_block_count_z
      - .offset:         220
        .size:           2
        .value_kind:     hidden_group_size_x
      - .offset:         222
        .size:           2
        .value_kind:     hidden_group_size_y
      - .offset:         224
        .size:           2
        .value_kind:     hidden_group_size_z
      - .offset:         226
        .size:           2
        .value_kind:     hidden_remainder_x
      - .offset:         228
        .size:           2
        .value_kind:     hidden_remainder_y
      - .offset:         230
        .size:           2
        .value_kind:     hidden_remainder_z
      - .offset:         248
        .size:           8
        .value_kind:     hidden_global_offset_x
      - .offset:         256
        .size:           8
        .value_kind:     hidden_global_offset_y
      - .offset:         264
        .size:           8
        .value_kind:     hidden_global_offset_z
      - .offset:         272
        .size:           2
        .value_kind:     hidden_grid_dims
    .group_segment_fixed_size: 20000
    .kernarg_segment_align: 8
    .kernarg_segment_size: 464
    .language:       OpenCL C
    .language_version:
      - 2
      - 0
    .max_flat_workgroup_size: 256
    .name:           _ZL15flash_attn_tileILi256ELi256ELi1ELi4ELb1EEvPKcS1_S1_S1_S1_PKiPfP15HIP_vector_typeIfLj2EEffffjfiS5_IjLj3EEiiiiiiiiiiiliiliiiiil
    .private_segment_fixed_size: 0
    .sgpr_count:     48
    .sgpr_spill_count: 0
    .symbol:         _ZL15flash_attn_tileILi256ELi256ELi1ELi4ELb1EEvPKcS1_S1_S1_S1_PKiPfP15HIP_vector_typeIfLj2EEffffjfiS5_IjLj3EEiiiiiiiiiiiliiliiiiil.kd
    .uniform_work_group_size: 1
    .uses_dynamic_stack: false
    .vgpr_count:     96
    .vgpr_spill_count: 0
    .wavefront_size: 64
  - .agpr_count:     0
    .args:
      - .address_space:  global
        .offset:         0
        .size:           8
        .value_kind:     global_buffer
      - .address_space:  global
        .offset:         8
        .size:           8
        .value_kind:     global_buffer
      - .address_space:  global
        .offset:         16
        .size:           8
        .value_kind:     global_buffer
      - .address_space:  global
        .offset:         24
        .size:           8
        .value_kind:     global_buffer
      - .address_space:  global
        .offset:         32
        .size:           8
        .value_kind:     global_buffer
      - .address_space:  global
        .offset:         40
        .size:           8
        .value_kind:     global_buffer
      - .address_space:  global
        .offset:         48
        .size:           8
        .value_kind:     global_buffer
      - .address_space:  global
        .offset:         56
        .size:           8
        .value_kind:     global_buffer
      - .offset:         64
        .size:           4
        .value_kind:     by_value
      - .offset:         68
        .size:           4
        .value_kind:     by_value
      - .offset:         72
        .size:           4
        .value_kind:     by_value
      - .offset:         76
        .size:           4
        .value_kind:     by_value
      - .offset:         80
        .size:           4
        .value_kind:     by_value
      - .offset:         84
        .size:           4
        .value_kind:     by_value
      - .offset:         88
        .size:           4
        .value_kind:     by_value
      - .offset:         92
        .size:           12
        .value_kind:     by_value
      - .offset:         104
        .size:           4
        .value_kind:     by_value
      - .offset:         108
        .size:           4
        .value_kind:     by_value
      - .offset:         112
        .size:           4
        .value_kind:     by_value
      - .offset:         116
        .size:           4
        .value_kind:     by_value
      - .offset:         120
        .size:           4
        .value_kind:     by_value
      - .offset:         124
        .size:           4
        .value_kind:     by_value
      - .offset:         128
        .size:           4
        .value_kind:     by_value
      - .offset:         132
        .size:           4
        .value_kind:     by_value
      - .offset:         136
        .size:           4
        .value_kind:     by_value
      - .offset:         140
        .size:           4
        .value_kind:     by_value
      - .offset:         144
        .size:           4
        .value_kind:     by_value
      - .offset:         152
        .size:           8
        .value_kind:     by_value
      - .offset:         160
        .size:           4
        .value_kind:     by_value
      - .offset:         164
        .size:           4
        .value_kind:     by_value
      - .offset:         168
        .size:           8
        .value_kind:     by_value
      - .offset:         176
        .size:           4
        .value_kind:     by_value
      - .offset:         180
        .size:           4
        .value_kind:     by_value
      - .offset:         184
        .size:           4
        .value_kind:     by_value
      - .offset:         188
        .size:           4
        .value_kind:     by_value
      - .offset:         192
        .size:           4
        .value_kind:     by_value
      - .offset:         200
        .size:           8
        .value_kind:     by_value
      - .offset:         208
        .size:           4
        .value_kind:     hidden_block_count_x
      - .offset:         212
        .size:           4
        .value_kind:     hidden_block_count_y
      - .offset:         216
        .size:           4
        .value_kind:     hidden_block_count_z
      - .offset:         220
        .size:           2
        .value_kind:     hidden_group_size_x
      - .offset:         222
        .size:           2
        .value_kind:     hidden_group_size_y
      - .offset:         224
        .size:           2
        .value_kind:     hidden_group_size_z
      - .offset:         226
        .size:           2
        .value_kind:     hidden_remainder_x
      - .offset:         228
        .size:           2
        .value_kind:     hidden_remainder_y
      - .offset:         230
        .size:           2
        .value_kind:     hidden_remainder_z
      - .offset:         248
        .size:           8
        .value_kind:     hidden_global_offset_x
      - .offset:         256
        .size:           8
        .value_kind:     hidden_global_offset_y
      - .offset:         264
        .size:           8
        .value_kind:     hidden_global_offset_z
      - .offset:         272
        .size:           2
        .value_kind:     hidden_grid_dims
    .group_segment_fixed_size: 27136
    .kernarg_segment_align: 8
    .kernarg_segment_size: 464
    .language:       OpenCL C
    .language_version:
      - 2
      - 0
    .max_flat_workgroup_size: 256
    .name:           _ZL15flash_attn_tileILi256ELi256ELi16ELi2ELb1EEvPKcS1_S1_S1_S1_PKiPfP15HIP_vector_typeIfLj2EEffffjfiS5_IjLj3EEiiiiiiiiiiiliiliiiiil
    .private_segment_fixed_size: 0
    .sgpr_count:     46
    .sgpr_spill_count: 0
    .symbol:         _ZL15flash_attn_tileILi256ELi256ELi16ELi2ELb1EEvPKcS1_S1_S1_S1_PKiPfP15HIP_vector_typeIfLj2EEffffjfiS5_IjLj3EEiiiiiiiiiiiliiliiiiil.kd
    .uniform_work_group_size: 1
    .uses_dynamic_stack: false
    .vgpr_count:     109
    .vgpr_spill_count: 0
    .wavefront_size: 64
  - .agpr_count:     0
    .args:
      - .address_space:  global
        .offset:         0
        .size:           8
        .value_kind:     global_buffer
      - .address_space:  global
        .offset:         8
        .size:           8
        .value_kind:     global_buffer
      - .address_space:  global
        .offset:         16
        .size:           8
        .value_kind:     global_buffer
      - .address_space:  global
        .offset:         24
        .size:           8
        .value_kind:     global_buffer
      - .address_space:  global
        .offset:         32
        .size:           8
        .value_kind:     global_buffer
      - .address_space:  global
        .offset:         40
        .size:           8
        .value_kind:     global_buffer
      - .address_space:  global
        .offset:         48
        .size:           8
        .value_kind:     global_buffer
      - .address_space:  global
        .offset:         56
        .size:           8
        .value_kind:     global_buffer
      - .offset:         64
        .size:           4
        .value_kind:     by_value
      - .offset:         68
        .size:           4
        .value_kind:     by_value
      - .offset:         72
        .size:           4
        .value_kind:     by_value
      - .offset:         76
        .size:           4
        .value_kind:     by_value
      - .offset:         80
        .size:           4
        .value_kind:     by_value
      - .offset:         84
        .size:           4
        .value_kind:     by_value
      - .offset:         88
        .size:           4
        .value_kind:     by_value
      - .offset:         92
        .size:           12
        .value_kind:     by_value
      - .offset:         104
        .size:           4
        .value_kind:     by_value
      - .offset:         108
        .size:           4
        .value_kind:     by_value
      - .offset:         112
        .size:           4
        .value_kind:     by_value
      - .offset:         116
        .size:           4
        .value_kind:     by_value
      - .offset:         120
        .size:           4
        .value_kind:     by_value
      - .offset:         124
        .size:           4
        .value_kind:     by_value
      - .offset:         128
        .size:           4
        .value_kind:     by_value
      - .offset:         132
        .size:           4
        .value_kind:     by_value
      - .offset:         136
        .size:           4
        .value_kind:     by_value
      - .offset:         140
        .size:           4
        .value_kind:     by_value
      - .offset:         144
        .size:           4
        .value_kind:     by_value
      - .offset:         152
        .size:           8
        .value_kind:     by_value
      - .offset:         160
        .size:           4
        .value_kind:     by_value
      - .offset:         164
        .size:           4
        .value_kind:     by_value
      - .offset:         168
        .size:           8
        .value_kind:     by_value
      - .offset:         176
        .size:           4
        .value_kind:     by_value
      - .offset:         180
        .size:           4
        .value_kind:     by_value
      - .offset:         184
        .size:           4
        .value_kind:     by_value
      - .offset:         188
        .size:           4
        .value_kind:     by_value
      - .offset:         192
        .size:           4
        .value_kind:     by_value
      - .offset:         200
        .size:           8
        .value_kind:     by_value
      - .offset:         208
        .size:           4
        .value_kind:     hidden_block_count_x
      - .offset:         212
        .size:           4
        .value_kind:     hidden_block_count_y
      - .offset:         216
        .size:           4
        .value_kind:     hidden_block_count_z
      - .offset:         220
        .size:           2
        .value_kind:     hidden_group_size_x
      - .offset:         222
        .size:           2
        .value_kind:     hidden_group_size_y
      - .offset:         224
        .size:           2
        .value_kind:     hidden_group_size_z
      - .offset:         226
        .size:           2
        .value_kind:     hidden_remainder_x
      - .offset:         228
        .size:           2
        .value_kind:     hidden_remainder_y
      - .offset:         230
        .size:           2
        .value_kind:     hidden_remainder_z
      - .offset:         248
        .size:           8
        .value_kind:     hidden_global_offset_x
      - .offset:         256
        .size:           8
        .value_kind:     hidden_global_offset_y
      - .offset:         264
        .size:           8
        .value_kind:     hidden_global_offset_z
      - .offset:         272
        .size:           2
        .value_kind:     hidden_grid_dims
    .group_segment_fixed_size: 17920
    .kernarg_segment_align: 8
    .kernarg_segment_size: 464
    .language:       OpenCL C
    .language_version:
      - 2
      - 0
    .max_flat_workgroup_size: 256
    .name:           _ZL15flash_attn_tileILi256ELi256ELi8ELi2ELb1EEvPKcS1_S1_S1_S1_PKiPfP15HIP_vector_typeIfLj2EEffffjfiS5_IjLj3EEiiiiiiiiiiiliiliiiiil
    .private_segment_fixed_size: 0
    .sgpr_count:     43
    .sgpr_spill_count: 0
    .symbol:         _ZL15flash_attn_tileILi256ELi256ELi8ELi2ELb1EEvPKcS1_S1_S1_S1_PKiPfP15HIP_vector_typeIfLj2EEffffjfiS5_IjLj3EEiiiiiiiiiiiliiliiiiil.kd
    .uniform_work_group_size: 1
    .uses_dynamic_stack: false
    .vgpr_count:     112
    .vgpr_spill_count: 0
    .wavefront_size: 64
  - .agpr_count:     0
    .args:
      - .address_space:  global
        .offset:         0
        .size:           8
        .value_kind:     global_buffer
      - .address_space:  global
        .offset:         8
        .size:           8
        .value_kind:     global_buffer
      - .address_space:  global
        .offset:         16
        .size:           8
        .value_kind:     global_buffer
      - .address_space:  global
        .offset:         24
        .size:           8
        .value_kind:     global_buffer
      - .address_space:  global
        .offset:         32
        .size:           8
        .value_kind:     global_buffer
      - .address_space:  global
        .offset:         40
        .size:           8
        .value_kind:     global_buffer
      - .address_space:  global
        .offset:         48
        .size:           8
        .value_kind:     global_buffer
      - .address_space:  global
        .offset:         56
        .size:           8
        .value_kind:     global_buffer
      - .offset:         64
        .size:           4
        .value_kind:     by_value
      - .offset:         68
        .size:           4
        .value_kind:     by_value
      - .offset:         72
        .size:           4
        .value_kind:     by_value
      - .offset:         76
        .size:           4
        .value_kind:     by_value
      - .offset:         80
        .size:           4
        .value_kind:     by_value
      - .offset:         84
        .size:           4
        .value_kind:     by_value
      - .offset:         88
        .size:           4
        .value_kind:     by_value
      - .offset:         92
        .size:           12
        .value_kind:     by_value
      - .offset:         104
        .size:           4
        .value_kind:     by_value
      - .offset:         108
        .size:           4
        .value_kind:     by_value
      - .offset:         112
        .size:           4
        .value_kind:     by_value
      - .offset:         116
        .size:           4
        .value_kind:     by_value
      - .offset:         120
        .size:           4
        .value_kind:     by_value
      - .offset:         124
        .size:           4
        .value_kind:     by_value
      - .offset:         128
        .size:           4
        .value_kind:     by_value
      - .offset:         132
        .size:           4
        .value_kind:     by_value
      - .offset:         136
        .size:           4
        .value_kind:     by_value
      - .offset:         140
        .size:           4
        .value_kind:     by_value
      - .offset:         144
        .size:           4
        .value_kind:     by_value
      - .offset:         152
        .size:           8
        .value_kind:     by_value
      - .offset:         160
        .size:           4
        .value_kind:     by_value
      - .offset:         164
        .size:           4
        .value_kind:     by_value
      - .offset:         168
        .size:           8
        .value_kind:     by_value
      - .offset:         176
        .size:           4
        .value_kind:     by_value
      - .offset:         180
        .size:           4
        .value_kind:     by_value
      - .offset:         184
        .size:           4
        .value_kind:     by_value
      - .offset:         188
        .size:           4
        .value_kind:     by_value
      - .offset:         192
        .size:           4
        .value_kind:     by_value
      - .offset:         200
        .size:           8
        .value_kind:     by_value
      - .offset:         208
        .size:           4
        .value_kind:     hidden_block_count_x
      - .offset:         212
        .size:           4
        .value_kind:     hidden_block_count_y
      - .offset:         216
        .size:           4
        .value_kind:     hidden_block_count_z
      - .offset:         220
        .size:           2
        .value_kind:     hidden_group_size_x
      - .offset:         222
        .size:           2
        .value_kind:     hidden_group_size_y
      - .offset:         224
        .size:           2
        .value_kind:     hidden_group_size_z
      - .offset:         226
        .size:           2
        .value_kind:     hidden_remainder_x
      - .offset:         228
        .size:           2
        .value_kind:     hidden_remainder_y
      - .offset:         230
        .size:           2
        .value_kind:     hidden_remainder_z
      - .offset:         248
        .size:           8
        .value_kind:     hidden_global_offset_x
      - .offset:         256
        .size:           8
        .value_kind:     hidden_global_offset_y
      - .offset:         264
        .size:           8
        .value_kind:     hidden_global_offset_z
      - .offset:         272
        .size:           2
        .value_kind:     hidden_grid_dims
    .group_segment_fixed_size: 22528
    .kernarg_segment_align: 8
    .kernarg_segment_size: 464
    .language:       OpenCL C
    .language_version:
      - 2
      - 0
    .max_flat_workgroup_size: 256
    .name:           _ZL15flash_attn_tileILi256ELi256ELi4ELi2ELb1EEvPKcS1_S1_S1_S1_PKiPfP15HIP_vector_typeIfLj2EEffffjfiS5_IjLj3EEiiiiiiiiiiiliiliiiiil
    .private_segment_fixed_size: 0
    .sgpr_count:     48
    .sgpr_spill_count: 0
    .symbol:         _ZL15flash_attn_tileILi256ELi256ELi4ELi2ELb1EEvPKcS1_S1_S1_S1_PKiPfP15HIP_vector_typeIfLj2EEffffjfiS5_IjLj3EEiiiiiiiiiiiliiliiiiil.kd
    .uniform_work_group_size: 1
    .uses_dynamic_stack: false
    .vgpr_count:     166
    .vgpr_spill_count: 0
    .wavefront_size: 64
  - .agpr_count:     0
    .args:
      - .address_space:  global
        .offset:         0
        .size:           8
        .value_kind:     global_buffer
      - .address_space:  global
        .offset:         8
        .size:           8
        .value_kind:     global_buffer
      - .address_space:  global
        .offset:         16
        .size:           8
        .value_kind:     global_buffer
      - .address_space:  global
        .offset:         24
        .size:           8
        .value_kind:     global_buffer
      - .address_space:  global
        .offset:         32
        .size:           8
        .value_kind:     global_buffer
      - .address_space:  global
        .offset:         40
        .size:           8
        .value_kind:     global_buffer
      - .address_space:  global
        .offset:         48
        .size:           8
        .value_kind:     global_buffer
      - .address_space:  global
        .offset:         56
        .size:           8
        .value_kind:     global_buffer
      - .offset:         64
        .size:           4
        .value_kind:     by_value
      - .offset:         68
        .size:           4
        .value_kind:     by_value
      - .offset:         72
        .size:           4
        .value_kind:     by_value
      - .offset:         76
        .size:           4
        .value_kind:     by_value
      - .offset:         80
        .size:           4
        .value_kind:     by_value
      - .offset:         84
        .size:           4
        .value_kind:     by_value
      - .offset:         88
        .size:           4
        .value_kind:     by_value
      - .offset:         92
        .size:           12
        .value_kind:     by_value
      - .offset:         104
        .size:           4
        .value_kind:     by_value
      - .offset:         108
        .size:           4
        .value_kind:     by_value
      - .offset:         112
        .size:           4
        .value_kind:     by_value
      - .offset:         116
        .size:           4
        .value_kind:     by_value
      - .offset:         120
        .size:           4
        .value_kind:     by_value
      - .offset:         124
        .size:           4
        .value_kind:     by_value
      - .offset:         128
        .size:           4
        .value_kind:     by_value
      - .offset:         132
        .size:           4
        .value_kind:     by_value
      - .offset:         136
        .size:           4
        .value_kind:     by_value
      - .offset:         140
        .size:           4
        .value_kind:     by_value
      - .offset:         144
        .size:           4
        .value_kind:     by_value
      - .offset:         152
        .size:           8
        .value_kind:     by_value
      - .offset:         160
        .size:           4
        .value_kind:     by_value
      - .offset:         164
        .size:           4
        .value_kind:     by_value
      - .offset:         168
        .size:           8
        .value_kind:     by_value
      - .offset:         176
        .size:           4
        .value_kind:     by_value
      - .offset:         180
        .size:           4
        .value_kind:     by_value
      - .offset:         184
        .size:           4
        .value_kind:     by_value
      - .offset:         188
        .size:           4
        .value_kind:     by_value
      - .offset:         192
        .size:           4
        .value_kind:     by_value
      - .offset:         200
        .size:           8
        .value_kind:     by_value
      - .offset:         208
        .size:           4
        .value_kind:     hidden_block_count_x
      - .offset:         212
        .size:           4
        .value_kind:     hidden_block_count_y
      - .offset:         216
        .size:           4
        .value_kind:     hidden_block_count_z
      - .offset:         220
        .size:           2
        .value_kind:     hidden_group_size_x
      - .offset:         222
        .size:           2
        .value_kind:     hidden_group_size_y
      - .offset:         224
        .size:           2
        .value_kind:     hidden_group_size_z
      - .offset:         226
        .size:           2
        .value_kind:     hidden_remainder_x
      - .offset:         228
        .size:           2
        .value_kind:     hidden_remainder_y
      - .offset:         230
        .size:           2
        .value_kind:     hidden_remainder_z
      - .offset:         248
        .size:           8
        .value_kind:     hidden_global_offset_x
      - .offset:         256
        .size:           8
        .value_kind:     hidden_global_offset_y
      - .offset:         264
        .size:           8
        .value_kind:     hidden_global_offset_z
      - .offset:         272
        .size:           2
        .value_kind:     hidden_grid_dims
    .group_segment_fixed_size: 20000
    .kernarg_segment_align: 8
    .kernarg_segment_size: 464
    .language:       OpenCL C
    .language_version:
      - 2
      - 0
    .max_flat_workgroup_size: 256
    .name:           _ZL15flash_attn_tileILi256ELi256ELi2ELi2ELb1EEvPKcS1_S1_S1_S1_PKiPfP15HIP_vector_typeIfLj2EEffffjfiS5_IjLj3EEiiiiiiiiiiiliiliiiiil
    .private_segment_fixed_size: 0
    .sgpr_count:     48
    .sgpr_spill_count: 0
    .symbol:         _ZL15flash_attn_tileILi256ELi256ELi2ELi2ELb1EEvPKcS1_S1_S1_S1_PKiPfP15HIP_vector_typeIfLj2EEffffjfiS5_IjLj3EEiiiiiiiiiiiliiliiiiil.kd
    .uniform_work_group_size: 1
    .uses_dynamic_stack: false
    .vgpr_count:     96
    .vgpr_spill_count: 0
    .wavefront_size: 64
  - .agpr_count:     0
    .args:
      - .address_space:  global
        .offset:         0
        .size:           8
        .value_kind:     global_buffer
      - .address_space:  global
        .offset:         8
        .size:           8
        .value_kind:     global_buffer
      - .address_space:  global
        .offset:         16
        .size:           8
        .value_kind:     global_buffer
      - .address_space:  global
        .offset:         24
        .size:           8
        .value_kind:     global_buffer
      - .address_space:  global
        .offset:         32
        .size:           8
        .value_kind:     global_buffer
      - .address_space:  global
        .offset:         40
        .size:           8
        .value_kind:     global_buffer
      - .address_space:  global
        .offset:         48
        .size:           8
        .value_kind:     global_buffer
      - .address_space:  global
        .offset:         56
        .size:           8
        .value_kind:     global_buffer
      - .offset:         64
        .size:           4
        .value_kind:     by_value
      - .offset:         68
        .size:           4
        .value_kind:     by_value
      - .offset:         72
        .size:           4
        .value_kind:     by_value
      - .offset:         76
        .size:           4
        .value_kind:     by_value
      - .offset:         80
        .size:           4
        .value_kind:     by_value
      - .offset:         84
        .size:           4
        .value_kind:     by_value
      - .offset:         88
        .size:           4
        .value_kind:     by_value
      - .offset:         92
        .size:           12
        .value_kind:     by_value
      - .offset:         104
        .size:           4
        .value_kind:     by_value
      - .offset:         108
        .size:           4
        .value_kind:     by_value
      - .offset:         112
        .size:           4
        .value_kind:     by_value
      - .offset:         116
        .size:           4
        .value_kind:     by_value
      - .offset:         120
        .size:           4
        .value_kind:     by_value
      - .offset:         124
        .size:           4
        .value_kind:     by_value
      - .offset:         128
        .size:           4
        .value_kind:     by_value
      - .offset:         132
        .size:           4
        .value_kind:     by_value
      - .offset:         136
        .size:           4
        .value_kind:     by_value
      - .offset:         140
        .size:           4
        .value_kind:     by_value
      - .offset:         144
        .size:           4
        .value_kind:     by_value
      - .offset:         152
        .size:           8
        .value_kind:     by_value
      - .offset:         160
        .size:           4
        .value_kind:     by_value
      - .offset:         164
        .size:           4
        .value_kind:     by_value
      - .offset:         168
        .size:           8
        .value_kind:     by_value
      - .offset:         176
        .size:           4
        .value_kind:     by_value
      - .offset:         180
        .size:           4
        .value_kind:     by_value
      - .offset:         184
        .size:           4
        .value_kind:     by_value
      - .offset:         188
        .size:           4
        .value_kind:     by_value
      - .offset:         192
        .size:           4
        .value_kind:     by_value
      - .offset:         200
        .size:           8
        .value_kind:     by_value
      - .offset:         208
        .size:           4
        .value_kind:     hidden_block_count_x
      - .offset:         212
        .size:           4
        .value_kind:     hidden_block_count_y
      - .offset:         216
        .size:           4
        .value_kind:     hidden_block_count_z
      - .offset:         220
        .size:           2
        .value_kind:     hidden_group_size_x
      - .offset:         222
        .size:           2
        .value_kind:     hidden_group_size_y
      - .offset:         224
        .size:           2
        .value_kind:     hidden_group_size_z
      - .offset:         226
        .size:           2
        .value_kind:     hidden_remainder_x
      - .offset:         228
        .size:           2
        .value_kind:     hidden_remainder_y
      - .offset:         230
        .size:           2
        .value_kind:     hidden_remainder_z
      - .offset:         248
        .size:           8
        .value_kind:     hidden_global_offset_x
      - .offset:         256
        .size:           8
        .value_kind:     hidden_global_offset_y
      - .offset:         264
        .size:           8
        .value_kind:     hidden_global_offset_z
      - .offset:         272
        .size:           2
        .value_kind:     hidden_grid_dims
    .group_segment_fixed_size: 20000
    .kernarg_segment_align: 8
    .kernarg_segment_size: 464
    .language:       OpenCL C
    .language_version:
      - 2
      - 0
    .max_flat_workgroup_size: 256
    .name:           _ZL15flash_attn_tileILi256ELi256ELi1ELi2ELb1EEvPKcS1_S1_S1_S1_PKiPfP15HIP_vector_typeIfLj2EEffffjfiS5_IjLj3EEiiiiiiiiiiiliiliiiiil
    .private_segment_fixed_size: 0
    .sgpr_count:     48
    .sgpr_spill_count: 0
    .symbol:         _ZL15flash_attn_tileILi256ELi256ELi1ELi2ELb1EEvPKcS1_S1_S1_S1_PKiPfP15HIP_vector_typeIfLj2EEffffjfiS5_IjLj3EEiiiiiiiiiiiliiliiiiil.kd
    .uniform_work_group_size: 1
    .uses_dynamic_stack: false
    .vgpr_count:     88
    .vgpr_spill_count: 0
    .wavefront_size: 64
  - .agpr_count:     0
    .args:
      - .address_space:  global
        .offset:         0
        .size:           8
        .value_kind:     global_buffer
      - .address_space:  global
        .offset:         8
        .size:           8
        .value_kind:     global_buffer
      - .address_space:  global
        .offset:         16
        .size:           8
        .value_kind:     global_buffer
      - .address_space:  global
        .offset:         24
        .size:           8
        .value_kind:     global_buffer
      - .address_space:  global
        .offset:         32
        .size:           8
        .value_kind:     global_buffer
      - .address_space:  global
        .offset:         40
        .size:           8
        .value_kind:     global_buffer
      - .address_space:  global
        .offset:         48
        .size:           8
        .value_kind:     global_buffer
      - .address_space:  global
        .offset:         56
        .size:           8
        .value_kind:     global_buffer
      - .offset:         64
        .size:           4
        .value_kind:     by_value
      - .offset:         68
        .size:           4
        .value_kind:     by_value
      - .offset:         72
        .size:           4
        .value_kind:     by_value
      - .offset:         76
        .size:           4
        .value_kind:     by_value
      - .offset:         80
        .size:           4
        .value_kind:     by_value
      - .offset:         84
        .size:           4
        .value_kind:     by_value
      - .offset:         88
        .size:           4
        .value_kind:     by_value
      - .offset:         92
        .size:           12
        .value_kind:     by_value
      - .offset:         104
        .size:           4
        .value_kind:     by_value
      - .offset:         108
        .size:           4
        .value_kind:     by_value
      - .offset:         112
        .size:           4
        .value_kind:     by_value
      - .offset:         116
        .size:           4
        .value_kind:     by_value
      - .offset:         120
        .size:           4
        .value_kind:     by_value
      - .offset:         124
        .size:           4
        .value_kind:     by_value
      - .offset:         128
        .size:           4
        .value_kind:     by_value
      - .offset:         132
        .size:           4
        .value_kind:     by_value
      - .offset:         136
        .size:           4
        .value_kind:     by_value
      - .offset:         140
        .size:           4
        .value_kind:     by_value
      - .offset:         144
        .size:           4
        .value_kind:     by_value
      - .offset:         152
        .size:           8
        .value_kind:     by_value
      - .offset:         160
        .size:           4
        .value_kind:     by_value
      - .offset:         164
        .size:           4
        .value_kind:     by_value
      - .offset:         168
        .size:           8
        .value_kind:     by_value
      - .offset:         176
        .size:           4
        .value_kind:     by_value
      - .offset:         180
        .size:           4
        .value_kind:     by_value
      - .offset:         184
        .size:           4
        .value_kind:     by_value
      - .offset:         188
        .size:           4
        .value_kind:     by_value
      - .offset:         192
        .size:           4
        .value_kind:     by_value
      - .offset:         200
        .size:           8
        .value_kind:     by_value
      - .offset:         208
        .size:           4
        .value_kind:     hidden_block_count_x
      - .offset:         212
        .size:           4
        .value_kind:     hidden_block_count_y
      - .offset:         216
        .size:           4
        .value_kind:     hidden_block_count_z
      - .offset:         220
        .size:           2
        .value_kind:     hidden_group_size_x
      - .offset:         222
        .size:           2
        .value_kind:     hidden_group_size_y
      - .offset:         224
        .size:           2
        .value_kind:     hidden_group_size_z
      - .offset:         226
        .size:           2
        .value_kind:     hidden_remainder_x
      - .offset:         228
        .size:           2
        .value_kind:     hidden_remainder_y
      - .offset:         230
        .size:           2
        .value_kind:     hidden_remainder_z
      - .offset:         248
        .size:           8
        .value_kind:     hidden_global_offset_x
      - .offset:         256
        .size:           8
        .value_kind:     hidden_global_offset_y
      - .offset:         264
        .size:           8
        .value_kind:     hidden_global_offset_z
      - .offset:         272
        .size:           2
        .value_kind:     hidden_grid_dims
    .group_segment_fixed_size: 31232
    .kernarg_segment_align: 8
    .kernarg_segment_size: 464
    .language:       OpenCL C
    .language_version:
      - 2
      - 0
    .max_flat_workgroup_size: 256
    .name:           _ZL15flash_attn_tileILi256ELi256ELi32ELi1ELb1EEvPKcS1_S1_S1_S1_PKiPfP15HIP_vector_typeIfLj2EEffffjfiS5_IjLj3EEiiiiiiiiiiiliiliiiiil
    .private_segment_fixed_size: 32
    .sgpr_count:     58
    .sgpr_spill_count: 0
    .symbol:         _ZL15flash_attn_tileILi256ELi256ELi32ELi1ELb1EEvPKcS1_S1_S1_S1_PKiPfP15HIP_vector_typeIfLj2EEffffjfiS5_IjLj3EEiiiiiiiiiiiliiliiiiil.kd
    .uniform_work_group_size: 1
    .uses_dynamic_stack: false
    .vgpr_count:     125
    .vgpr_spill_count: 0
    .wavefront_size: 64
  - .agpr_count:     0
    .args:
      - .address_space:  global
        .offset:         0
        .size:           8
        .value_kind:     global_buffer
      - .address_space:  global
        .offset:         8
        .size:           8
        .value_kind:     global_buffer
      - .address_space:  global
        .offset:         16
        .size:           8
        .value_kind:     global_buffer
      - .address_space:  global
        .offset:         24
        .size:           8
        .value_kind:     global_buffer
      - .address_space:  global
        .offset:         32
        .size:           8
        .value_kind:     global_buffer
      - .address_space:  global
        .offset:         40
        .size:           8
        .value_kind:     global_buffer
      - .address_space:  global
        .offset:         48
        .size:           8
        .value_kind:     global_buffer
      - .address_space:  global
        .offset:         56
        .size:           8
        .value_kind:     global_buffer
      - .offset:         64
        .size:           4
        .value_kind:     by_value
      - .offset:         68
        .size:           4
        .value_kind:     by_value
      - .offset:         72
        .size:           4
        .value_kind:     by_value
      - .offset:         76
        .size:           4
        .value_kind:     by_value
      - .offset:         80
        .size:           4
        .value_kind:     by_value
      - .offset:         84
        .size:           4
        .value_kind:     by_value
      - .offset:         88
        .size:           4
        .value_kind:     by_value
      - .offset:         92
        .size:           12
        .value_kind:     by_value
      - .offset:         104
        .size:           4
        .value_kind:     by_value
      - .offset:         108
        .size:           4
        .value_kind:     by_value
      - .offset:         112
        .size:           4
        .value_kind:     by_value
      - .offset:         116
        .size:           4
        .value_kind:     by_value
      - .offset:         120
        .size:           4
        .value_kind:     by_value
      - .offset:         124
        .size:           4
        .value_kind:     by_value
      - .offset:         128
        .size:           4
        .value_kind:     by_value
      - .offset:         132
        .size:           4
        .value_kind:     by_value
      - .offset:         136
        .size:           4
        .value_kind:     by_value
      - .offset:         140
        .size:           4
        .value_kind:     by_value
      - .offset:         144
        .size:           4
        .value_kind:     by_value
      - .offset:         152
        .size:           8
        .value_kind:     by_value
      - .offset:         160
        .size:           4
        .value_kind:     by_value
      - .offset:         164
        .size:           4
        .value_kind:     by_value
      - .offset:         168
        .size:           8
        .value_kind:     by_value
      - .offset:         176
        .size:           4
        .value_kind:     by_value
      - .offset:         180
        .size:           4
        .value_kind:     by_value
      - .offset:         184
        .size:           4
        .value_kind:     by_value
      - .offset:         188
        .size:           4
        .value_kind:     by_value
      - .offset:         192
        .size:           4
        .value_kind:     by_value
      - .offset:         200
        .size:           8
        .value_kind:     by_value
      - .offset:         208
        .size:           4
        .value_kind:     hidden_block_count_x
      - .offset:         212
        .size:           4
        .value_kind:     hidden_block_count_y
      - .offset:         216
        .size:           4
        .value_kind:     hidden_block_count_z
      - .offset:         220
        .size:           2
        .value_kind:     hidden_group_size_x
      - .offset:         222
        .size:           2
        .value_kind:     hidden_group_size_y
      - .offset:         224
        .size:           2
        .value_kind:     hidden_group_size_z
      - .offset:         226
        .size:           2
        .value_kind:     hidden_remainder_x
      - .offset:         228
        .size:           2
        .value_kind:     hidden_remainder_y
      - .offset:         230
        .size:           2
        .value_kind:     hidden_remainder_z
      - .offset:         248
        .size:           8
        .value_kind:     hidden_global_offset_x
      - .offset:         256
        .size:           8
        .value_kind:     hidden_global_offset_y
      - .offset:         264
        .size:           8
        .value_kind:     hidden_global_offset_z
      - .offset:         272
        .size:           2
        .value_kind:     hidden_grid_dims
    .group_segment_fixed_size: 17920
    .kernarg_segment_align: 8
    .kernarg_segment_size: 464
    .language:       OpenCL C
    .language_version:
      - 2
      - 0
    .max_flat_workgroup_size: 256
    .name:           _ZL15flash_attn_tileILi256ELi256ELi16ELi1ELb1EEvPKcS1_S1_S1_S1_PKiPfP15HIP_vector_typeIfLj2EEffffjfiS5_IjLj3EEiiiiiiiiiiiliiliiiiil
    .private_segment_fixed_size: 32
    .sgpr_count:     62
    .sgpr_spill_count: 0
    .symbol:         _ZL15flash_attn_tileILi256ELi256ELi16ELi1ELb1EEvPKcS1_S1_S1_S1_PKiPfP15HIP_vector_typeIfLj2EEffffjfiS5_IjLj3EEiiiiiiiiiiiliiliiiiil.kd
    .uniform_work_group_size: 1
    .uses_dynamic_stack: false
    .vgpr_count:     128
    .vgpr_spill_count: 0
    .wavefront_size: 64
  - .agpr_count:     0
    .args:
      - .address_space:  global
        .offset:         0
        .size:           8
        .value_kind:     global_buffer
      - .address_space:  global
        .offset:         8
        .size:           8
        .value_kind:     global_buffer
      - .address_space:  global
        .offset:         16
        .size:           8
        .value_kind:     global_buffer
      - .address_space:  global
        .offset:         24
        .size:           8
        .value_kind:     global_buffer
      - .address_space:  global
        .offset:         32
        .size:           8
        .value_kind:     global_buffer
      - .address_space:  global
        .offset:         40
        .size:           8
        .value_kind:     global_buffer
      - .address_space:  global
        .offset:         48
        .size:           8
        .value_kind:     global_buffer
      - .address_space:  global
        .offset:         56
        .size:           8
        .value_kind:     global_buffer
      - .offset:         64
        .size:           4
        .value_kind:     by_value
      - .offset:         68
        .size:           4
        .value_kind:     by_value
      - .offset:         72
        .size:           4
        .value_kind:     by_value
      - .offset:         76
        .size:           4
        .value_kind:     by_value
      - .offset:         80
        .size:           4
        .value_kind:     by_value
      - .offset:         84
        .size:           4
        .value_kind:     by_value
      - .offset:         88
        .size:           4
        .value_kind:     by_value
      - .offset:         92
        .size:           12
        .value_kind:     by_value
      - .offset:         104
        .size:           4
        .value_kind:     by_value
      - .offset:         108
        .size:           4
        .value_kind:     by_value
      - .offset:         112
        .size:           4
        .value_kind:     by_value
      - .offset:         116
        .size:           4
        .value_kind:     by_value
      - .offset:         120
        .size:           4
        .value_kind:     by_value
      - .offset:         124
        .size:           4
        .value_kind:     by_value
      - .offset:         128
        .size:           4
        .value_kind:     by_value
      - .offset:         132
        .size:           4
        .value_kind:     by_value
      - .offset:         136
        .size:           4
        .value_kind:     by_value
      - .offset:         140
        .size:           4
        .value_kind:     by_value
      - .offset:         144
        .size:           4
        .value_kind:     by_value
      - .offset:         152
        .size:           8
        .value_kind:     by_value
      - .offset:         160
        .size:           4
        .value_kind:     by_value
      - .offset:         164
        .size:           4
        .value_kind:     by_value
      - .offset:         168
        .size:           8
        .value_kind:     by_value
      - .offset:         176
        .size:           4
        .value_kind:     by_value
      - .offset:         180
        .size:           4
        .value_kind:     by_value
      - .offset:         184
        .size:           4
        .value_kind:     by_value
      - .offset:         188
        .size:           4
        .value_kind:     by_value
      - .offset:         192
        .size:           4
        .value_kind:     by_value
      - .offset:         200
        .size:           8
        .value_kind:     by_value
      - .offset:         208
        .size:           4
        .value_kind:     hidden_block_count_x
      - .offset:         212
        .size:           4
        .value_kind:     hidden_block_count_y
      - .offset:         216
        .size:           4
        .value_kind:     hidden_block_count_z
      - .offset:         220
        .size:           2
        .value_kind:     hidden_group_size_x
      - .offset:         222
        .size:           2
        .value_kind:     hidden_group_size_y
      - .offset:         224
        .size:           2
        .value_kind:     hidden_group_size_z
      - .offset:         226
        .size:           2
        .value_kind:     hidden_remainder_x
      - .offset:         228
        .size:           2
        .value_kind:     hidden_remainder_y
      - .offset:         230
        .size:           2
        .value_kind:     hidden_remainder_z
      - .offset:         248
        .size:           8
        .value_kind:     hidden_global_offset_x
      - .offset:         256
        .size:           8
        .value_kind:     hidden_global_offset_y
      - .offset:         264
        .size:           8
        .value_kind:     hidden_global_offset_z
      - .offset:         272
        .size:           2
        .value_kind:     hidden_grid_dims
    .group_segment_fixed_size: 30720
    .kernarg_segment_align: 8
    .kernarg_segment_size: 464
    .language:       OpenCL C
    .language_version:
      - 2
      - 0
    .max_flat_workgroup_size: 256
    .name:           _ZL15flash_attn_tileILi256ELi256ELi8ELi1ELb1EEvPKcS1_S1_S1_S1_PKiPfP15HIP_vector_typeIfLj2EEffffjfiS5_IjLj3EEiiiiiiiiiiiliiliiiiil
    .private_segment_fixed_size: 0
    .sgpr_count:     56
    .sgpr_spill_count: 0
    .symbol:         _ZL15flash_attn_tileILi256ELi256ELi8ELi1ELb1EEvPKcS1_S1_S1_S1_PKiPfP15HIP_vector_typeIfLj2EEffffjfiS5_IjLj3EEiiiiiiiiiiiliiliiiiil.kd
    .uniform_work_group_size: 1
    .uses_dynamic_stack: false
    .vgpr_count:     197
    .vgpr_spill_count: 0
    .wavefront_size: 64
  - .agpr_count:     0
    .args:
      - .address_space:  global
        .offset:         0
        .size:           8
        .value_kind:     global_buffer
      - .address_space:  global
        .offset:         8
        .size:           8
        .value_kind:     global_buffer
      - .address_space:  global
        .offset:         16
        .size:           8
        .value_kind:     global_buffer
      - .address_space:  global
        .offset:         24
        .size:           8
        .value_kind:     global_buffer
      - .address_space:  global
        .offset:         32
        .size:           8
        .value_kind:     global_buffer
      - .address_space:  global
        .offset:         40
        .size:           8
        .value_kind:     global_buffer
      - .address_space:  global
        .offset:         48
        .size:           8
        .value_kind:     global_buffer
      - .address_space:  global
        .offset:         56
        .size:           8
        .value_kind:     global_buffer
      - .offset:         64
        .size:           4
        .value_kind:     by_value
      - .offset:         68
        .size:           4
        .value_kind:     by_value
      - .offset:         72
        .size:           4
        .value_kind:     by_value
      - .offset:         76
        .size:           4
        .value_kind:     by_value
      - .offset:         80
        .size:           4
        .value_kind:     by_value
      - .offset:         84
        .size:           4
        .value_kind:     by_value
      - .offset:         88
        .size:           4
        .value_kind:     by_value
      - .offset:         92
        .size:           12
        .value_kind:     by_value
      - .offset:         104
        .size:           4
        .value_kind:     by_value
      - .offset:         108
        .size:           4
        .value_kind:     by_value
      - .offset:         112
        .size:           4
        .value_kind:     by_value
      - .offset:         116
        .size:           4
        .value_kind:     by_value
      - .offset:         120
        .size:           4
        .value_kind:     by_value
      - .offset:         124
        .size:           4
        .value_kind:     by_value
      - .offset:         128
        .size:           4
        .value_kind:     by_value
      - .offset:         132
        .size:           4
        .value_kind:     by_value
      - .offset:         136
        .size:           4
        .value_kind:     by_value
      - .offset:         140
        .size:           4
        .value_kind:     by_value
      - .offset:         144
        .size:           4
        .value_kind:     by_value
      - .offset:         152
        .size:           8
        .value_kind:     by_value
      - .offset:         160
        .size:           4
        .value_kind:     by_value
      - .offset:         164
        .size:           4
        .value_kind:     by_value
      - .offset:         168
        .size:           8
        .value_kind:     by_value
      - .offset:         176
        .size:           4
        .value_kind:     by_value
      - .offset:         180
        .size:           4
        .value_kind:     by_value
      - .offset:         184
        .size:           4
        .value_kind:     by_value
      - .offset:         188
        .size:           4
        .value_kind:     by_value
      - .offset:         192
        .size:           4
        .value_kind:     by_value
      - .offset:         200
        .size:           8
        .value_kind:     by_value
      - .offset:         208
        .size:           4
        .value_kind:     hidden_block_count_x
      - .offset:         212
        .size:           4
        .value_kind:     hidden_block_count_y
      - .offset:         216
        .size:           4
        .value_kind:     hidden_block_count_z
      - .offset:         220
        .size:           2
        .value_kind:     hidden_group_size_x
      - .offset:         222
        .size:           2
        .value_kind:     hidden_group_size_y
      - .offset:         224
        .size:           2
        .value_kind:     hidden_group_size_z
      - .offset:         226
        .size:           2
        .value_kind:     hidden_remainder_x
      - .offset:         228
        .size:           2
        .value_kind:     hidden_remainder_y
      - .offset:         230
        .size:           2
        .value_kind:     hidden_remainder_z
      - .offset:         248
        .size:           8
        .value_kind:     hidden_global_offset_x
      - .offset:         256
        .size:           8
        .value_kind:     hidden_global_offset_y
      - .offset:         264
        .size:           8
        .value_kind:     hidden_global_offset_z
      - .offset:         272
        .size:           2
        .value_kind:     hidden_grid_dims
    .group_segment_fixed_size: 20032
    .kernarg_segment_align: 8
    .kernarg_segment_size: 464
    .language:       OpenCL C
    .language_version:
      - 2
      - 0
    .max_flat_workgroup_size: 256
    .name:           _ZL15flash_attn_tileILi256ELi256ELi4ELi1ELb1EEvPKcS1_S1_S1_S1_PKiPfP15HIP_vector_typeIfLj2EEffffjfiS5_IjLj3EEiiiiiiiiiiiliiliiiiil
    .private_segment_fixed_size: 32
    .sgpr_count:     62
    .sgpr_spill_count: 0
    .symbol:         _ZL15flash_attn_tileILi256ELi256ELi4ELi1ELb1EEvPKcS1_S1_S1_S1_PKiPfP15HIP_vector_typeIfLj2EEffffjfiS5_IjLj3EEiiiiiiiiiiiliiliiiiil.kd
    .uniform_work_group_size: 1
    .uses_dynamic_stack: false
    .vgpr_count:     133
    .vgpr_spill_count: 0
    .wavefront_size: 64
  - .agpr_count:     0
    .args:
      - .address_space:  global
        .offset:         0
        .size:           8
        .value_kind:     global_buffer
      - .address_space:  global
        .offset:         8
        .size:           8
        .value_kind:     global_buffer
      - .address_space:  global
        .offset:         16
        .size:           8
        .value_kind:     global_buffer
      - .address_space:  global
        .offset:         24
        .size:           8
        .value_kind:     global_buffer
      - .address_space:  global
        .offset:         32
        .size:           8
        .value_kind:     global_buffer
      - .address_space:  global
        .offset:         40
        .size:           8
        .value_kind:     global_buffer
      - .address_space:  global
        .offset:         48
        .size:           8
        .value_kind:     global_buffer
      - .address_space:  global
        .offset:         56
        .size:           8
        .value_kind:     global_buffer
      - .offset:         64
        .size:           4
        .value_kind:     by_value
      - .offset:         68
        .size:           4
        .value_kind:     by_value
      - .offset:         72
        .size:           4
        .value_kind:     by_value
      - .offset:         76
        .size:           4
        .value_kind:     by_value
      - .offset:         80
        .size:           4
        .value_kind:     by_value
      - .offset:         84
        .size:           4
        .value_kind:     by_value
      - .offset:         88
        .size:           4
        .value_kind:     by_value
      - .offset:         92
        .size:           12
        .value_kind:     by_value
      - .offset:         104
        .size:           4
        .value_kind:     by_value
      - .offset:         108
        .size:           4
        .value_kind:     by_value
      - .offset:         112
        .size:           4
        .value_kind:     by_value
      - .offset:         116
        .size:           4
        .value_kind:     by_value
      - .offset:         120
        .size:           4
        .value_kind:     by_value
      - .offset:         124
        .size:           4
        .value_kind:     by_value
      - .offset:         128
        .size:           4
        .value_kind:     by_value
      - .offset:         132
        .size:           4
        .value_kind:     by_value
      - .offset:         136
        .size:           4
        .value_kind:     by_value
      - .offset:         140
        .size:           4
        .value_kind:     by_value
      - .offset:         144
        .size:           4
        .value_kind:     by_value
      - .offset:         152
        .size:           8
        .value_kind:     by_value
      - .offset:         160
        .size:           4
        .value_kind:     by_value
      - .offset:         164
        .size:           4
        .value_kind:     by_value
      - .offset:         168
        .size:           8
        .value_kind:     by_value
      - .offset:         176
        .size:           4
        .value_kind:     by_value
      - .offset:         180
        .size:           4
        .value_kind:     by_value
      - .offset:         184
        .size:           4
        .value_kind:     by_value
      - .offset:         188
        .size:           4
        .value_kind:     by_value
      - .offset:         192
        .size:           4
        .value_kind:     by_value
      - .offset:         200
        .size:           8
        .value_kind:     by_value
      - .offset:         208
        .size:           4
        .value_kind:     hidden_block_count_x
      - .offset:         212
        .size:           4
        .value_kind:     hidden_block_count_y
      - .offset:         216
        .size:           4
        .value_kind:     hidden_block_count_z
      - .offset:         220
        .size:           2
        .value_kind:     hidden_group_size_x
      - .offset:         222
        .size:           2
        .value_kind:     hidden_group_size_y
      - .offset:         224
        .size:           2
        .value_kind:     hidden_group_size_z
      - .offset:         226
        .size:           2
        .value_kind:     hidden_remainder_x
      - .offset:         228
        .size:           2
        .value_kind:     hidden_remainder_y
      - .offset:         230
        .size:           2
        .value_kind:     hidden_remainder_z
      - .offset:         248
        .size:           8
        .value_kind:     hidden_global_offset_x
      - .offset:         256
        .size:           8
        .value_kind:     hidden_global_offset_y
      - .offset:         264
        .size:           8
        .value_kind:     hidden_global_offset_z
      - .offset:         272
        .size:           2
        .value_kind:     hidden_grid_dims
    .group_segment_fixed_size: 20032
    .kernarg_segment_align: 8
    .kernarg_segment_size: 464
    .language:       OpenCL C
    .language_version:
      - 2
      - 0
    .max_flat_workgroup_size: 256
    .name:           _ZL15flash_attn_tileILi256ELi256ELi2ELi1ELb1EEvPKcS1_S1_S1_S1_PKiPfP15HIP_vector_typeIfLj2EEffffjfiS5_IjLj3EEiiiiiiiiiiiliiliiiiil
    .private_segment_fixed_size: 32
    .sgpr_count:     62
    .sgpr_spill_count: 0
    .symbol:         _ZL15flash_attn_tileILi256ELi256ELi2ELi1ELb1EEvPKcS1_S1_S1_S1_PKiPfP15HIP_vector_typeIfLj2EEffffjfiS5_IjLj3EEiiiiiiiiiiiliiliiiiil.kd
    .uniform_work_group_size: 1
    .uses_dynamic_stack: false
    .vgpr_count:     94
    .vgpr_spill_count: 0
    .wavefront_size: 64
amdhsa.target:   amdgcn-amd-amdhsa--gfx90a
amdhsa.version:
  - 1
  - 2
...

	.end_amdgpu_metadata
